;; amdgpu-corpus repo=ROCm/rocSPARSE kind=compiled arch=gfx1201 opt=O3
	.amdgcn_target "amdgcn-amd-amdhsa--gfx1201"
	.amdhsa_code_object_version 6
	.section	.text._ZN9rocsparseL19gebsrmvn_4xn_kernelILj128ELj1ELj4EfEEvi20rocsparse_direction_NS_24const_host_device_scalarIT2_EEPKiS6_PKS3_S8_S4_PS3_21rocsparse_index_base_b,"axG",@progbits,_ZN9rocsparseL19gebsrmvn_4xn_kernelILj128ELj1ELj4EfEEvi20rocsparse_direction_NS_24const_host_device_scalarIT2_EEPKiS6_PKS3_S8_S4_PS3_21rocsparse_index_base_b,comdat
	.globl	_ZN9rocsparseL19gebsrmvn_4xn_kernelILj128ELj1ELj4EfEEvi20rocsparse_direction_NS_24const_host_device_scalarIT2_EEPKiS6_PKS3_S8_S4_PS3_21rocsparse_index_base_b ; -- Begin function _ZN9rocsparseL19gebsrmvn_4xn_kernelILj128ELj1ELj4EfEEvi20rocsparse_direction_NS_24const_host_device_scalarIT2_EEPKiS6_PKS3_S8_S4_PS3_21rocsparse_index_base_b
	.p2align	8
	.type	_ZN9rocsparseL19gebsrmvn_4xn_kernelILj128ELj1ELj4EfEEvi20rocsparse_direction_NS_24const_host_device_scalarIT2_EEPKiS6_PKS3_S8_S4_PS3_21rocsparse_index_base_b,@function
_ZN9rocsparseL19gebsrmvn_4xn_kernelILj128ELj1ELj4EfEEvi20rocsparse_direction_NS_24const_host_device_scalarIT2_EEPKiS6_PKS3_S8_S4_PS3_21rocsparse_index_base_b: ; @_ZN9rocsparseL19gebsrmvn_4xn_kernelILj128ELj1ELj4EfEEvi20rocsparse_direction_NS_24const_host_device_scalarIT2_EEPKiS6_PKS3_S8_S4_PS3_21rocsparse_index_base_b
; %bb.0:
	s_clause 0x2
	s_load_b64 s[16:17], s[0:1], 0x40
	s_load_b64 s[14:15], s[0:1], 0x8
	;; [unrolled: 1-line block ×3, first 2 shown]
	s_wait_kmcnt 0x0
	s_bitcmp1_b32 s17, 0
	s_cselect_b32 s2, -1, 0
	s_delay_alu instid0(SALU_CYCLE_1)
	s_and_b32 vcc_lo, exec_lo, s2
	s_xor_b32 s2, s2, -1
	s_cbranch_vccnz .LBB0_2
; %bb.1:
	s_load_b32 s14, s[14:15], 0x0
.LBB0_2:
	s_and_not1_b32 vcc_lo, exec_lo, s2
	s_cbranch_vccnz .LBB0_4
; %bb.3:
	s_load_b32 s12, s[12:13], 0x0
.LBB0_4:
	s_wait_kmcnt 0x0
	s_cmp_eq_f32 s14, 0
	s_cselect_b32 s2, -1, 0
	s_cmp_eq_f32 s12, 1.0
	s_cselect_b32 s3, -1, 0
	s_delay_alu instid0(SALU_CYCLE_1) | instskip(NEXT) | instid1(SALU_CYCLE_1)
	s_and_b32 s2, s2, s3
	s_and_b32 vcc_lo, exec_lo, s2
	s_cbranch_vccnz .LBB0_23
; %bb.5:
	s_load_b64 s[2:3], s[0:1], 0x0
	v_lshrrev_b32_e32 v1, 2, v0
	s_delay_alu instid0(VALU_DEP_1) | instskip(SKIP_1) | instid1(VALU_DEP_1)
	v_lshl_or_b32 v4, ttmp9, 5, v1
	s_wait_kmcnt 0x0
	v_cmp_gt_i32_e32 vcc_lo, s2, v4
	s_and_saveexec_b32 s2, vcc_lo
	s_cbranch_execz .LBB0_23
; %bb.6:
	s_load_b256 s[4:11], s[0:1], 0x10
	v_ashrrev_i32_e32 v5, 31, v4
	v_and_b32_e32 v7, 3, v0
	s_cmp_lg_u32 s3, 0
	s_delay_alu instid0(VALU_DEP_2) | instskip(SKIP_1) | instid1(VALU_DEP_1)
	v_lshlrev_b64_e32 v[1:2], 2, v[4:5]
	s_wait_kmcnt 0x0
	v_add_co_u32 v1, vcc_lo, s4, v1
	s_delay_alu instid0(VALU_DEP_1) | instskip(SKIP_4) | instid1(VALU_DEP_2)
	v_add_co_ci_u32_e64 v2, null, s5, v2, vcc_lo
	global_load_b64 v[1:2], v[1:2], off
	s_wait_loadcnt 0x0
	v_subrev_nc_u32_e32 v0, s16, v1
	v_subrev_nc_u32_e32 v12, s16, v2
	v_add_nc_u32_e32 v0, v0, v7
	s_delay_alu instid0(VALU_DEP_1)
	v_cmp_lt_i32_e64 s2, v0, v12
	s_cbranch_scc0 .LBB0_12
; %bb.7:
	v_dual_mov_b32 v8, 0 :: v_dual_mov_b32 v9, 0
	v_dual_mov_b32 v10, 0 :: v_dual_mov_b32 v11, 0
	s_and_saveexec_b32 s3, s2
	s_cbranch_execz .LBB0_11
; %bb.8:
	v_dual_mov_b32 v2, 0 :: v_dual_lshlrev_b32 v1, 2, v0
	v_mov_b32_e32 v5, v0
	s_mov_b32 s4, 0
	s_delay_alu instid0(VALU_DEP_2)
	v_dual_mov_b32 v8, v2 :: v_dual_mov_b32 v9, v2
	v_dual_mov_b32 v10, v2 :: v_dual_mov_b32 v11, v2
.LBB0_9:                                ; =>This Inner Loop Header: Depth=1
	s_delay_alu instid0(VALU_DEP_3) | instskip(SKIP_1) | instid1(VALU_DEP_2)
	v_ashrrev_i32_e32 v6, 31, v5
	v_mov_b32_e32 v15, v2
	v_lshlrev_b64_e32 v[13:14], 2, v[5:6]
	s_delay_alu instid0(VALU_DEP_1) | instskip(SKIP_1) | instid1(VALU_DEP_2)
	v_add_co_u32 v13, vcc_lo, s6, v13
	s_wait_alu 0xfffd
	v_add_co_ci_u32_e64 v14, null, s7, v14, vcc_lo
	global_load_b32 v3, v[13:14], off
	v_lshlrev_b64_e32 v[13:14], 2, v[1:2]
	v_add_nc_u32_e32 v1, 16, v1
	s_delay_alu instid0(VALU_DEP_2) | instskip(SKIP_1) | instid1(VALU_DEP_3)
	v_add_co_u32 v16, vcc_lo, s8, v13
	s_wait_alu 0xfffd
	v_add_co_ci_u32_e64 v17, null, s9, v14, vcc_lo
	s_wait_loadcnt 0x0
	v_subrev_nc_u32_e32 v14, s16, v3
	s_delay_alu instid0(VALU_DEP_1) | instskip(NEXT) | instid1(VALU_DEP_1)
	v_lshlrev_b64_e32 v[13:14], 2, v[14:15]
	v_add_co_u32 v18, vcc_lo, s10, v13
	s_wait_alu 0xfffd
	s_delay_alu instid0(VALU_DEP_2) | instskip(SKIP_4) | instid1(VALU_DEP_1)
	v_add_co_ci_u32_e64 v19, null, s11, v14, vcc_lo
	global_load_b128 v[13:16], v[16:17], off
	global_load_b32 v3, v[18:19], off
	s_wait_loadcnt 0x0
	v_dual_fmac_f32 v10, v15, v3 :: v_dual_add_nc_u32 v5, 4, v5
	v_cmp_ge_i32_e32 vcc_lo, v5, v12
	v_fmac_f32_e32 v8, v13, v3
	v_fmac_f32_e32 v11, v14, v3
	;; [unrolled: 1-line block ×3, first 2 shown]
	s_wait_alu 0xfffe
	s_or_b32 s4, vcc_lo, s4
	s_wait_alu 0xfffe
	s_and_not1_b32 exec_lo, exec_lo, s4
	s_cbranch_execnz .LBB0_9
; %bb.10:
	s_or_b32 exec_lo, exec_lo, s4
.LBB0_11:
	s_wait_alu 0xfffe
	s_or_b32 exec_lo, exec_lo, s3
	s_cbranch_execz .LBB0_13
	s_branch .LBB0_18
.LBB0_12:
                                        ; implicit-def: $vgpr8
                                        ; implicit-def: $vgpr9
                                        ; implicit-def: $vgpr10
                                        ; implicit-def: $vgpr11
.LBB0_13:
	v_dual_mov_b32 v8, 0 :: v_dual_mov_b32 v9, 0
	v_dual_mov_b32 v10, 0 :: v_dual_mov_b32 v11, 0
	s_and_saveexec_b32 s3, s2
	s_cbranch_execz .LBB0_17
; %bb.14:
	v_dual_mov_b32 v3, 0 :: v_dual_lshlrev_b32 v2, 2, v0
	s_mov_b32 s2, 0
	s_delay_alu instid0(VALU_DEP_1)
	v_dual_mov_b32 v8, v3 :: v_dual_mov_b32 v9, v3
	v_dual_mov_b32 v10, v3 :: v_dual_mov_b32 v11, v3
.LBB0_15:                               ; =>This Inner Loop Header: Depth=1
	v_ashrrev_i32_e32 v1, 31, v0
	v_mov_b32_e32 v14, v3
	s_delay_alu instid0(VALU_DEP_2) | instskip(NEXT) | instid1(VALU_DEP_1)
	v_lshlrev_b64_e32 v[5:6], 2, v[0:1]
	v_add_co_u32 v5, vcc_lo, s6, v5
	s_wait_alu 0xfffd
	s_delay_alu instid0(VALU_DEP_2) | instskip(SKIP_3) | instid1(VALU_DEP_2)
	v_add_co_ci_u32_e64 v6, null, s7, v6, vcc_lo
	global_load_b32 v1, v[5:6], off
	v_lshlrev_b64_e32 v[5:6], 2, v[2:3]
	v_add_nc_u32_e32 v2, 16, v2
	v_add_co_u32 v5, vcc_lo, s8, v5
	s_wait_alu 0xfffd
	s_delay_alu instid0(VALU_DEP_3) | instskip(SKIP_2) | instid1(VALU_DEP_1)
	v_add_co_ci_u32_e64 v6, null, s9, v6, vcc_lo
	s_wait_loadcnt 0x0
	v_subrev_nc_u32_e32 v13, s16, v1
	v_lshlrev_b64_e32 v[13:14], 2, v[13:14]
	s_delay_alu instid0(VALU_DEP_1) | instskip(SKIP_1) | instid1(VALU_DEP_2)
	v_add_co_u32 v17, vcc_lo, s10, v13
	s_wait_alu 0xfffd
	v_add_co_ci_u32_e64 v18, null, s11, v14, vcc_lo
	global_load_b128 v[13:16], v[5:6], off
	global_load_b32 v1, v[17:18], off
	s_wait_loadcnt 0x0
	v_dual_fmac_f32 v11, v14, v1 :: v_dual_add_nc_u32 v0, 4, v0
	s_delay_alu instid0(VALU_DEP_1)
	v_cmp_ge_i32_e32 vcc_lo, v0, v12
	v_fmac_f32_e32 v8, v13, v1
	v_fmac_f32_e32 v10, v15, v1
	;; [unrolled: 1-line block ×3, first 2 shown]
	s_wait_alu 0xfffe
	s_or_b32 s2, vcc_lo, s2
	s_wait_alu 0xfffe
	s_and_not1_b32 exec_lo, exec_lo, s2
	s_cbranch_execnz .LBB0_15
; %bb.16:
	s_or_b32 exec_lo, exec_lo, s2
.LBB0_17:
	s_wait_alu 0xfffe
	s_or_b32 exec_lo, exec_lo, s3
.LBB0_18:
	v_mbcnt_lo_u32_b32 v0, -1, 0
	s_mov_b32 s2, -1
	s_delay_alu instid0(VALU_DEP_1) | instskip(NEXT) | instid1(VALU_DEP_1)
	v_xor_b32_e32 v1, 2, v0
	v_cmp_gt_i32_e32 vcc_lo, 32, v1
	s_wait_alu 0xfffd
	v_cndmask_b32_e32 v1, v0, v1, vcc_lo
	s_delay_alu instid0(VALU_DEP_1)
	v_lshlrev_b32_e32 v1, 2, v1
	ds_bpermute_b32 v2, v1, v8
	ds_bpermute_b32 v3, v1, v11
	;; [unrolled: 1-line block ×4, first 2 shown]
	v_xor_b32_e32 v1, 1, v0
	s_delay_alu instid0(VALU_DEP_1) | instskip(SKIP_4) | instid1(VALU_DEP_2)
	v_cmp_gt_i32_e32 vcc_lo, 32, v1
	s_wait_alu 0xfffd
	v_cndmask_b32_e32 v0, v0, v1, vcc_lo
	v_cmp_eq_u32_e32 vcc_lo, 3, v7
	s_wait_dscnt 0x2
	v_dual_add_f32 v1, v11, v3 :: v_dual_lshlrev_b32 v12, 2, v0
	v_add_f32_e32 v0, v8, v2
	s_wait_dscnt 0x0
	v_dual_add_f32 v2, v10, v5 :: v_dual_add_f32 v3, v9, v6
	ds_bpermute_b32 v6, v12, v1
	ds_bpermute_b32 v5, v12, v0
	;; [unrolled: 1-line block ×4, first 2 shown]
	s_and_b32 exec_lo, exec_lo, vcc_lo
	s_cbranch_execz .LBB0_23
; %bb.19:
	s_load_b64 s[0:1], s[0:1], 0x38
	s_wait_dscnt 0x2
	v_dual_add_f32 v0, v0, v5 :: v_dual_add_f32 v1, v1, v6
	s_wait_dscnt 0x0
	v_dual_add_f32 v2, v2, v8 :: v_dual_add_f32 v3, v3, v9
	v_lshlrev_b32_e32 v4, 2, v4
	s_delay_alu instid0(VALU_DEP_3) | instskip(NEXT) | instid1(VALU_DEP_3)
	v_dual_mul_f32 v0, s14, v0 :: v_dual_mul_f32 v1, s14, v1
	v_dual_mul_f32 v2, s14, v2 :: v_dual_mul_f32 v3, s14, v3
	s_cmp_eq_f32 s12, 0
	s_cbranch_scc0 .LBB0_21
; %bb.20:
	v_ashrrev_i32_e32 v5, 31, v4
	s_mov_b32 s2, 0
	s_delay_alu instid0(VALU_DEP_1) | instskip(SKIP_1) | instid1(VALU_DEP_1)
	v_lshlrev_b64_e32 v[5:6], 2, v[4:5]
	s_wait_kmcnt 0x0
	v_add_co_u32 v5, vcc_lo, s0, v5
	s_wait_alu 0xfffd
	s_delay_alu instid0(VALU_DEP_2)
	v_add_co_ci_u32_e64 v6, null, s1, v6, vcc_lo
	global_store_b128 v[5:6], v[0:3], off
.LBB0_21:
	s_wait_alu 0xfffe
	s_and_not1_b32 vcc_lo, exec_lo, s2
	s_wait_alu 0xfffe
	s_cbranch_vccnz .LBB0_23
; %bb.22:
	v_ashrrev_i32_e32 v5, 31, v4
	s_delay_alu instid0(VALU_DEP_1) | instskip(SKIP_1) | instid1(VALU_DEP_1)
	v_lshlrev_b64_e32 v[4:5], 2, v[4:5]
	s_wait_kmcnt 0x0
	v_add_co_u32 v8, vcc_lo, s0, v4
	s_wait_alu 0xfffd
	s_delay_alu instid0(VALU_DEP_2)
	v_add_co_ci_u32_e64 v9, null, s1, v5, vcc_lo
	global_load_b128 v[4:7], v[8:9], off
	s_wait_loadcnt 0x0
	v_dual_fmac_f32 v0, s12, v4 :: v_dual_fmac_f32 v1, s12, v5
	v_dual_fmac_f32 v2, s12, v6 :: v_dual_fmac_f32 v3, s12, v7
	global_store_b128 v[8:9], v[0:3], off
.LBB0_23:
	s_endpgm
	.section	.rodata,"a",@progbits
	.p2align	6, 0x0
	.amdhsa_kernel _ZN9rocsparseL19gebsrmvn_4xn_kernelILj128ELj1ELj4EfEEvi20rocsparse_direction_NS_24const_host_device_scalarIT2_EEPKiS6_PKS3_S8_S4_PS3_21rocsparse_index_base_b
		.amdhsa_group_segment_fixed_size 0
		.amdhsa_private_segment_fixed_size 0
		.amdhsa_kernarg_size 72
		.amdhsa_user_sgpr_count 2
		.amdhsa_user_sgpr_dispatch_ptr 0
		.amdhsa_user_sgpr_queue_ptr 0
		.amdhsa_user_sgpr_kernarg_segment_ptr 1
		.amdhsa_user_sgpr_dispatch_id 0
		.amdhsa_user_sgpr_private_segment_size 0
		.amdhsa_wavefront_size32 1
		.amdhsa_uses_dynamic_stack 0
		.amdhsa_enable_private_segment 0
		.amdhsa_system_sgpr_workgroup_id_x 1
		.amdhsa_system_sgpr_workgroup_id_y 0
		.amdhsa_system_sgpr_workgroup_id_z 0
		.amdhsa_system_sgpr_workgroup_info 0
		.amdhsa_system_vgpr_workitem_id 0
		.amdhsa_next_free_vgpr 20
		.amdhsa_next_free_sgpr 18
		.amdhsa_reserve_vcc 1
		.amdhsa_float_round_mode_32 0
		.amdhsa_float_round_mode_16_64 0
		.amdhsa_float_denorm_mode_32 3
		.amdhsa_float_denorm_mode_16_64 3
		.amdhsa_fp16_overflow 0
		.amdhsa_workgroup_processor_mode 1
		.amdhsa_memory_ordered 1
		.amdhsa_forward_progress 1
		.amdhsa_inst_pref_size 10
		.amdhsa_round_robin_scheduling 0
		.amdhsa_exception_fp_ieee_invalid_op 0
		.amdhsa_exception_fp_denorm_src 0
		.amdhsa_exception_fp_ieee_div_zero 0
		.amdhsa_exception_fp_ieee_overflow 0
		.amdhsa_exception_fp_ieee_underflow 0
		.amdhsa_exception_fp_ieee_inexact 0
		.amdhsa_exception_int_div_zero 0
	.end_amdhsa_kernel
	.section	.text._ZN9rocsparseL19gebsrmvn_4xn_kernelILj128ELj1ELj4EfEEvi20rocsparse_direction_NS_24const_host_device_scalarIT2_EEPKiS6_PKS3_S8_S4_PS3_21rocsparse_index_base_b,"axG",@progbits,_ZN9rocsparseL19gebsrmvn_4xn_kernelILj128ELj1ELj4EfEEvi20rocsparse_direction_NS_24const_host_device_scalarIT2_EEPKiS6_PKS3_S8_S4_PS3_21rocsparse_index_base_b,comdat
.Lfunc_end0:
	.size	_ZN9rocsparseL19gebsrmvn_4xn_kernelILj128ELj1ELj4EfEEvi20rocsparse_direction_NS_24const_host_device_scalarIT2_EEPKiS6_PKS3_S8_S4_PS3_21rocsparse_index_base_b, .Lfunc_end0-_ZN9rocsparseL19gebsrmvn_4xn_kernelILj128ELj1ELj4EfEEvi20rocsparse_direction_NS_24const_host_device_scalarIT2_EEPKiS6_PKS3_S8_S4_PS3_21rocsparse_index_base_b
                                        ; -- End function
	.set _ZN9rocsparseL19gebsrmvn_4xn_kernelILj128ELj1ELj4EfEEvi20rocsparse_direction_NS_24const_host_device_scalarIT2_EEPKiS6_PKS3_S8_S4_PS3_21rocsparse_index_base_b.num_vgpr, 20
	.set _ZN9rocsparseL19gebsrmvn_4xn_kernelILj128ELj1ELj4EfEEvi20rocsparse_direction_NS_24const_host_device_scalarIT2_EEPKiS6_PKS3_S8_S4_PS3_21rocsparse_index_base_b.num_agpr, 0
	.set _ZN9rocsparseL19gebsrmvn_4xn_kernelILj128ELj1ELj4EfEEvi20rocsparse_direction_NS_24const_host_device_scalarIT2_EEPKiS6_PKS3_S8_S4_PS3_21rocsparse_index_base_b.numbered_sgpr, 18
	.set _ZN9rocsparseL19gebsrmvn_4xn_kernelILj128ELj1ELj4EfEEvi20rocsparse_direction_NS_24const_host_device_scalarIT2_EEPKiS6_PKS3_S8_S4_PS3_21rocsparse_index_base_b.num_named_barrier, 0
	.set _ZN9rocsparseL19gebsrmvn_4xn_kernelILj128ELj1ELj4EfEEvi20rocsparse_direction_NS_24const_host_device_scalarIT2_EEPKiS6_PKS3_S8_S4_PS3_21rocsparse_index_base_b.private_seg_size, 0
	.set _ZN9rocsparseL19gebsrmvn_4xn_kernelILj128ELj1ELj4EfEEvi20rocsparse_direction_NS_24const_host_device_scalarIT2_EEPKiS6_PKS3_S8_S4_PS3_21rocsparse_index_base_b.uses_vcc, 1
	.set _ZN9rocsparseL19gebsrmvn_4xn_kernelILj128ELj1ELj4EfEEvi20rocsparse_direction_NS_24const_host_device_scalarIT2_EEPKiS6_PKS3_S8_S4_PS3_21rocsparse_index_base_b.uses_flat_scratch, 0
	.set _ZN9rocsparseL19gebsrmvn_4xn_kernelILj128ELj1ELj4EfEEvi20rocsparse_direction_NS_24const_host_device_scalarIT2_EEPKiS6_PKS3_S8_S4_PS3_21rocsparse_index_base_b.has_dyn_sized_stack, 0
	.set _ZN9rocsparseL19gebsrmvn_4xn_kernelILj128ELj1ELj4EfEEvi20rocsparse_direction_NS_24const_host_device_scalarIT2_EEPKiS6_PKS3_S8_S4_PS3_21rocsparse_index_base_b.has_recursion, 0
	.set _ZN9rocsparseL19gebsrmvn_4xn_kernelILj128ELj1ELj4EfEEvi20rocsparse_direction_NS_24const_host_device_scalarIT2_EEPKiS6_PKS3_S8_S4_PS3_21rocsparse_index_base_b.has_indirect_call, 0
	.section	.AMDGPU.csdata,"",@progbits
; Kernel info:
; codeLenInByte = 1180
; TotalNumSgprs: 20
; NumVgprs: 20
; ScratchSize: 0
; MemoryBound: 0
; FloatMode: 240
; IeeeMode: 1
; LDSByteSize: 0 bytes/workgroup (compile time only)
; SGPRBlocks: 0
; VGPRBlocks: 2
; NumSGPRsForWavesPerEU: 20
; NumVGPRsForWavesPerEU: 20
; Occupancy: 16
; WaveLimiterHint : 1
; COMPUTE_PGM_RSRC2:SCRATCH_EN: 0
; COMPUTE_PGM_RSRC2:USER_SGPR: 2
; COMPUTE_PGM_RSRC2:TRAP_HANDLER: 0
; COMPUTE_PGM_RSRC2:TGID_X_EN: 1
; COMPUTE_PGM_RSRC2:TGID_Y_EN: 0
; COMPUTE_PGM_RSRC2:TGID_Z_EN: 0
; COMPUTE_PGM_RSRC2:TIDIG_COMP_CNT: 0
	.section	.text._ZN9rocsparseL19gebsrmvn_4xn_kernelILj128ELj1ELj8EfEEvi20rocsparse_direction_NS_24const_host_device_scalarIT2_EEPKiS6_PKS3_S8_S4_PS3_21rocsparse_index_base_b,"axG",@progbits,_ZN9rocsparseL19gebsrmvn_4xn_kernelILj128ELj1ELj8EfEEvi20rocsparse_direction_NS_24const_host_device_scalarIT2_EEPKiS6_PKS3_S8_S4_PS3_21rocsparse_index_base_b,comdat
	.globl	_ZN9rocsparseL19gebsrmvn_4xn_kernelILj128ELj1ELj8EfEEvi20rocsparse_direction_NS_24const_host_device_scalarIT2_EEPKiS6_PKS3_S8_S4_PS3_21rocsparse_index_base_b ; -- Begin function _ZN9rocsparseL19gebsrmvn_4xn_kernelILj128ELj1ELj8EfEEvi20rocsparse_direction_NS_24const_host_device_scalarIT2_EEPKiS6_PKS3_S8_S4_PS3_21rocsparse_index_base_b
	.p2align	8
	.type	_ZN9rocsparseL19gebsrmvn_4xn_kernelILj128ELj1ELj8EfEEvi20rocsparse_direction_NS_24const_host_device_scalarIT2_EEPKiS6_PKS3_S8_S4_PS3_21rocsparse_index_base_b,@function
_ZN9rocsparseL19gebsrmvn_4xn_kernelILj128ELj1ELj8EfEEvi20rocsparse_direction_NS_24const_host_device_scalarIT2_EEPKiS6_PKS3_S8_S4_PS3_21rocsparse_index_base_b: ; @_ZN9rocsparseL19gebsrmvn_4xn_kernelILj128ELj1ELj8EfEEvi20rocsparse_direction_NS_24const_host_device_scalarIT2_EEPKiS6_PKS3_S8_S4_PS3_21rocsparse_index_base_b
; %bb.0:
	s_clause 0x2
	s_load_b64 s[16:17], s[0:1], 0x40
	s_load_b64 s[14:15], s[0:1], 0x8
	s_load_b64 s[12:13], s[0:1], 0x30
	s_wait_kmcnt 0x0
	s_bitcmp1_b32 s17, 0
	s_cselect_b32 s2, -1, 0
	s_delay_alu instid0(SALU_CYCLE_1)
	s_and_b32 vcc_lo, exec_lo, s2
	s_xor_b32 s2, s2, -1
	s_cbranch_vccnz .LBB1_2
; %bb.1:
	s_load_b32 s14, s[14:15], 0x0
.LBB1_2:
	s_and_not1_b32 vcc_lo, exec_lo, s2
	s_cbranch_vccnz .LBB1_4
; %bb.3:
	s_load_b32 s12, s[12:13], 0x0
.LBB1_4:
	s_wait_kmcnt 0x0
	s_cmp_eq_f32 s14, 0
	s_cselect_b32 s2, -1, 0
	s_cmp_eq_f32 s12, 1.0
	s_cselect_b32 s3, -1, 0
	s_delay_alu instid0(SALU_CYCLE_1) | instskip(NEXT) | instid1(SALU_CYCLE_1)
	s_and_b32 s2, s2, s3
	s_and_b32 vcc_lo, exec_lo, s2
	s_cbranch_vccnz .LBB1_23
; %bb.5:
	s_load_b64 s[2:3], s[0:1], 0x0
	v_lshrrev_b32_e32 v1, 3, v0
	s_delay_alu instid0(VALU_DEP_1) | instskip(SKIP_1) | instid1(VALU_DEP_1)
	v_lshl_or_b32 v4, ttmp9, 4, v1
	s_wait_kmcnt 0x0
	v_cmp_gt_i32_e32 vcc_lo, s2, v4
	s_and_saveexec_b32 s2, vcc_lo
	s_cbranch_execz .LBB1_23
; %bb.6:
	s_load_b256 s[4:11], s[0:1], 0x10
	v_ashrrev_i32_e32 v5, 31, v4
	v_and_b32_e32 v7, 7, v0
	s_cmp_lg_u32 s3, 0
	s_delay_alu instid0(VALU_DEP_2) | instskip(SKIP_1) | instid1(VALU_DEP_1)
	v_lshlrev_b64_e32 v[1:2], 2, v[4:5]
	s_wait_kmcnt 0x0
	v_add_co_u32 v1, vcc_lo, s4, v1
	s_delay_alu instid0(VALU_DEP_1) | instskip(SKIP_4) | instid1(VALU_DEP_2)
	v_add_co_ci_u32_e64 v2, null, s5, v2, vcc_lo
	global_load_b64 v[1:2], v[1:2], off
	s_wait_loadcnt 0x0
	v_subrev_nc_u32_e32 v0, s16, v1
	v_subrev_nc_u32_e32 v12, s16, v2
	v_add_nc_u32_e32 v0, v0, v7
	s_delay_alu instid0(VALU_DEP_1)
	v_cmp_lt_i32_e64 s2, v0, v12
	s_cbranch_scc0 .LBB1_12
; %bb.7:
	v_dual_mov_b32 v8, 0 :: v_dual_mov_b32 v9, 0
	v_dual_mov_b32 v10, 0 :: v_dual_mov_b32 v11, 0
	s_and_saveexec_b32 s3, s2
	s_cbranch_execz .LBB1_11
; %bb.8:
	v_dual_mov_b32 v2, 0 :: v_dual_lshlrev_b32 v1, 2, v0
	v_mov_b32_e32 v5, v0
	s_mov_b32 s4, 0
	s_delay_alu instid0(VALU_DEP_2)
	v_dual_mov_b32 v8, v2 :: v_dual_mov_b32 v9, v2
	v_dual_mov_b32 v10, v2 :: v_dual_mov_b32 v11, v2
.LBB1_9:                                ; =>This Inner Loop Header: Depth=1
	s_delay_alu instid0(VALU_DEP_3) | instskip(SKIP_1) | instid1(VALU_DEP_2)
	v_ashrrev_i32_e32 v6, 31, v5
	v_mov_b32_e32 v15, v2
	v_lshlrev_b64_e32 v[13:14], 2, v[5:6]
	s_delay_alu instid0(VALU_DEP_1) | instskip(SKIP_1) | instid1(VALU_DEP_2)
	v_add_co_u32 v13, vcc_lo, s6, v13
	s_wait_alu 0xfffd
	v_add_co_ci_u32_e64 v14, null, s7, v14, vcc_lo
	global_load_b32 v3, v[13:14], off
	v_lshlrev_b64_e32 v[13:14], 2, v[1:2]
	v_add_nc_u32_e32 v1, 32, v1
	s_delay_alu instid0(VALU_DEP_2) | instskip(SKIP_1) | instid1(VALU_DEP_3)
	v_add_co_u32 v16, vcc_lo, s8, v13
	s_wait_alu 0xfffd
	v_add_co_ci_u32_e64 v17, null, s9, v14, vcc_lo
	s_wait_loadcnt 0x0
	v_subrev_nc_u32_e32 v14, s16, v3
	s_delay_alu instid0(VALU_DEP_1) | instskip(NEXT) | instid1(VALU_DEP_1)
	v_lshlrev_b64_e32 v[13:14], 2, v[14:15]
	v_add_co_u32 v18, vcc_lo, s10, v13
	s_wait_alu 0xfffd
	s_delay_alu instid0(VALU_DEP_2) | instskip(SKIP_4) | instid1(VALU_DEP_1)
	v_add_co_ci_u32_e64 v19, null, s11, v14, vcc_lo
	global_load_b128 v[13:16], v[16:17], off
	global_load_b32 v3, v[18:19], off
	s_wait_loadcnt 0x0
	v_dual_fmac_f32 v10, v15, v3 :: v_dual_add_nc_u32 v5, 8, v5
	v_cmp_ge_i32_e32 vcc_lo, v5, v12
	v_fmac_f32_e32 v8, v13, v3
	v_fmac_f32_e32 v11, v14, v3
	v_fmac_f32_e32 v9, v16, v3
	s_wait_alu 0xfffe
	s_or_b32 s4, vcc_lo, s4
	s_wait_alu 0xfffe
	s_and_not1_b32 exec_lo, exec_lo, s4
	s_cbranch_execnz .LBB1_9
; %bb.10:
	s_or_b32 exec_lo, exec_lo, s4
.LBB1_11:
	s_wait_alu 0xfffe
	s_or_b32 exec_lo, exec_lo, s3
	s_cbranch_execz .LBB1_13
	s_branch .LBB1_18
.LBB1_12:
                                        ; implicit-def: $vgpr8
                                        ; implicit-def: $vgpr9
                                        ; implicit-def: $vgpr10
                                        ; implicit-def: $vgpr11
.LBB1_13:
	v_dual_mov_b32 v8, 0 :: v_dual_mov_b32 v9, 0
	v_dual_mov_b32 v10, 0 :: v_dual_mov_b32 v11, 0
	s_and_saveexec_b32 s3, s2
	s_cbranch_execz .LBB1_17
; %bb.14:
	v_dual_mov_b32 v3, 0 :: v_dual_lshlrev_b32 v2, 2, v0
	s_mov_b32 s2, 0
	s_delay_alu instid0(VALU_DEP_1)
	v_dual_mov_b32 v8, v3 :: v_dual_mov_b32 v9, v3
	v_dual_mov_b32 v10, v3 :: v_dual_mov_b32 v11, v3
.LBB1_15:                               ; =>This Inner Loop Header: Depth=1
	v_ashrrev_i32_e32 v1, 31, v0
	v_mov_b32_e32 v14, v3
	s_delay_alu instid0(VALU_DEP_2) | instskip(NEXT) | instid1(VALU_DEP_1)
	v_lshlrev_b64_e32 v[5:6], 2, v[0:1]
	v_add_co_u32 v5, vcc_lo, s6, v5
	s_wait_alu 0xfffd
	s_delay_alu instid0(VALU_DEP_2) | instskip(SKIP_3) | instid1(VALU_DEP_2)
	v_add_co_ci_u32_e64 v6, null, s7, v6, vcc_lo
	global_load_b32 v1, v[5:6], off
	v_lshlrev_b64_e32 v[5:6], 2, v[2:3]
	v_add_nc_u32_e32 v2, 32, v2
	v_add_co_u32 v5, vcc_lo, s8, v5
	s_wait_alu 0xfffd
	s_delay_alu instid0(VALU_DEP_3) | instskip(SKIP_2) | instid1(VALU_DEP_1)
	v_add_co_ci_u32_e64 v6, null, s9, v6, vcc_lo
	s_wait_loadcnt 0x0
	v_subrev_nc_u32_e32 v13, s16, v1
	v_lshlrev_b64_e32 v[13:14], 2, v[13:14]
	s_delay_alu instid0(VALU_DEP_1) | instskip(SKIP_1) | instid1(VALU_DEP_2)
	v_add_co_u32 v17, vcc_lo, s10, v13
	s_wait_alu 0xfffd
	v_add_co_ci_u32_e64 v18, null, s11, v14, vcc_lo
	global_load_b128 v[13:16], v[5:6], off
	global_load_b32 v1, v[17:18], off
	s_wait_loadcnt 0x0
	v_dual_fmac_f32 v11, v14, v1 :: v_dual_add_nc_u32 v0, 8, v0
	s_delay_alu instid0(VALU_DEP_1)
	v_cmp_ge_i32_e32 vcc_lo, v0, v12
	v_fmac_f32_e32 v8, v13, v1
	v_fmac_f32_e32 v10, v15, v1
	;; [unrolled: 1-line block ×3, first 2 shown]
	s_wait_alu 0xfffe
	s_or_b32 s2, vcc_lo, s2
	s_wait_alu 0xfffe
	s_and_not1_b32 exec_lo, exec_lo, s2
	s_cbranch_execnz .LBB1_15
; %bb.16:
	s_or_b32 exec_lo, exec_lo, s2
.LBB1_17:
	s_wait_alu 0xfffe
	s_or_b32 exec_lo, exec_lo, s3
.LBB1_18:
	v_mbcnt_lo_u32_b32 v0, -1, 0
	s_mov_b32 s2, -1
	s_delay_alu instid0(VALU_DEP_1) | instskip(SKIP_1) | instid1(VALU_DEP_2)
	v_xor_b32_e32 v1, 4, v0
	v_xor_b32_e32 v6, 2, v0
	v_cmp_gt_i32_e32 vcc_lo, 32, v1
	s_wait_alu 0xfffd
	v_cndmask_b32_e32 v1, v0, v1, vcc_lo
	s_delay_alu instid0(VALU_DEP_3) | instskip(SKIP_2) | instid1(VALU_DEP_1)
	v_cmp_gt_i32_e32 vcc_lo, 32, v6
	s_wait_alu 0xfffd
	v_cndmask_b32_e32 v6, v0, v6, vcc_lo
	v_lshlrev_b32_e32 v6, 2, v6
	v_lshlrev_b32_e32 v1, 2, v1
	ds_bpermute_b32 v2, v1, v8
	s_wait_dscnt 0x0
	v_add_f32_e32 v2, v8, v2
	ds_bpermute_b32 v3, v1, v11
	ds_bpermute_b32 v5, v1, v10
	;; [unrolled: 1-line block ×3, first 2 shown]
	s_wait_dscnt 0x2
	v_add_f32_e32 v3, v11, v3
	v_xor_b32_e32 v11, 1, v0
	s_delay_alu instid0(VALU_DEP_1)
	v_cmp_gt_i32_e32 vcc_lo, 32, v11
	s_wait_dscnt 0x1
	s_wait_alu 0xfffd
	v_dual_add_f32 v5, v10, v5 :: v_dual_cndmask_b32 v0, v0, v11
	s_wait_dscnt 0x0
	v_add_f32_e32 v8, v9, v1
	ds_bpermute_b32 v1, v6, v2
	ds_bpermute_b32 v9, v6, v3
	;; [unrolled: 1-line block ×3, first 2 shown]
	v_lshlrev_b32_e32 v11, 2, v0
	ds_bpermute_b32 v6, v6, v8
	v_cmp_eq_u32_e32 vcc_lo, 7, v7
	s_wait_dscnt 0x3
	v_add_f32_e32 v0, v2, v1
	s_wait_dscnt 0x1
	v_dual_add_f32 v1, v3, v9 :: v_dual_add_f32 v2, v5, v10
	s_wait_dscnt 0x0
	v_add_f32_e32 v3, v8, v6
	ds_bpermute_b32 v5, v11, v0
	ds_bpermute_b32 v6, v11, v1
	;; [unrolled: 1-line block ×4, first 2 shown]
	s_and_b32 exec_lo, exec_lo, vcc_lo
	s_cbranch_execz .LBB1_23
; %bb.19:
	s_load_b64 s[0:1], s[0:1], 0x38
	s_wait_dscnt 0x2
	v_dual_add_f32 v0, v0, v5 :: v_dual_add_f32 v1, v1, v6
	s_wait_dscnt 0x0
	v_dual_add_f32 v2, v2, v8 :: v_dual_add_f32 v3, v3, v9
	v_lshlrev_b32_e32 v4, 2, v4
	s_delay_alu instid0(VALU_DEP_3) | instskip(NEXT) | instid1(VALU_DEP_3)
	v_dual_mul_f32 v0, s14, v0 :: v_dual_mul_f32 v1, s14, v1
	v_dual_mul_f32 v2, s14, v2 :: v_dual_mul_f32 v3, s14, v3
	s_cmp_eq_f32 s12, 0
	s_cbranch_scc0 .LBB1_21
; %bb.20:
	v_ashrrev_i32_e32 v5, 31, v4
	s_mov_b32 s2, 0
	s_delay_alu instid0(VALU_DEP_1) | instskip(SKIP_1) | instid1(VALU_DEP_1)
	v_lshlrev_b64_e32 v[5:6], 2, v[4:5]
	s_wait_kmcnt 0x0
	v_add_co_u32 v5, vcc_lo, s0, v5
	s_wait_alu 0xfffd
	s_delay_alu instid0(VALU_DEP_2)
	v_add_co_ci_u32_e64 v6, null, s1, v6, vcc_lo
	global_store_b128 v[5:6], v[0:3], off
.LBB1_21:
	s_wait_alu 0xfffe
	s_and_not1_b32 vcc_lo, exec_lo, s2
	s_wait_alu 0xfffe
	s_cbranch_vccnz .LBB1_23
; %bb.22:
	v_ashrrev_i32_e32 v5, 31, v4
	s_delay_alu instid0(VALU_DEP_1) | instskip(SKIP_1) | instid1(VALU_DEP_1)
	v_lshlrev_b64_e32 v[4:5], 2, v[4:5]
	s_wait_kmcnt 0x0
	v_add_co_u32 v8, vcc_lo, s0, v4
	s_wait_alu 0xfffd
	s_delay_alu instid0(VALU_DEP_2)
	v_add_co_ci_u32_e64 v9, null, s1, v5, vcc_lo
	global_load_b128 v[4:7], v[8:9], off
	s_wait_loadcnt 0x0
	v_dual_fmac_f32 v0, s12, v4 :: v_dual_fmac_f32 v1, s12, v5
	v_dual_fmac_f32 v2, s12, v6 :: v_dual_fmac_f32 v3, s12, v7
	global_store_b128 v[8:9], v[0:3], off
.LBB1_23:
	s_endpgm
	.section	.rodata,"a",@progbits
	.p2align	6, 0x0
	.amdhsa_kernel _ZN9rocsparseL19gebsrmvn_4xn_kernelILj128ELj1ELj8EfEEvi20rocsparse_direction_NS_24const_host_device_scalarIT2_EEPKiS6_PKS3_S8_S4_PS3_21rocsparse_index_base_b
		.amdhsa_group_segment_fixed_size 0
		.amdhsa_private_segment_fixed_size 0
		.amdhsa_kernarg_size 72
		.amdhsa_user_sgpr_count 2
		.amdhsa_user_sgpr_dispatch_ptr 0
		.amdhsa_user_sgpr_queue_ptr 0
		.amdhsa_user_sgpr_kernarg_segment_ptr 1
		.amdhsa_user_sgpr_dispatch_id 0
		.amdhsa_user_sgpr_private_segment_size 0
		.amdhsa_wavefront_size32 1
		.amdhsa_uses_dynamic_stack 0
		.amdhsa_enable_private_segment 0
		.amdhsa_system_sgpr_workgroup_id_x 1
		.amdhsa_system_sgpr_workgroup_id_y 0
		.amdhsa_system_sgpr_workgroup_id_z 0
		.amdhsa_system_sgpr_workgroup_info 0
		.amdhsa_system_vgpr_workitem_id 0
		.amdhsa_next_free_vgpr 20
		.amdhsa_next_free_sgpr 18
		.amdhsa_reserve_vcc 1
		.amdhsa_float_round_mode_32 0
		.amdhsa_float_round_mode_16_64 0
		.amdhsa_float_denorm_mode_32 3
		.amdhsa_float_denorm_mode_16_64 3
		.amdhsa_fp16_overflow 0
		.amdhsa_workgroup_processor_mode 1
		.amdhsa_memory_ordered 1
		.amdhsa_forward_progress 1
		.amdhsa_inst_pref_size 10
		.amdhsa_round_robin_scheduling 0
		.amdhsa_exception_fp_ieee_invalid_op 0
		.amdhsa_exception_fp_denorm_src 0
		.amdhsa_exception_fp_ieee_div_zero 0
		.amdhsa_exception_fp_ieee_overflow 0
		.amdhsa_exception_fp_ieee_underflow 0
		.amdhsa_exception_fp_ieee_inexact 0
		.amdhsa_exception_int_div_zero 0
	.end_amdhsa_kernel
	.section	.text._ZN9rocsparseL19gebsrmvn_4xn_kernelILj128ELj1ELj8EfEEvi20rocsparse_direction_NS_24const_host_device_scalarIT2_EEPKiS6_PKS3_S8_S4_PS3_21rocsparse_index_base_b,"axG",@progbits,_ZN9rocsparseL19gebsrmvn_4xn_kernelILj128ELj1ELj8EfEEvi20rocsparse_direction_NS_24const_host_device_scalarIT2_EEPKiS6_PKS3_S8_S4_PS3_21rocsparse_index_base_b,comdat
.Lfunc_end1:
	.size	_ZN9rocsparseL19gebsrmvn_4xn_kernelILj128ELj1ELj8EfEEvi20rocsparse_direction_NS_24const_host_device_scalarIT2_EEPKiS6_PKS3_S8_S4_PS3_21rocsparse_index_base_b, .Lfunc_end1-_ZN9rocsparseL19gebsrmvn_4xn_kernelILj128ELj1ELj8EfEEvi20rocsparse_direction_NS_24const_host_device_scalarIT2_EEPKiS6_PKS3_S8_S4_PS3_21rocsparse_index_base_b
                                        ; -- End function
	.set _ZN9rocsparseL19gebsrmvn_4xn_kernelILj128ELj1ELj8EfEEvi20rocsparse_direction_NS_24const_host_device_scalarIT2_EEPKiS6_PKS3_S8_S4_PS3_21rocsparse_index_base_b.num_vgpr, 20
	.set _ZN9rocsparseL19gebsrmvn_4xn_kernelILj128ELj1ELj8EfEEvi20rocsparse_direction_NS_24const_host_device_scalarIT2_EEPKiS6_PKS3_S8_S4_PS3_21rocsparse_index_base_b.num_agpr, 0
	.set _ZN9rocsparseL19gebsrmvn_4xn_kernelILj128ELj1ELj8EfEEvi20rocsparse_direction_NS_24const_host_device_scalarIT2_EEPKiS6_PKS3_S8_S4_PS3_21rocsparse_index_base_b.numbered_sgpr, 18
	.set _ZN9rocsparseL19gebsrmvn_4xn_kernelILj128ELj1ELj8EfEEvi20rocsparse_direction_NS_24const_host_device_scalarIT2_EEPKiS6_PKS3_S8_S4_PS3_21rocsparse_index_base_b.num_named_barrier, 0
	.set _ZN9rocsparseL19gebsrmvn_4xn_kernelILj128ELj1ELj8EfEEvi20rocsparse_direction_NS_24const_host_device_scalarIT2_EEPKiS6_PKS3_S8_S4_PS3_21rocsparse_index_base_b.private_seg_size, 0
	.set _ZN9rocsparseL19gebsrmvn_4xn_kernelILj128ELj1ELj8EfEEvi20rocsparse_direction_NS_24const_host_device_scalarIT2_EEPKiS6_PKS3_S8_S4_PS3_21rocsparse_index_base_b.uses_vcc, 1
	.set _ZN9rocsparseL19gebsrmvn_4xn_kernelILj128ELj1ELj8EfEEvi20rocsparse_direction_NS_24const_host_device_scalarIT2_EEPKiS6_PKS3_S8_S4_PS3_21rocsparse_index_base_b.uses_flat_scratch, 0
	.set _ZN9rocsparseL19gebsrmvn_4xn_kernelILj128ELj1ELj8EfEEvi20rocsparse_direction_NS_24const_host_device_scalarIT2_EEPKiS6_PKS3_S8_S4_PS3_21rocsparse_index_base_b.has_dyn_sized_stack, 0
	.set _ZN9rocsparseL19gebsrmvn_4xn_kernelILj128ELj1ELj8EfEEvi20rocsparse_direction_NS_24const_host_device_scalarIT2_EEPKiS6_PKS3_S8_S4_PS3_21rocsparse_index_base_b.has_recursion, 0
	.set _ZN9rocsparseL19gebsrmvn_4xn_kernelILj128ELj1ELj8EfEEvi20rocsparse_direction_NS_24const_host_device_scalarIT2_EEPKiS6_PKS3_S8_S4_PS3_21rocsparse_index_base_b.has_indirect_call, 0
	.section	.AMDGPU.csdata,"",@progbits
; Kernel info:
; codeLenInByte = 1268
; TotalNumSgprs: 20
; NumVgprs: 20
; ScratchSize: 0
; MemoryBound: 0
; FloatMode: 240
; IeeeMode: 1
; LDSByteSize: 0 bytes/workgroup (compile time only)
; SGPRBlocks: 0
; VGPRBlocks: 2
; NumSGPRsForWavesPerEU: 20
; NumVGPRsForWavesPerEU: 20
; Occupancy: 16
; WaveLimiterHint : 1
; COMPUTE_PGM_RSRC2:SCRATCH_EN: 0
; COMPUTE_PGM_RSRC2:USER_SGPR: 2
; COMPUTE_PGM_RSRC2:TRAP_HANDLER: 0
; COMPUTE_PGM_RSRC2:TGID_X_EN: 1
; COMPUTE_PGM_RSRC2:TGID_Y_EN: 0
; COMPUTE_PGM_RSRC2:TGID_Z_EN: 0
; COMPUTE_PGM_RSRC2:TIDIG_COMP_CNT: 0
	.section	.text._ZN9rocsparseL19gebsrmvn_4xn_kernelILj128ELj1ELj16EfEEvi20rocsparse_direction_NS_24const_host_device_scalarIT2_EEPKiS6_PKS3_S8_S4_PS3_21rocsparse_index_base_b,"axG",@progbits,_ZN9rocsparseL19gebsrmvn_4xn_kernelILj128ELj1ELj16EfEEvi20rocsparse_direction_NS_24const_host_device_scalarIT2_EEPKiS6_PKS3_S8_S4_PS3_21rocsparse_index_base_b,comdat
	.globl	_ZN9rocsparseL19gebsrmvn_4xn_kernelILj128ELj1ELj16EfEEvi20rocsparse_direction_NS_24const_host_device_scalarIT2_EEPKiS6_PKS3_S8_S4_PS3_21rocsparse_index_base_b ; -- Begin function _ZN9rocsparseL19gebsrmvn_4xn_kernelILj128ELj1ELj16EfEEvi20rocsparse_direction_NS_24const_host_device_scalarIT2_EEPKiS6_PKS3_S8_S4_PS3_21rocsparse_index_base_b
	.p2align	8
	.type	_ZN9rocsparseL19gebsrmvn_4xn_kernelILj128ELj1ELj16EfEEvi20rocsparse_direction_NS_24const_host_device_scalarIT2_EEPKiS6_PKS3_S8_S4_PS3_21rocsparse_index_base_b,@function
_ZN9rocsparseL19gebsrmvn_4xn_kernelILj128ELj1ELj16EfEEvi20rocsparse_direction_NS_24const_host_device_scalarIT2_EEPKiS6_PKS3_S8_S4_PS3_21rocsparse_index_base_b: ; @_ZN9rocsparseL19gebsrmvn_4xn_kernelILj128ELj1ELj16EfEEvi20rocsparse_direction_NS_24const_host_device_scalarIT2_EEPKiS6_PKS3_S8_S4_PS3_21rocsparse_index_base_b
; %bb.0:
	s_clause 0x2
	s_load_b64 s[16:17], s[0:1], 0x40
	s_load_b64 s[14:15], s[0:1], 0x8
	;; [unrolled: 1-line block ×3, first 2 shown]
	s_wait_kmcnt 0x0
	s_bitcmp1_b32 s17, 0
	s_cselect_b32 s2, -1, 0
	s_delay_alu instid0(SALU_CYCLE_1)
	s_and_b32 vcc_lo, exec_lo, s2
	s_xor_b32 s2, s2, -1
	s_cbranch_vccnz .LBB2_2
; %bb.1:
	s_load_b32 s14, s[14:15], 0x0
.LBB2_2:
	s_and_not1_b32 vcc_lo, exec_lo, s2
	s_cbranch_vccnz .LBB2_4
; %bb.3:
	s_load_b32 s12, s[12:13], 0x0
.LBB2_4:
	s_wait_kmcnt 0x0
	s_cmp_eq_f32 s14, 0
	s_cselect_b32 s2, -1, 0
	s_cmp_eq_f32 s12, 1.0
	s_cselect_b32 s3, -1, 0
	s_delay_alu instid0(SALU_CYCLE_1) | instskip(NEXT) | instid1(SALU_CYCLE_1)
	s_and_b32 s2, s2, s3
	s_and_b32 vcc_lo, exec_lo, s2
	s_cbranch_vccnz .LBB2_23
; %bb.5:
	s_load_b64 s[2:3], s[0:1], 0x0
	v_lshrrev_b32_e32 v1, 4, v0
	s_delay_alu instid0(VALU_DEP_1) | instskip(SKIP_1) | instid1(VALU_DEP_1)
	v_lshl_or_b32 v4, ttmp9, 3, v1
	s_wait_kmcnt 0x0
	v_cmp_gt_i32_e32 vcc_lo, s2, v4
	s_and_saveexec_b32 s2, vcc_lo
	s_cbranch_execz .LBB2_23
; %bb.6:
	s_load_b256 s[4:11], s[0:1], 0x10
	v_ashrrev_i32_e32 v5, 31, v4
	v_and_b32_e32 v7, 15, v0
	s_cmp_lg_u32 s3, 0
	s_delay_alu instid0(VALU_DEP_2) | instskip(SKIP_1) | instid1(VALU_DEP_1)
	v_lshlrev_b64_e32 v[1:2], 2, v[4:5]
	s_wait_kmcnt 0x0
	v_add_co_u32 v1, vcc_lo, s4, v1
	s_delay_alu instid0(VALU_DEP_1) | instskip(SKIP_4) | instid1(VALU_DEP_2)
	v_add_co_ci_u32_e64 v2, null, s5, v2, vcc_lo
	global_load_b64 v[1:2], v[1:2], off
	s_wait_loadcnt 0x0
	v_subrev_nc_u32_e32 v0, s16, v1
	v_subrev_nc_u32_e32 v12, s16, v2
	v_add_nc_u32_e32 v0, v0, v7
	s_delay_alu instid0(VALU_DEP_1)
	v_cmp_lt_i32_e64 s2, v0, v12
	s_cbranch_scc0 .LBB2_12
; %bb.7:
	v_dual_mov_b32 v8, 0 :: v_dual_mov_b32 v9, 0
	v_dual_mov_b32 v10, 0 :: v_dual_mov_b32 v11, 0
	s_and_saveexec_b32 s3, s2
	s_cbranch_execz .LBB2_11
; %bb.8:
	v_dual_mov_b32 v2, 0 :: v_dual_lshlrev_b32 v1, 2, v0
	v_mov_b32_e32 v5, v0
	s_mov_b32 s4, 0
	s_delay_alu instid0(VALU_DEP_2)
	v_dual_mov_b32 v8, v2 :: v_dual_mov_b32 v9, v2
	v_dual_mov_b32 v10, v2 :: v_dual_mov_b32 v11, v2
.LBB2_9:                                ; =>This Inner Loop Header: Depth=1
	s_delay_alu instid0(VALU_DEP_3) | instskip(SKIP_1) | instid1(VALU_DEP_2)
	v_ashrrev_i32_e32 v6, 31, v5
	v_mov_b32_e32 v15, v2
	v_lshlrev_b64_e32 v[13:14], 2, v[5:6]
	s_delay_alu instid0(VALU_DEP_1) | instskip(SKIP_1) | instid1(VALU_DEP_2)
	v_add_co_u32 v13, vcc_lo, s6, v13
	s_wait_alu 0xfffd
	v_add_co_ci_u32_e64 v14, null, s7, v14, vcc_lo
	global_load_b32 v3, v[13:14], off
	v_lshlrev_b64_e32 v[13:14], 2, v[1:2]
	v_add_nc_u32_e32 v1, 64, v1
	s_delay_alu instid0(VALU_DEP_2) | instskip(SKIP_1) | instid1(VALU_DEP_3)
	v_add_co_u32 v16, vcc_lo, s8, v13
	s_wait_alu 0xfffd
	v_add_co_ci_u32_e64 v17, null, s9, v14, vcc_lo
	s_wait_loadcnt 0x0
	v_subrev_nc_u32_e32 v14, s16, v3
	s_delay_alu instid0(VALU_DEP_1) | instskip(NEXT) | instid1(VALU_DEP_1)
	v_lshlrev_b64_e32 v[13:14], 2, v[14:15]
	v_add_co_u32 v18, vcc_lo, s10, v13
	s_wait_alu 0xfffd
	s_delay_alu instid0(VALU_DEP_2) | instskip(SKIP_4) | instid1(VALU_DEP_1)
	v_add_co_ci_u32_e64 v19, null, s11, v14, vcc_lo
	global_load_b128 v[13:16], v[16:17], off
	global_load_b32 v3, v[18:19], off
	s_wait_loadcnt 0x0
	v_dual_fmac_f32 v10, v15, v3 :: v_dual_add_nc_u32 v5, 16, v5
	v_cmp_ge_i32_e32 vcc_lo, v5, v12
	v_fmac_f32_e32 v8, v13, v3
	v_fmac_f32_e32 v11, v14, v3
	;; [unrolled: 1-line block ×3, first 2 shown]
	s_wait_alu 0xfffe
	s_or_b32 s4, vcc_lo, s4
	s_wait_alu 0xfffe
	s_and_not1_b32 exec_lo, exec_lo, s4
	s_cbranch_execnz .LBB2_9
; %bb.10:
	s_or_b32 exec_lo, exec_lo, s4
.LBB2_11:
	s_wait_alu 0xfffe
	s_or_b32 exec_lo, exec_lo, s3
	s_cbranch_execz .LBB2_13
	s_branch .LBB2_18
.LBB2_12:
                                        ; implicit-def: $vgpr8
                                        ; implicit-def: $vgpr9
                                        ; implicit-def: $vgpr10
                                        ; implicit-def: $vgpr11
.LBB2_13:
	v_dual_mov_b32 v8, 0 :: v_dual_mov_b32 v9, 0
	v_dual_mov_b32 v10, 0 :: v_dual_mov_b32 v11, 0
	s_and_saveexec_b32 s3, s2
	s_cbranch_execz .LBB2_17
; %bb.14:
	v_dual_mov_b32 v3, 0 :: v_dual_lshlrev_b32 v2, 2, v0
	s_mov_b32 s2, 0
	s_delay_alu instid0(VALU_DEP_1)
	v_dual_mov_b32 v8, v3 :: v_dual_mov_b32 v9, v3
	v_dual_mov_b32 v10, v3 :: v_dual_mov_b32 v11, v3
.LBB2_15:                               ; =>This Inner Loop Header: Depth=1
	v_ashrrev_i32_e32 v1, 31, v0
	v_mov_b32_e32 v14, v3
	s_delay_alu instid0(VALU_DEP_2) | instskip(NEXT) | instid1(VALU_DEP_1)
	v_lshlrev_b64_e32 v[5:6], 2, v[0:1]
	v_add_co_u32 v5, vcc_lo, s6, v5
	s_wait_alu 0xfffd
	s_delay_alu instid0(VALU_DEP_2) | instskip(SKIP_3) | instid1(VALU_DEP_2)
	v_add_co_ci_u32_e64 v6, null, s7, v6, vcc_lo
	global_load_b32 v1, v[5:6], off
	v_lshlrev_b64_e32 v[5:6], 2, v[2:3]
	v_add_nc_u32_e32 v2, 64, v2
	v_add_co_u32 v5, vcc_lo, s8, v5
	s_wait_alu 0xfffd
	s_delay_alu instid0(VALU_DEP_3) | instskip(SKIP_2) | instid1(VALU_DEP_1)
	v_add_co_ci_u32_e64 v6, null, s9, v6, vcc_lo
	s_wait_loadcnt 0x0
	v_subrev_nc_u32_e32 v13, s16, v1
	v_lshlrev_b64_e32 v[13:14], 2, v[13:14]
	s_delay_alu instid0(VALU_DEP_1) | instskip(SKIP_1) | instid1(VALU_DEP_2)
	v_add_co_u32 v17, vcc_lo, s10, v13
	s_wait_alu 0xfffd
	v_add_co_ci_u32_e64 v18, null, s11, v14, vcc_lo
	global_load_b128 v[13:16], v[5:6], off
	global_load_b32 v1, v[17:18], off
	s_wait_loadcnt 0x0
	v_dual_fmac_f32 v11, v14, v1 :: v_dual_add_nc_u32 v0, 16, v0
	s_delay_alu instid0(VALU_DEP_1)
	v_cmp_ge_i32_e32 vcc_lo, v0, v12
	v_fmac_f32_e32 v8, v13, v1
	v_fmac_f32_e32 v10, v15, v1
	;; [unrolled: 1-line block ×3, first 2 shown]
	s_wait_alu 0xfffe
	s_or_b32 s2, vcc_lo, s2
	s_wait_alu 0xfffe
	s_and_not1_b32 exec_lo, exec_lo, s2
	s_cbranch_execnz .LBB2_15
; %bb.16:
	s_or_b32 exec_lo, exec_lo, s2
.LBB2_17:
	s_wait_alu 0xfffe
	s_or_b32 exec_lo, exec_lo, s3
.LBB2_18:
	v_mbcnt_lo_u32_b32 v0, -1, 0
	s_mov_b32 s2, -1
	s_delay_alu instid0(VALU_DEP_1) | instskip(SKIP_1) | instid1(VALU_DEP_2)
	v_xor_b32_e32 v1, 8, v0
	v_xor_b32_e32 v6, 4, v0
	v_cmp_gt_i32_e32 vcc_lo, 32, v1
	s_wait_alu 0xfffd
	v_cndmask_b32_e32 v1, v0, v1, vcc_lo
	s_delay_alu instid0(VALU_DEP_3) | instskip(SKIP_2) | instid1(VALU_DEP_1)
	v_cmp_gt_i32_e32 vcc_lo, 32, v6
	s_wait_alu 0xfffd
	v_cndmask_b32_e32 v6, v0, v6, vcc_lo
	v_lshlrev_b32_e32 v6, 2, v6
	v_lshlrev_b32_e32 v1, 2, v1
	ds_bpermute_b32 v2, v1, v8
	s_wait_dscnt 0x0
	v_add_f32_e32 v2, v8, v2
	ds_bpermute_b32 v3, v1, v11
	ds_bpermute_b32 v5, v1, v10
	;; [unrolled: 1-line block ×4, first 2 shown]
	s_wait_dscnt 0x3
	v_add_f32_e32 v3, v11, v3
	v_xor_b32_e32 v11, 2, v0
	s_wait_dscnt 0x0
	v_dual_add_f32 v1, v9, v1 :: v_dual_add_f32 v2, v2, v8
	v_add_f32_e32 v5, v10, v5
	ds_bpermute_b32 v9, v6, v3
	v_cmp_gt_i32_e32 vcc_lo, 32, v11
	ds_bpermute_b32 v10, v6, v5
	ds_bpermute_b32 v6, v6, v1
	s_wait_alu 0xfffd
	v_cndmask_b32_e32 v11, v0, v11, vcc_lo
	s_wait_dscnt 0x0
	v_dual_add_f32 v3, v3, v9 :: v_dual_add_f32 v6, v1, v6
	v_add_f32_e32 v5, v5, v10
	s_delay_alu instid0(VALU_DEP_3)
	v_lshlrev_b32_e32 v11, 2, v11
	ds_bpermute_b32 v1, v11, v2
	ds_bpermute_b32 v8, v11, v3
	;; [unrolled: 1-line block ×4, first 2 shown]
	v_xor_b32_e32 v11, 1, v0
	s_delay_alu instid0(VALU_DEP_1) | instskip(SKIP_4) | instid1(VALU_DEP_2)
	v_cmp_gt_i32_e32 vcc_lo, 32, v11
	s_wait_alu 0xfffd
	v_cndmask_b32_e32 v0, v0, v11, vcc_lo
	v_cmp_eq_u32_e32 vcc_lo, 15, v7
	s_wait_dscnt 0x3
	v_dual_add_f32 v0, v2, v1 :: v_dual_lshlrev_b32 v11, 2, v0
	s_wait_dscnt 0x1
	v_dual_add_f32 v1, v3, v8 :: v_dual_add_f32 v2, v5, v9
	s_wait_dscnt 0x0
	v_add_f32_e32 v3, v6, v10
	ds_bpermute_b32 v5, v11, v0
	ds_bpermute_b32 v6, v11, v1
	;; [unrolled: 1-line block ×4, first 2 shown]
	s_and_b32 exec_lo, exec_lo, vcc_lo
	s_cbranch_execz .LBB2_23
; %bb.19:
	s_load_b64 s[0:1], s[0:1], 0x38
	s_wait_dscnt 0x2
	v_dual_add_f32 v0, v0, v5 :: v_dual_add_f32 v1, v1, v6
	s_wait_dscnt 0x0
	v_dual_add_f32 v2, v2, v8 :: v_dual_add_f32 v3, v3, v9
	v_lshlrev_b32_e32 v4, 2, v4
	s_delay_alu instid0(VALU_DEP_3) | instskip(NEXT) | instid1(VALU_DEP_3)
	v_dual_mul_f32 v0, s14, v0 :: v_dual_mul_f32 v1, s14, v1
	v_dual_mul_f32 v2, s14, v2 :: v_dual_mul_f32 v3, s14, v3
	s_cmp_eq_f32 s12, 0
	s_cbranch_scc0 .LBB2_21
; %bb.20:
	v_ashrrev_i32_e32 v5, 31, v4
	s_mov_b32 s2, 0
	s_delay_alu instid0(VALU_DEP_1) | instskip(SKIP_1) | instid1(VALU_DEP_1)
	v_lshlrev_b64_e32 v[5:6], 2, v[4:5]
	s_wait_kmcnt 0x0
	v_add_co_u32 v5, vcc_lo, s0, v5
	s_wait_alu 0xfffd
	s_delay_alu instid0(VALU_DEP_2)
	v_add_co_ci_u32_e64 v6, null, s1, v6, vcc_lo
	global_store_b128 v[5:6], v[0:3], off
.LBB2_21:
	s_wait_alu 0xfffe
	s_and_not1_b32 vcc_lo, exec_lo, s2
	s_wait_alu 0xfffe
	s_cbranch_vccnz .LBB2_23
; %bb.22:
	v_ashrrev_i32_e32 v5, 31, v4
	s_delay_alu instid0(VALU_DEP_1) | instskip(SKIP_1) | instid1(VALU_DEP_1)
	v_lshlrev_b64_e32 v[4:5], 2, v[4:5]
	s_wait_kmcnt 0x0
	v_add_co_u32 v8, vcc_lo, s0, v4
	s_wait_alu 0xfffd
	s_delay_alu instid0(VALU_DEP_2)
	v_add_co_ci_u32_e64 v9, null, s1, v5, vcc_lo
	global_load_b128 v[4:7], v[8:9], off
	s_wait_loadcnt 0x0
	v_dual_fmac_f32 v0, s12, v4 :: v_dual_fmac_f32 v1, s12, v5
	v_dual_fmac_f32 v2, s12, v6 :: v_dual_fmac_f32 v3, s12, v7
	global_store_b128 v[8:9], v[0:3], off
.LBB2_23:
	s_endpgm
	.section	.rodata,"a",@progbits
	.p2align	6, 0x0
	.amdhsa_kernel _ZN9rocsparseL19gebsrmvn_4xn_kernelILj128ELj1ELj16EfEEvi20rocsparse_direction_NS_24const_host_device_scalarIT2_EEPKiS6_PKS3_S8_S4_PS3_21rocsparse_index_base_b
		.amdhsa_group_segment_fixed_size 0
		.amdhsa_private_segment_fixed_size 0
		.amdhsa_kernarg_size 72
		.amdhsa_user_sgpr_count 2
		.amdhsa_user_sgpr_dispatch_ptr 0
		.amdhsa_user_sgpr_queue_ptr 0
		.amdhsa_user_sgpr_kernarg_segment_ptr 1
		.amdhsa_user_sgpr_dispatch_id 0
		.amdhsa_user_sgpr_private_segment_size 0
		.amdhsa_wavefront_size32 1
		.amdhsa_uses_dynamic_stack 0
		.amdhsa_enable_private_segment 0
		.amdhsa_system_sgpr_workgroup_id_x 1
		.amdhsa_system_sgpr_workgroup_id_y 0
		.amdhsa_system_sgpr_workgroup_id_z 0
		.amdhsa_system_sgpr_workgroup_info 0
		.amdhsa_system_vgpr_workitem_id 0
		.amdhsa_next_free_vgpr 20
		.amdhsa_next_free_sgpr 18
		.amdhsa_reserve_vcc 1
		.amdhsa_float_round_mode_32 0
		.amdhsa_float_round_mode_16_64 0
		.amdhsa_float_denorm_mode_32 3
		.amdhsa_float_denorm_mode_16_64 3
		.amdhsa_fp16_overflow 0
		.amdhsa_workgroup_processor_mode 1
		.amdhsa_memory_ordered 1
		.amdhsa_forward_progress 1
		.amdhsa_inst_pref_size 11
		.amdhsa_round_robin_scheduling 0
		.amdhsa_exception_fp_ieee_invalid_op 0
		.amdhsa_exception_fp_denorm_src 0
		.amdhsa_exception_fp_ieee_div_zero 0
		.amdhsa_exception_fp_ieee_overflow 0
		.amdhsa_exception_fp_ieee_underflow 0
		.amdhsa_exception_fp_ieee_inexact 0
		.amdhsa_exception_int_div_zero 0
	.end_amdhsa_kernel
	.section	.text._ZN9rocsparseL19gebsrmvn_4xn_kernelILj128ELj1ELj16EfEEvi20rocsparse_direction_NS_24const_host_device_scalarIT2_EEPKiS6_PKS3_S8_S4_PS3_21rocsparse_index_base_b,"axG",@progbits,_ZN9rocsparseL19gebsrmvn_4xn_kernelILj128ELj1ELj16EfEEvi20rocsparse_direction_NS_24const_host_device_scalarIT2_EEPKiS6_PKS3_S8_S4_PS3_21rocsparse_index_base_b,comdat
.Lfunc_end2:
	.size	_ZN9rocsparseL19gebsrmvn_4xn_kernelILj128ELj1ELj16EfEEvi20rocsparse_direction_NS_24const_host_device_scalarIT2_EEPKiS6_PKS3_S8_S4_PS3_21rocsparse_index_base_b, .Lfunc_end2-_ZN9rocsparseL19gebsrmvn_4xn_kernelILj128ELj1ELj16EfEEvi20rocsparse_direction_NS_24const_host_device_scalarIT2_EEPKiS6_PKS3_S8_S4_PS3_21rocsparse_index_base_b
                                        ; -- End function
	.set _ZN9rocsparseL19gebsrmvn_4xn_kernelILj128ELj1ELj16EfEEvi20rocsparse_direction_NS_24const_host_device_scalarIT2_EEPKiS6_PKS3_S8_S4_PS3_21rocsparse_index_base_b.num_vgpr, 20
	.set _ZN9rocsparseL19gebsrmvn_4xn_kernelILj128ELj1ELj16EfEEvi20rocsparse_direction_NS_24const_host_device_scalarIT2_EEPKiS6_PKS3_S8_S4_PS3_21rocsparse_index_base_b.num_agpr, 0
	.set _ZN9rocsparseL19gebsrmvn_4xn_kernelILj128ELj1ELj16EfEEvi20rocsparse_direction_NS_24const_host_device_scalarIT2_EEPKiS6_PKS3_S8_S4_PS3_21rocsparse_index_base_b.numbered_sgpr, 18
	.set _ZN9rocsparseL19gebsrmvn_4xn_kernelILj128ELj1ELj16EfEEvi20rocsparse_direction_NS_24const_host_device_scalarIT2_EEPKiS6_PKS3_S8_S4_PS3_21rocsparse_index_base_b.num_named_barrier, 0
	.set _ZN9rocsparseL19gebsrmvn_4xn_kernelILj128ELj1ELj16EfEEvi20rocsparse_direction_NS_24const_host_device_scalarIT2_EEPKiS6_PKS3_S8_S4_PS3_21rocsparse_index_base_b.private_seg_size, 0
	.set _ZN9rocsparseL19gebsrmvn_4xn_kernelILj128ELj1ELj16EfEEvi20rocsparse_direction_NS_24const_host_device_scalarIT2_EEPKiS6_PKS3_S8_S4_PS3_21rocsparse_index_base_b.uses_vcc, 1
	.set _ZN9rocsparseL19gebsrmvn_4xn_kernelILj128ELj1ELj16EfEEvi20rocsparse_direction_NS_24const_host_device_scalarIT2_EEPKiS6_PKS3_S8_S4_PS3_21rocsparse_index_base_b.uses_flat_scratch, 0
	.set _ZN9rocsparseL19gebsrmvn_4xn_kernelILj128ELj1ELj16EfEEvi20rocsparse_direction_NS_24const_host_device_scalarIT2_EEPKiS6_PKS3_S8_S4_PS3_21rocsparse_index_base_b.has_dyn_sized_stack, 0
	.set _ZN9rocsparseL19gebsrmvn_4xn_kernelILj128ELj1ELj16EfEEvi20rocsparse_direction_NS_24const_host_device_scalarIT2_EEPKiS6_PKS3_S8_S4_PS3_21rocsparse_index_base_b.has_recursion, 0
	.set _ZN9rocsparseL19gebsrmvn_4xn_kernelILj128ELj1ELj16EfEEvi20rocsparse_direction_NS_24const_host_device_scalarIT2_EEPKiS6_PKS3_S8_S4_PS3_21rocsparse_index_base_b.has_indirect_call, 0
	.section	.AMDGPU.csdata,"",@progbits
; Kernel info:
; codeLenInByte = 1340
; TotalNumSgprs: 20
; NumVgprs: 20
; ScratchSize: 0
; MemoryBound: 0
; FloatMode: 240
; IeeeMode: 1
; LDSByteSize: 0 bytes/workgroup (compile time only)
; SGPRBlocks: 0
; VGPRBlocks: 2
; NumSGPRsForWavesPerEU: 20
; NumVGPRsForWavesPerEU: 20
; Occupancy: 16
; WaveLimiterHint : 1
; COMPUTE_PGM_RSRC2:SCRATCH_EN: 0
; COMPUTE_PGM_RSRC2:USER_SGPR: 2
; COMPUTE_PGM_RSRC2:TRAP_HANDLER: 0
; COMPUTE_PGM_RSRC2:TGID_X_EN: 1
; COMPUTE_PGM_RSRC2:TGID_Y_EN: 0
; COMPUTE_PGM_RSRC2:TGID_Z_EN: 0
; COMPUTE_PGM_RSRC2:TIDIG_COMP_CNT: 0
	.section	.text._ZN9rocsparseL19gebsrmvn_4xn_kernelILj128ELj1ELj32EfEEvi20rocsparse_direction_NS_24const_host_device_scalarIT2_EEPKiS6_PKS3_S8_S4_PS3_21rocsparse_index_base_b,"axG",@progbits,_ZN9rocsparseL19gebsrmvn_4xn_kernelILj128ELj1ELj32EfEEvi20rocsparse_direction_NS_24const_host_device_scalarIT2_EEPKiS6_PKS3_S8_S4_PS3_21rocsparse_index_base_b,comdat
	.globl	_ZN9rocsparseL19gebsrmvn_4xn_kernelILj128ELj1ELj32EfEEvi20rocsparse_direction_NS_24const_host_device_scalarIT2_EEPKiS6_PKS3_S8_S4_PS3_21rocsparse_index_base_b ; -- Begin function _ZN9rocsparseL19gebsrmvn_4xn_kernelILj128ELj1ELj32EfEEvi20rocsparse_direction_NS_24const_host_device_scalarIT2_EEPKiS6_PKS3_S8_S4_PS3_21rocsparse_index_base_b
	.p2align	8
	.type	_ZN9rocsparseL19gebsrmvn_4xn_kernelILj128ELj1ELj32EfEEvi20rocsparse_direction_NS_24const_host_device_scalarIT2_EEPKiS6_PKS3_S8_S4_PS3_21rocsparse_index_base_b,@function
_ZN9rocsparseL19gebsrmvn_4xn_kernelILj128ELj1ELj32EfEEvi20rocsparse_direction_NS_24const_host_device_scalarIT2_EEPKiS6_PKS3_S8_S4_PS3_21rocsparse_index_base_b: ; @_ZN9rocsparseL19gebsrmvn_4xn_kernelILj128ELj1ELj32EfEEvi20rocsparse_direction_NS_24const_host_device_scalarIT2_EEPKiS6_PKS3_S8_S4_PS3_21rocsparse_index_base_b
; %bb.0:
	s_clause 0x2
	s_load_b64 s[16:17], s[0:1], 0x40
	s_load_b64 s[14:15], s[0:1], 0x8
	;; [unrolled: 1-line block ×3, first 2 shown]
	s_wait_kmcnt 0x0
	s_bitcmp1_b32 s17, 0
	s_cselect_b32 s2, -1, 0
	s_delay_alu instid0(SALU_CYCLE_1)
	s_and_b32 vcc_lo, exec_lo, s2
	s_xor_b32 s2, s2, -1
	s_cbranch_vccnz .LBB3_2
; %bb.1:
	s_load_b32 s14, s[14:15], 0x0
.LBB3_2:
	s_and_not1_b32 vcc_lo, exec_lo, s2
	s_cbranch_vccnz .LBB3_4
; %bb.3:
	s_load_b32 s12, s[12:13], 0x0
.LBB3_4:
	s_wait_kmcnt 0x0
	s_cmp_eq_f32 s14, 0
	s_cselect_b32 s2, -1, 0
	s_cmp_eq_f32 s12, 1.0
	s_cselect_b32 s3, -1, 0
	s_delay_alu instid0(SALU_CYCLE_1) | instskip(NEXT) | instid1(SALU_CYCLE_1)
	s_and_b32 s2, s2, s3
	s_and_b32 vcc_lo, exec_lo, s2
	s_cbranch_vccnz .LBB3_23
; %bb.5:
	s_load_b64 s[2:3], s[0:1], 0x0
	v_lshrrev_b32_e32 v1, 5, v0
	s_delay_alu instid0(VALU_DEP_1) | instskip(SKIP_1) | instid1(VALU_DEP_1)
	v_lshl_or_b32 v4, ttmp9, 2, v1
	s_wait_kmcnt 0x0
	v_cmp_gt_i32_e32 vcc_lo, s2, v4
	s_and_saveexec_b32 s2, vcc_lo
	s_cbranch_execz .LBB3_23
; %bb.6:
	s_load_b256 s[4:11], s[0:1], 0x10
	v_ashrrev_i32_e32 v5, 31, v4
	v_and_b32_e32 v7, 31, v0
	s_cmp_lg_u32 s3, 0
	s_delay_alu instid0(VALU_DEP_2) | instskip(SKIP_1) | instid1(VALU_DEP_1)
	v_lshlrev_b64_e32 v[1:2], 2, v[4:5]
	s_wait_kmcnt 0x0
	v_add_co_u32 v1, vcc_lo, s4, v1
	s_delay_alu instid0(VALU_DEP_1) | instskip(SKIP_4) | instid1(VALU_DEP_2)
	v_add_co_ci_u32_e64 v2, null, s5, v2, vcc_lo
	global_load_b64 v[1:2], v[1:2], off
	s_wait_loadcnt 0x0
	v_subrev_nc_u32_e32 v0, s16, v1
	v_subrev_nc_u32_e32 v12, s16, v2
	v_add_nc_u32_e32 v0, v0, v7
	s_delay_alu instid0(VALU_DEP_1)
	v_cmp_lt_i32_e64 s2, v0, v12
	s_cbranch_scc0 .LBB3_12
; %bb.7:
	v_dual_mov_b32 v8, 0 :: v_dual_mov_b32 v9, 0
	v_dual_mov_b32 v10, 0 :: v_dual_mov_b32 v11, 0
	s_and_saveexec_b32 s3, s2
	s_cbranch_execz .LBB3_11
; %bb.8:
	v_dual_mov_b32 v2, 0 :: v_dual_lshlrev_b32 v1, 2, v0
	v_mov_b32_e32 v5, v0
	s_mov_b32 s4, 0
	s_delay_alu instid0(VALU_DEP_2)
	v_dual_mov_b32 v8, v2 :: v_dual_mov_b32 v9, v2
	v_dual_mov_b32 v10, v2 :: v_dual_mov_b32 v11, v2
.LBB3_9:                                ; =>This Inner Loop Header: Depth=1
	s_delay_alu instid0(VALU_DEP_3) | instskip(SKIP_1) | instid1(VALU_DEP_2)
	v_ashrrev_i32_e32 v6, 31, v5
	v_mov_b32_e32 v15, v2
	v_lshlrev_b64_e32 v[13:14], 2, v[5:6]
	s_delay_alu instid0(VALU_DEP_1) | instskip(SKIP_1) | instid1(VALU_DEP_2)
	v_add_co_u32 v13, vcc_lo, s6, v13
	s_wait_alu 0xfffd
	v_add_co_ci_u32_e64 v14, null, s7, v14, vcc_lo
	global_load_b32 v3, v[13:14], off
	v_lshlrev_b64_e32 v[13:14], 2, v[1:2]
	v_add_nc_u32_e32 v1, 0x80, v1
	s_delay_alu instid0(VALU_DEP_2) | instskip(SKIP_1) | instid1(VALU_DEP_3)
	v_add_co_u32 v16, vcc_lo, s8, v13
	s_wait_alu 0xfffd
	v_add_co_ci_u32_e64 v17, null, s9, v14, vcc_lo
	s_wait_loadcnt 0x0
	v_subrev_nc_u32_e32 v14, s16, v3
	s_delay_alu instid0(VALU_DEP_1) | instskip(NEXT) | instid1(VALU_DEP_1)
	v_lshlrev_b64_e32 v[13:14], 2, v[14:15]
	v_add_co_u32 v18, vcc_lo, s10, v13
	s_wait_alu 0xfffd
	s_delay_alu instid0(VALU_DEP_2) | instskip(SKIP_4) | instid1(VALU_DEP_1)
	v_add_co_ci_u32_e64 v19, null, s11, v14, vcc_lo
	global_load_b128 v[13:16], v[16:17], off
	global_load_b32 v3, v[18:19], off
	s_wait_loadcnt 0x0
	v_dual_fmac_f32 v10, v15, v3 :: v_dual_add_nc_u32 v5, 32, v5
	v_cmp_ge_i32_e32 vcc_lo, v5, v12
	v_fmac_f32_e32 v8, v13, v3
	v_fmac_f32_e32 v11, v14, v3
	;; [unrolled: 1-line block ×3, first 2 shown]
	s_wait_alu 0xfffe
	s_or_b32 s4, vcc_lo, s4
	s_wait_alu 0xfffe
	s_and_not1_b32 exec_lo, exec_lo, s4
	s_cbranch_execnz .LBB3_9
; %bb.10:
	s_or_b32 exec_lo, exec_lo, s4
.LBB3_11:
	s_wait_alu 0xfffe
	s_or_b32 exec_lo, exec_lo, s3
	s_cbranch_execz .LBB3_13
	s_branch .LBB3_18
.LBB3_12:
                                        ; implicit-def: $vgpr8
                                        ; implicit-def: $vgpr9
                                        ; implicit-def: $vgpr10
                                        ; implicit-def: $vgpr11
.LBB3_13:
	v_dual_mov_b32 v8, 0 :: v_dual_mov_b32 v9, 0
	v_dual_mov_b32 v10, 0 :: v_dual_mov_b32 v11, 0
	s_and_saveexec_b32 s3, s2
	s_cbranch_execz .LBB3_17
; %bb.14:
	v_dual_mov_b32 v3, 0 :: v_dual_lshlrev_b32 v2, 2, v0
	s_mov_b32 s2, 0
	s_delay_alu instid0(VALU_DEP_1)
	v_dual_mov_b32 v8, v3 :: v_dual_mov_b32 v9, v3
	v_dual_mov_b32 v10, v3 :: v_dual_mov_b32 v11, v3
.LBB3_15:                               ; =>This Inner Loop Header: Depth=1
	v_ashrrev_i32_e32 v1, 31, v0
	v_mov_b32_e32 v14, v3
	s_delay_alu instid0(VALU_DEP_2) | instskip(NEXT) | instid1(VALU_DEP_1)
	v_lshlrev_b64_e32 v[5:6], 2, v[0:1]
	v_add_co_u32 v5, vcc_lo, s6, v5
	s_wait_alu 0xfffd
	s_delay_alu instid0(VALU_DEP_2) | instskip(SKIP_3) | instid1(VALU_DEP_2)
	v_add_co_ci_u32_e64 v6, null, s7, v6, vcc_lo
	global_load_b32 v1, v[5:6], off
	v_lshlrev_b64_e32 v[5:6], 2, v[2:3]
	v_add_nc_u32_e32 v2, 0x80, v2
	v_add_co_u32 v5, vcc_lo, s8, v5
	s_wait_alu 0xfffd
	s_delay_alu instid0(VALU_DEP_3) | instskip(SKIP_2) | instid1(VALU_DEP_1)
	v_add_co_ci_u32_e64 v6, null, s9, v6, vcc_lo
	s_wait_loadcnt 0x0
	v_subrev_nc_u32_e32 v13, s16, v1
	v_lshlrev_b64_e32 v[13:14], 2, v[13:14]
	s_delay_alu instid0(VALU_DEP_1) | instskip(SKIP_1) | instid1(VALU_DEP_2)
	v_add_co_u32 v17, vcc_lo, s10, v13
	s_wait_alu 0xfffd
	v_add_co_ci_u32_e64 v18, null, s11, v14, vcc_lo
	global_load_b128 v[13:16], v[5:6], off
	global_load_b32 v1, v[17:18], off
	s_wait_loadcnt 0x0
	v_dual_fmac_f32 v11, v14, v1 :: v_dual_add_nc_u32 v0, 32, v0
	s_delay_alu instid0(VALU_DEP_1)
	v_cmp_ge_i32_e32 vcc_lo, v0, v12
	v_fmac_f32_e32 v8, v13, v1
	v_fmac_f32_e32 v10, v15, v1
	;; [unrolled: 1-line block ×3, first 2 shown]
	s_wait_alu 0xfffe
	s_or_b32 s2, vcc_lo, s2
	s_wait_alu 0xfffe
	s_and_not1_b32 exec_lo, exec_lo, s2
	s_cbranch_execnz .LBB3_15
; %bb.16:
	s_or_b32 exec_lo, exec_lo, s2
.LBB3_17:
	s_wait_alu 0xfffe
	s_or_b32 exec_lo, exec_lo, s3
.LBB3_18:
	v_mbcnt_lo_u32_b32 v0, -1, 0
	s_mov_b32 s2, -1
	s_delay_alu instid0(VALU_DEP_1) | instskip(SKIP_1) | instid1(VALU_DEP_2)
	v_xor_b32_e32 v1, 16, v0
	v_xor_b32_e32 v6, 8, v0
	v_cmp_gt_i32_e32 vcc_lo, 32, v1
	s_wait_alu 0xfffd
	v_cndmask_b32_e32 v1, v0, v1, vcc_lo
	s_delay_alu instid0(VALU_DEP_3) | instskip(SKIP_2) | instid1(VALU_DEP_1)
	v_cmp_gt_i32_e32 vcc_lo, 32, v6
	s_wait_alu 0xfffd
	v_cndmask_b32_e32 v6, v0, v6, vcc_lo
	v_lshlrev_b32_e32 v6, 2, v6
	v_lshlrev_b32_e32 v1, 2, v1
	ds_bpermute_b32 v2, v1, v8
	s_wait_dscnt 0x0
	v_add_f32_e32 v2, v8, v2
	ds_bpermute_b32 v5, v1, v10
	ds_bpermute_b32 v3, v1, v11
	;; [unrolled: 1-line block ×4, first 2 shown]
	s_wait_dscnt 0x3
	v_add_f32_e32 v5, v10, v5
	s_wait_dscnt 0x2
	v_add_f32_e32 v3, v11, v3
	;; [unrolled: 2-line block ×3, first 2 shown]
	v_xor_b32_e32 v11, 4, v0
	s_wait_dscnt 0x0
	v_add_f32_e32 v2, v2, v8
	ds_bpermute_b32 v10, v6, v5
	ds_bpermute_b32 v9, v6, v3
	;; [unrolled: 1-line block ×3, first 2 shown]
	v_cmp_gt_i32_e32 vcc_lo, 32, v11
	s_wait_alu 0xfffd
	v_cndmask_b32_e32 v11, v0, v11, vcc_lo
	s_delay_alu instid0(VALU_DEP_1)
	v_lshlrev_b32_e32 v11, 2, v11
	s_wait_dscnt 0x2
	v_add_f32_e32 v5, v5, v10
	s_wait_dscnt 0x1
	v_add_f32_e32 v3, v3, v9
	;; [unrolled: 2-line block ×3, first 2 shown]
	ds_bpermute_b32 v6, v11, v2
	ds_bpermute_b32 v9, v11, v5
	;; [unrolled: 1-line block ×4, first 2 shown]
	v_xor_b32_e32 v11, 2, v0
	s_delay_alu instid0(VALU_DEP_1)
	v_cmp_gt_i32_e32 vcc_lo, 32, v11
	s_wait_dscnt 0x2
	v_dual_add_f32 v2, v2, v6 :: v_dual_add_f32 v5, v5, v9
	s_wait_alu 0xfffd
	v_cndmask_b32_e32 v11, v0, v11, vcc_lo
	s_wait_dscnt 0x0
	v_dual_add_f32 v3, v3, v8 :: v_dual_add_f32 v6, v1, v10
	s_delay_alu instid0(VALU_DEP_2)
	v_lshlrev_b32_e32 v11, 2, v11
	ds_bpermute_b32 v1, v11, v2
	ds_bpermute_b32 v8, v11, v3
	;; [unrolled: 1-line block ×4, first 2 shown]
	v_xor_b32_e32 v11, 1, v0
	s_delay_alu instid0(VALU_DEP_1) | instskip(SKIP_4) | instid1(VALU_DEP_2)
	v_cmp_gt_i32_e32 vcc_lo, 32, v11
	s_wait_alu 0xfffd
	v_cndmask_b32_e32 v0, v0, v11, vcc_lo
	v_cmp_eq_u32_e32 vcc_lo, 31, v7
	s_wait_dscnt 0x3
	v_dual_add_f32 v0, v2, v1 :: v_dual_lshlrev_b32 v11, 2, v0
	s_wait_dscnt 0x1
	v_dual_add_f32 v1, v3, v8 :: v_dual_add_f32 v2, v5, v9
	s_wait_dscnt 0x0
	v_add_f32_e32 v3, v6, v10
	ds_bpermute_b32 v5, v11, v0
	ds_bpermute_b32 v6, v11, v1
	;; [unrolled: 1-line block ×4, first 2 shown]
	s_and_b32 exec_lo, exec_lo, vcc_lo
	s_cbranch_execz .LBB3_23
; %bb.19:
	s_load_b64 s[0:1], s[0:1], 0x38
	s_wait_dscnt 0x2
	v_dual_add_f32 v0, v0, v5 :: v_dual_add_f32 v1, v1, v6
	s_wait_dscnt 0x0
	v_dual_add_f32 v2, v2, v8 :: v_dual_add_f32 v3, v3, v9
	v_lshlrev_b32_e32 v4, 2, v4
	s_delay_alu instid0(VALU_DEP_3) | instskip(NEXT) | instid1(VALU_DEP_3)
	v_dual_mul_f32 v0, s14, v0 :: v_dual_mul_f32 v1, s14, v1
	v_dual_mul_f32 v2, s14, v2 :: v_dual_mul_f32 v3, s14, v3
	s_cmp_eq_f32 s12, 0
	s_cbranch_scc0 .LBB3_21
; %bb.20:
	v_ashrrev_i32_e32 v5, 31, v4
	s_mov_b32 s2, 0
	s_delay_alu instid0(VALU_DEP_1) | instskip(SKIP_1) | instid1(VALU_DEP_1)
	v_lshlrev_b64_e32 v[5:6], 2, v[4:5]
	s_wait_kmcnt 0x0
	v_add_co_u32 v5, vcc_lo, s0, v5
	s_wait_alu 0xfffd
	s_delay_alu instid0(VALU_DEP_2)
	v_add_co_ci_u32_e64 v6, null, s1, v6, vcc_lo
	global_store_b128 v[5:6], v[0:3], off
.LBB3_21:
	s_wait_alu 0xfffe
	s_and_not1_b32 vcc_lo, exec_lo, s2
	s_wait_alu 0xfffe
	s_cbranch_vccnz .LBB3_23
; %bb.22:
	v_ashrrev_i32_e32 v5, 31, v4
	s_delay_alu instid0(VALU_DEP_1) | instskip(SKIP_1) | instid1(VALU_DEP_1)
	v_lshlrev_b64_e32 v[4:5], 2, v[4:5]
	s_wait_kmcnt 0x0
	v_add_co_u32 v8, vcc_lo, s0, v4
	s_wait_alu 0xfffd
	s_delay_alu instid0(VALU_DEP_2)
	v_add_co_ci_u32_e64 v9, null, s1, v5, vcc_lo
	global_load_b128 v[4:7], v[8:9], off
	s_wait_loadcnt 0x0
	v_dual_fmac_f32 v0, s12, v4 :: v_dual_fmac_f32 v1, s12, v5
	v_dual_fmac_f32 v2, s12, v6 :: v_dual_fmac_f32 v3, s12, v7
	global_store_b128 v[8:9], v[0:3], off
.LBB3_23:
	s_endpgm
	.section	.rodata,"a",@progbits
	.p2align	6, 0x0
	.amdhsa_kernel _ZN9rocsparseL19gebsrmvn_4xn_kernelILj128ELj1ELj32EfEEvi20rocsparse_direction_NS_24const_host_device_scalarIT2_EEPKiS6_PKS3_S8_S4_PS3_21rocsparse_index_base_b
		.amdhsa_group_segment_fixed_size 0
		.amdhsa_private_segment_fixed_size 0
		.amdhsa_kernarg_size 72
		.amdhsa_user_sgpr_count 2
		.amdhsa_user_sgpr_dispatch_ptr 0
		.amdhsa_user_sgpr_queue_ptr 0
		.amdhsa_user_sgpr_kernarg_segment_ptr 1
		.amdhsa_user_sgpr_dispatch_id 0
		.amdhsa_user_sgpr_private_segment_size 0
		.amdhsa_wavefront_size32 1
		.amdhsa_uses_dynamic_stack 0
		.amdhsa_enable_private_segment 0
		.amdhsa_system_sgpr_workgroup_id_x 1
		.amdhsa_system_sgpr_workgroup_id_y 0
		.amdhsa_system_sgpr_workgroup_id_z 0
		.amdhsa_system_sgpr_workgroup_info 0
		.amdhsa_system_vgpr_workitem_id 0
		.amdhsa_next_free_vgpr 20
		.amdhsa_next_free_sgpr 18
		.amdhsa_reserve_vcc 1
		.amdhsa_float_round_mode_32 0
		.amdhsa_float_round_mode_16_64 0
		.amdhsa_float_denorm_mode_32 3
		.amdhsa_float_denorm_mode_16_64 3
		.amdhsa_fp16_overflow 0
		.amdhsa_workgroup_processor_mode 1
		.amdhsa_memory_ordered 1
		.amdhsa_forward_progress 1
		.amdhsa_inst_pref_size 12
		.amdhsa_round_robin_scheduling 0
		.amdhsa_exception_fp_ieee_invalid_op 0
		.amdhsa_exception_fp_denorm_src 0
		.amdhsa_exception_fp_ieee_div_zero 0
		.amdhsa_exception_fp_ieee_overflow 0
		.amdhsa_exception_fp_ieee_underflow 0
		.amdhsa_exception_fp_ieee_inexact 0
		.amdhsa_exception_int_div_zero 0
	.end_amdhsa_kernel
	.section	.text._ZN9rocsparseL19gebsrmvn_4xn_kernelILj128ELj1ELj32EfEEvi20rocsparse_direction_NS_24const_host_device_scalarIT2_EEPKiS6_PKS3_S8_S4_PS3_21rocsparse_index_base_b,"axG",@progbits,_ZN9rocsparseL19gebsrmvn_4xn_kernelILj128ELj1ELj32EfEEvi20rocsparse_direction_NS_24const_host_device_scalarIT2_EEPKiS6_PKS3_S8_S4_PS3_21rocsparse_index_base_b,comdat
.Lfunc_end3:
	.size	_ZN9rocsparseL19gebsrmvn_4xn_kernelILj128ELj1ELj32EfEEvi20rocsparse_direction_NS_24const_host_device_scalarIT2_EEPKiS6_PKS3_S8_S4_PS3_21rocsparse_index_base_b, .Lfunc_end3-_ZN9rocsparseL19gebsrmvn_4xn_kernelILj128ELj1ELj32EfEEvi20rocsparse_direction_NS_24const_host_device_scalarIT2_EEPKiS6_PKS3_S8_S4_PS3_21rocsparse_index_base_b
                                        ; -- End function
	.set _ZN9rocsparseL19gebsrmvn_4xn_kernelILj128ELj1ELj32EfEEvi20rocsparse_direction_NS_24const_host_device_scalarIT2_EEPKiS6_PKS3_S8_S4_PS3_21rocsparse_index_base_b.num_vgpr, 20
	.set _ZN9rocsparseL19gebsrmvn_4xn_kernelILj128ELj1ELj32EfEEvi20rocsparse_direction_NS_24const_host_device_scalarIT2_EEPKiS6_PKS3_S8_S4_PS3_21rocsparse_index_base_b.num_agpr, 0
	.set _ZN9rocsparseL19gebsrmvn_4xn_kernelILj128ELj1ELj32EfEEvi20rocsparse_direction_NS_24const_host_device_scalarIT2_EEPKiS6_PKS3_S8_S4_PS3_21rocsparse_index_base_b.numbered_sgpr, 18
	.set _ZN9rocsparseL19gebsrmvn_4xn_kernelILj128ELj1ELj32EfEEvi20rocsparse_direction_NS_24const_host_device_scalarIT2_EEPKiS6_PKS3_S8_S4_PS3_21rocsparse_index_base_b.num_named_barrier, 0
	.set _ZN9rocsparseL19gebsrmvn_4xn_kernelILj128ELj1ELj32EfEEvi20rocsparse_direction_NS_24const_host_device_scalarIT2_EEPKiS6_PKS3_S8_S4_PS3_21rocsparse_index_base_b.private_seg_size, 0
	.set _ZN9rocsparseL19gebsrmvn_4xn_kernelILj128ELj1ELj32EfEEvi20rocsparse_direction_NS_24const_host_device_scalarIT2_EEPKiS6_PKS3_S8_S4_PS3_21rocsparse_index_base_b.uses_vcc, 1
	.set _ZN9rocsparseL19gebsrmvn_4xn_kernelILj128ELj1ELj32EfEEvi20rocsparse_direction_NS_24const_host_device_scalarIT2_EEPKiS6_PKS3_S8_S4_PS3_21rocsparse_index_base_b.uses_flat_scratch, 0
	.set _ZN9rocsparseL19gebsrmvn_4xn_kernelILj128ELj1ELj32EfEEvi20rocsparse_direction_NS_24const_host_device_scalarIT2_EEPKiS6_PKS3_S8_S4_PS3_21rocsparse_index_base_b.has_dyn_sized_stack, 0
	.set _ZN9rocsparseL19gebsrmvn_4xn_kernelILj128ELj1ELj32EfEEvi20rocsparse_direction_NS_24const_host_device_scalarIT2_EEPKiS6_PKS3_S8_S4_PS3_21rocsparse_index_base_b.has_recursion, 0
	.set _ZN9rocsparseL19gebsrmvn_4xn_kernelILj128ELj1ELj32EfEEvi20rocsparse_direction_NS_24const_host_device_scalarIT2_EEPKiS6_PKS3_S8_S4_PS3_21rocsparse_index_base_b.has_indirect_call, 0
	.section	.AMDGPU.csdata,"",@progbits
; Kernel info:
; codeLenInByte = 1448
; TotalNumSgprs: 20
; NumVgprs: 20
; ScratchSize: 0
; MemoryBound: 0
; FloatMode: 240
; IeeeMode: 1
; LDSByteSize: 0 bytes/workgroup (compile time only)
; SGPRBlocks: 0
; VGPRBlocks: 2
; NumSGPRsForWavesPerEU: 20
; NumVGPRsForWavesPerEU: 20
; Occupancy: 16
; WaveLimiterHint : 1
; COMPUTE_PGM_RSRC2:SCRATCH_EN: 0
; COMPUTE_PGM_RSRC2:USER_SGPR: 2
; COMPUTE_PGM_RSRC2:TRAP_HANDLER: 0
; COMPUTE_PGM_RSRC2:TGID_X_EN: 1
; COMPUTE_PGM_RSRC2:TGID_Y_EN: 0
; COMPUTE_PGM_RSRC2:TGID_Z_EN: 0
; COMPUTE_PGM_RSRC2:TIDIG_COMP_CNT: 0
	.section	.text._ZN9rocsparseL19gebsrmvn_4xn_kernelILj128ELj1ELj64EfEEvi20rocsparse_direction_NS_24const_host_device_scalarIT2_EEPKiS6_PKS3_S8_S4_PS3_21rocsparse_index_base_b,"axG",@progbits,_ZN9rocsparseL19gebsrmvn_4xn_kernelILj128ELj1ELj64EfEEvi20rocsparse_direction_NS_24const_host_device_scalarIT2_EEPKiS6_PKS3_S8_S4_PS3_21rocsparse_index_base_b,comdat
	.globl	_ZN9rocsparseL19gebsrmvn_4xn_kernelILj128ELj1ELj64EfEEvi20rocsparse_direction_NS_24const_host_device_scalarIT2_EEPKiS6_PKS3_S8_S4_PS3_21rocsparse_index_base_b ; -- Begin function _ZN9rocsparseL19gebsrmvn_4xn_kernelILj128ELj1ELj64EfEEvi20rocsparse_direction_NS_24const_host_device_scalarIT2_EEPKiS6_PKS3_S8_S4_PS3_21rocsparse_index_base_b
	.p2align	8
	.type	_ZN9rocsparseL19gebsrmvn_4xn_kernelILj128ELj1ELj64EfEEvi20rocsparse_direction_NS_24const_host_device_scalarIT2_EEPKiS6_PKS3_S8_S4_PS3_21rocsparse_index_base_b,@function
_ZN9rocsparseL19gebsrmvn_4xn_kernelILj128ELj1ELj64EfEEvi20rocsparse_direction_NS_24const_host_device_scalarIT2_EEPKiS6_PKS3_S8_S4_PS3_21rocsparse_index_base_b: ; @_ZN9rocsparseL19gebsrmvn_4xn_kernelILj128ELj1ELj64EfEEvi20rocsparse_direction_NS_24const_host_device_scalarIT2_EEPKiS6_PKS3_S8_S4_PS3_21rocsparse_index_base_b
; %bb.0:
	s_clause 0x2
	s_load_b64 s[16:17], s[0:1], 0x40
	s_load_b64 s[14:15], s[0:1], 0x8
	;; [unrolled: 1-line block ×3, first 2 shown]
	s_wait_kmcnt 0x0
	s_bitcmp1_b32 s17, 0
	s_cselect_b32 s2, -1, 0
	s_delay_alu instid0(SALU_CYCLE_1)
	s_and_b32 vcc_lo, exec_lo, s2
	s_xor_b32 s2, s2, -1
	s_cbranch_vccnz .LBB4_2
; %bb.1:
	s_load_b32 s14, s[14:15], 0x0
.LBB4_2:
	s_and_not1_b32 vcc_lo, exec_lo, s2
	s_cbranch_vccnz .LBB4_4
; %bb.3:
	s_load_b32 s12, s[12:13], 0x0
.LBB4_4:
	s_wait_kmcnt 0x0
	s_cmp_eq_f32 s14, 0
	s_cselect_b32 s2, -1, 0
	s_cmp_eq_f32 s12, 1.0
	s_cselect_b32 s3, -1, 0
	s_delay_alu instid0(SALU_CYCLE_1) | instskip(NEXT) | instid1(SALU_CYCLE_1)
	s_and_b32 s2, s2, s3
	s_and_b32 vcc_lo, exec_lo, s2
	s_cbranch_vccnz .LBB4_23
; %bb.5:
	s_load_b64 s[2:3], s[0:1], 0x0
	v_lshrrev_b32_e32 v1, 6, v0
	s_delay_alu instid0(VALU_DEP_1) | instskip(SKIP_1) | instid1(VALU_DEP_1)
	v_lshl_or_b32 v4, ttmp9, 1, v1
	s_wait_kmcnt 0x0
	v_cmp_gt_i32_e32 vcc_lo, s2, v4
	s_and_saveexec_b32 s2, vcc_lo
	s_cbranch_execz .LBB4_23
; %bb.6:
	s_load_b256 s[4:11], s[0:1], 0x10
	v_ashrrev_i32_e32 v5, 31, v4
	v_and_b32_e32 v7, 63, v0
	s_cmp_lg_u32 s3, 0
	s_delay_alu instid0(VALU_DEP_2) | instskip(SKIP_1) | instid1(VALU_DEP_1)
	v_lshlrev_b64_e32 v[1:2], 2, v[4:5]
	s_wait_kmcnt 0x0
	v_add_co_u32 v1, vcc_lo, s4, v1
	s_delay_alu instid0(VALU_DEP_1) | instskip(SKIP_4) | instid1(VALU_DEP_2)
	v_add_co_ci_u32_e64 v2, null, s5, v2, vcc_lo
	global_load_b64 v[1:2], v[1:2], off
	s_wait_loadcnt 0x0
	v_subrev_nc_u32_e32 v0, s16, v1
	v_subrev_nc_u32_e32 v12, s16, v2
	v_add_nc_u32_e32 v0, v0, v7
	s_delay_alu instid0(VALU_DEP_1)
	v_cmp_lt_i32_e64 s2, v0, v12
	s_cbranch_scc0 .LBB4_12
; %bb.7:
	v_dual_mov_b32 v8, 0 :: v_dual_mov_b32 v9, 0
	v_dual_mov_b32 v10, 0 :: v_dual_mov_b32 v11, 0
	s_and_saveexec_b32 s3, s2
	s_cbranch_execz .LBB4_11
; %bb.8:
	v_dual_mov_b32 v2, 0 :: v_dual_lshlrev_b32 v1, 2, v0
	v_mov_b32_e32 v5, v0
	s_mov_b32 s4, 0
	s_delay_alu instid0(VALU_DEP_2)
	v_dual_mov_b32 v8, v2 :: v_dual_mov_b32 v9, v2
	v_dual_mov_b32 v10, v2 :: v_dual_mov_b32 v11, v2
.LBB4_9:                                ; =>This Inner Loop Header: Depth=1
	s_delay_alu instid0(VALU_DEP_3) | instskip(SKIP_1) | instid1(VALU_DEP_2)
	v_ashrrev_i32_e32 v6, 31, v5
	v_mov_b32_e32 v15, v2
	v_lshlrev_b64_e32 v[13:14], 2, v[5:6]
	s_delay_alu instid0(VALU_DEP_1) | instskip(SKIP_1) | instid1(VALU_DEP_2)
	v_add_co_u32 v13, vcc_lo, s6, v13
	s_wait_alu 0xfffd
	v_add_co_ci_u32_e64 v14, null, s7, v14, vcc_lo
	global_load_b32 v3, v[13:14], off
	v_lshlrev_b64_e32 v[13:14], 2, v[1:2]
	v_add_nc_u32_e32 v1, 0x100, v1
	s_delay_alu instid0(VALU_DEP_2) | instskip(SKIP_1) | instid1(VALU_DEP_3)
	v_add_co_u32 v16, vcc_lo, s8, v13
	s_wait_alu 0xfffd
	v_add_co_ci_u32_e64 v17, null, s9, v14, vcc_lo
	s_wait_loadcnt 0x0
	v_subrev_nc_u32_e32 v14, s16, v3
	s_delay_alu instid0(VALU_DEP_1) | instskip(NEXT) | instid1(VALU_DEP_1)
	v_lshlrev_b64_e32 v[13:14], 2, v[14:15]
	v_add_co_u32 v18, vcc_lo, s10, v13
	s_wait_alu 0xfffd
	s_delay_alu instid0(VALU_DEP_2) | instskip(SKIP_4) | instid1(VALU_DEP_1)
	v_add_co_ci_u32_e64 v19, null, s11, v14, vcc_lo
	global_load_b128 v[13:16], v[16:17], off
	global_load_b32 v3, v[18:19], off
	s_wait_loadcnt 0x0
	v_dual_fmac_f32 v10, v15, v3 :: v_dual_add_nc_u32 v5, 64, v5
	v_cmp_ge_i32_e32 vcc_lo, v5, v12
	v_fmac_f32_e32 v8, v13, v3
	v_fmac_f32_e32 v11, v14, v3
	;; [unrolled: 1-line block ×3, first 2 shown]
	s_wait_alu 0xfffe
	s_or_b32 s4, vcc_lo, s4
	s_wait_alu 0xfffe
	s_and_not1_b32 exec_lo, exec_lo, s4
	s_cbranch_execnz .LBB4_9
; %bb.10:
	s_or_b32 exec_lo, exec_lo, s4
.LBB4_11:
	s_wait_alu 0xfffe
	s_or_b32 exec_lo, exec_lo, s3
	s_cbranch_execz .LBB4_13
	s_branch .LBB4_18
.LBB4_12:
                                        ; implicit-def: $vgpr8
                                        ; implicit-def: $vgpr9
                                        ; implicit-def: $vgpr10
                                        ; implicit-def: $vgpr11
.LBB4_13:
	v_dual_mov_b32 v8, 0 :: v_dual_mov_b32 v9, 0
	v_dual_mov_b32 v10, 0 :: v_dual_mov_b32 v11, 0
	s_and_saveexec_b32 s3, s2
	s_cbranch_execz .LBB4_17
; %bb.14:
	v_dual_mov_b32 v3, 0 :: v_dual_lshlrev_b32 v2, 2, v0
	s_mov_b32 s2, 0
	s_delay_alu instid0(VALU_DEP_1)
	v_dual_mov_b32 v8, v3 :: v_dual_mov_b32 v9, v3
	v_dual_mov_b32 v10, v3 :: v_dual_mov_b32 v11, v3
.LBB4_15:                               ; =>This Inner Loop Header: Depth=1
	v_ashrrev_i32_e32 v1, 31, v0
	v_mov_b32_e32 v14, v3
	s_delay_alu instid0(VALU_DEP_2) | instskip(NEXT) | instid1(VALU_DEP_1)
	v_lshlrev_b64_e32 v[5:6], 2, v[0:1]
	v_add_co_u32 v5, vcc_lo, s6, v5
	s_wait_alu 0xfffd
	s_delay_alu instid0(VALU_DEP_2) | instskip(SKIP_3) | instid1(VALU_DEP_2)
	v_add_co_ci_u32_e64 v6, null, s7, v6, vcc_lo
	global_load_b32 v1, v[5:6], off
	v_lshlrev_b64_e32 v[5:6], 2, v[2:3]
	v_add_nc_u32_e32 v2, 0x100, v2
	v_add_co_u32 v5, vcc_lo, s8, v5
	s_wait_alu 0xfffd
	s_delay_alu instid0(VALU_DEP_3) | instskip(SKIP_2) | instid1(VALU_DEP_1)
	v_add_co_ci_u32_e64 v6, null, s9, v6, vcc_lo
	s_wait_loadcnt 0x0
	v_subrev_nc_u32_e32 v13, s16, v1
	v_lshlrev_b64_e32 v[13:14], 2, v[13:14]
	s_delay_alu instid0(VALU_DEP_1) | instskip(SKIP_1) | instid1(VALU_DEP_2)
	v_add_co_u32 v17, vcc_lo, s10, v13
	s_wait_alu 0xfffd
	v_add_co_ci_u32_e64 v18, null, s11, v14, vcc_lo
	global_load_b128 v[13:16], v[5:6], off
	global_load_b32 v1, v[17:18], off
	s_wait_loadcnt 0x0
	v_dual_fmac_f32 v11, v14, v1 :: v_dual_add_nc_u32 v0, 64, v0
	s_delay_alu instid0(VALU_DEP_1)
	v_cmp_ge_i32_e32 vcc_lo, v0, v12
	v_fmac_f32_e32 v8, v13, v1
	v_fmac_f32_e32 v10, v15, v1
	;; [unrolled: 1-line block ×3, first 2 shown]
	s_wait_alu 0xfffe
	s_or_b32 s2, vcc_lo, s2
	s_wait_alu 0xfffe
	s_and_not1_b32 exec_lo, exec_lo, s2
	s_cbranch_execnz .LBB4_15
; %bb.16:
	s_or_b32 exec_lo, exec_lo, s2
.LBB4_17:
	s_wait_alu 0xfffe
	s_or_b32 exec_lo, exec_lo, s3
.LBB4_18:
	v_mbcnt_lo_u32_b32 v0, -1, 0
	s_mov_b32 s2, -1
	s_delay_alu instid0(VALU_DEP_1) | instskip(SKIP_1) | instid1(VALU_DEP_2)
	v_or_b32_e32 v1, 32, v0
	v_xor_b32_e32 v6, 16, v0
	v_cmp_gt_i32_e32 vcc_lo, 32, v1
	s_wait_alu 0xfffd
	v_cndmask_b32_e32 v1, v0, v1, vcc_lo
	s_delay_alu instid0(VALU_DEP_3) | instskip(SKIP_2) | instid1(VALU_DEP_1)
	v_cmp_gt_i32_e32 vcc_lo, 32, v6
	s_wait_alu 0xfffd
	v_cndmask_b32_e32 v6, v0, v6, vcc_lo
	v_lshlrev_b32_e32 v6, 2, v6
	v_lshlrev_b32_e32 v1, 2, v1
	ds_bpermute_b32 v2, v1, v8
	s_wait_dscnt 0x0
	v_add_f32_e32 v2, v8, v2
	ds_bpermute_b32 v3, v1, v11
	ds_bpermute_b32 v5, v1, v10
	;; [unrolled: 1-line block ×4, first 2 shown]
	s_wait_dscnt 0x3
	v_add_f32_e32 v3, v11, v3
	s_wait_dscnt 0x2
	v_add_f32_e32 v5, v10, v5
	;; [unrolled: 2-line block ×3, first 2 shown]
	v_xor_b32_e32 v11, 8, v0
	s_wait_dscnt 0x0
	v_add_f32_e32 v2, v2, v8
	ds_bpermute_b32 v9, v6, v3
	ds_bpermute_b32 v10, v6, v5
	;; [unrolled: 1-line block ×3, first 2 shown]
	v_cmp_gt_i32_e32 vcc_lo, 32, v11
	s_wait_alu 0xfffd
	v_cndmask_b32_e32 v11, v0, v11, vcc_lo
	s_delay_alu instid0(VALU_DEP_1)
	v_lshlrev_b32_e32 v11, 2, v11
	s_wait_dscnt 0x2
	v_add_f32_e32 v3, v3, v9
	s_wait_dscnt 0x1
	v_add_f32_e32 v5, v5, v10
	;; [unrolled: 2-line block ×3, first 2 shown]
	ds_bpermute_b32 v6, v11, v2
	ds_bpermute_b32 v8, v11, v3
	;; [unrolled: 1-line block ×4, first 2 shown]
	v_xor_b32_e32 v11, 4, v0
	s_delay_alu instid0(VALU_DEP_1) | instskip(SKIP_3) | instid1(VALU_DEP_1)
	v_cmp_gt_i32_e32 vcc_lo, 32, v11
	s_wait_alu 0xfffd
	v_cndmask_b32_e32 v11, v0, v11, vcc_lo
	s_wait_dscnt 0x3
	v_dual_add_f32 v2, v2, v6 :: v_dual_lshlrev_b32 v11, 2, v11
	s_wait_dscnt 0x2
	v_add_f32_e32 v3, v3, v8
	s_wait_dscnt 0x1
	v_add_f32_e32 v5, v5, v9
	;; [unrolled: 2-line block ×3, first 2 shown]
	ds_bpermute_b32 v6, v11, v2
	ds_bpermute_b32 v8, v11, v3
	ds_bpermute_b32 v9, v11, v5
	ds_bpermute_b32 v10, v11, v1
	v_xor_b32_e32 v11, 2, v0
	s_delay_alu instid0(VALU_DEP_1) | instskip(SKIP_3) | instid1(VALU_DEP_1)
	v_cmp_gt_i32_e32 vcc_lo, 32, v11
	s_wait_alu 0xfffd
	v_cndmask_b32_e32 v11, v0, v11, vcc_lo
	s_wait_dscnt 0x3
	v_dual_add_f32 v2, v2, v6 :: v_dual_lshlrev_b32 v11, 2, v11
	s_wait_dscnt 0x2
	v_add_f32_e32 v3, v3, v8
	s_wait_dscnt 0x1
	v_add_f32_e32 v5, v5, v9
	;; [unrolled: 2-line block ×3, first 2 shown]
	ds_bpermute_b32 v1, v11, v2
	ds_bpermute_b32 v8, v11, v3
	;; [unrolled: 1-line block ×4, first 2 shown]
	v_xor_b32_e32 v11, 1, v0
	s_delay_alu instid0(VALU_DEP_1) | instskip(SKIP_4) | instid1(VALU_DEP_2)
	v_cmp_gt_i32_e32 vcc_lo, 32, v11
	s_wait_alu 0xfffd
	v_cndmask_b32_e32 v0, v0, v11, vcc_lo
	v_cmp_eq_u32_e32 vcc_lo, 63, v7
	s_wait_dscnt 0x3
	v_dual_add_f32 v0, v2, v1 :: v_dual_lshlrev_b32 v11, 2, v0
	s_wait_dscnt 0x1
	v_dual_add_f32 v1, v3, v8 :: v_dual_add_f32 v2, v5, v9
	s_wait_dscnt 0x0
	v_add_f32_e32 v3, v6, v10
	ds_bpermute_b32 v5, v11, v0
	ds_bpermute_b32 v6, v11, v1
	;; [unrolled: 1-line block ×4, first 2 shown]
	s_and_b32 exec_lo, exec_lo, vcc_lo
	s_cbranch_execz .LBB4_23
; %bb.19:
	s_load_b64 s[0:1], s[0:1], 0x38
	s_wait_dscnt 0x2
	v_dual_add_f32 v0, v0, v5 :: v_dual_add_f32 v1, v1, v6
	s_wait_dscnt 0x0
	v_dual_add_f32 v2, v2, v8 :: v_dual_add_f32 v3, v3, v9
	v_lshlrev_b32_e32 v4, 2, v4
	s_delay_alu instid0(VALU_DEP_3) | instskip(NEXT) | instid1(VALU_DEP_3)
	v_dual_mul_f32 v0, s14, v0 :: v_dual_mul_f32 v1, s14, v1
	v_dual_mul_f32 v2, s14, v2 :: v_dual_mul_f32 v3, s14, v3
	s_cmp_eq_f32 s12, 0
	s_cbranch_scc0 .LBB4_21
; %bb.20:
	v_ashrrev_i32_e32 v5, 31, v4
	s_mov_b32 s2, 0
	s_delay_alu instid0(VALU_DEP_1) | instskip(SKIP_1) | instid1(VALU_DEP_1)
	v_lshlrev_b64_e32 v[5:6], 2, v[4:5]
	s_wait_kmcnt 0x0
	v_add_co_u32 v5, vcc_lo, s0, v5
	s_wait_alu 0xfffd
	s_delay_alu instid0(VALU_DEP_2)
	v_add_co_ci_u32_e64 v6, null, s1, v6, vcc_lo
	global_store_b128 v[5:6], v[0:3], off
.LBB4_21:
	s_wait_alu 0xfffe
	s_and_not1_b32 vcc_lo, exec_lo, s2
	s_wait_alu 0xfffe
	s_cbranch_vccnz .LBB4_23
; %bb.22:
	v_ashrrev_i32_e32 v5, 31, v4
	s_delay_alu instid0(VALU_DEP_1) | instskip(SKIP_1) | instid1(VALU_DEP_1)
	v_lshlrev_b64_e32 v[4:5], 2, v[4:5]
	s_wait_kmcnt 0x0
	v_add_co_u32 v8, vcc_lo, s0, v4
	s_wait_alu 0xfffd
	s_delay_alu instid0(VALU_DEP_2)
	v_add_co_ci_u32_e64 v9, null, s1, v5, vcc_lo
	global_load_b128 v[4:7], v[8:9], off
	s_wait_loadcnt 0x0
	v_dual_fmac_f32 v0, s12, v4 :: v_dual_fmac_f32 v1, s12, v5
	v_dual_fmac_f32 v2, s12, v6 :: v_dual_fmac_f32 v3, s12, v7
	global_store_b128 v[8:9], v[0:3], off
.LBB4_23:
	s_endpgm
	.section	.rodata,"a",@progbits
	.p2align	6, 0x0
	.amdhsa_kernel _ZN9rocsparseL19gebsrmvn_4xn_kernelILj128ELj1ELj64EfEEvi20rocsparse_direction_NS_24const_host_device_scalarIT2_EEPKiS6_PKS3_S8_S4_PS3_21rocsparse_index_base_b
		.amdhsa_group_segment_fixed_size 0
		.amdhsa_private_segment_fixed_size 0
		.amdhsa_kernarg_size 72
		.amdhsa_user_sgpr_count 2
		.amdhsa_user_sgpr_dispatch_ptr 0
		.amdhsa_user_sgpr_queue_ptr 0
		.amdhsa_user_sgpr_kernarg_segment_ptr 1
		.amdhsa_user_sgpr_dispatch_id 0
		.amdhsa_user_sgpr_private_segment_size 0
		.amdhsa_wavefront_size32 1
		.amdhsa_uses_dynamic_stack 0
		.amdhsa_enable_private_segment 0
		.amdhsa_system_sgpr_workgroup_id_x 1
		.amdhsa_system_sgpr_workgroup_id_y 0
		.amdhsa_system_sgpr_workgroup_id_z 0
		.amdhsa_system_sgpr_workgroup_info 0
		.amdhsa_system_vgpr_workitem_id 0
		.amdhsa_next_free_vgpr 20
		.amdhsa_next_free_sgpr 18
		.amdhsa_reserve_vcc 1
		.amdhsa_float_round_mode_32 0
		.amdhsa_float_round_mode_16_64 0
		.amdhsa_float_denorm_mode_32 3
		.amdhsa_float_denorm_mode_16_64 3
		.amdhsa_fp16_overflow 0
		.amdhsa_workgroup_processor_mode 1
		.amdhsa_memory_ordered 1
		.amdhsa_forward_progress 1
		.amdhsa_inst_pref_size 13
		.amdhsa_round_robin_scheduling 0
		.amdhsa_exception_fp_ieee_invalid_op 0
		.amdhsa_exception_fp_denorm_src 0
		.amdhsa_exception_fp_ieee_div_zero 0
		.amdhsa_exception_fp_ieee_overflow 0
		.amdhsa_exception_fp_ieee_underflow 0
		.amdhsa_exception_fp_ieee_inexact 0
		.amdhsa_exception_int_div_zero 0
	.end_amdhsa_kernel
	.section	.text._ZN9rocsparseL19gebsrmvn_4xn_kernelILj128ELj1ELj64EfEEvi20rocsparse_direction_NS_24const_host_device_scalarIT2_EEPKiS6_PKS3_S8_S4_PS3_21rocsparse_index_base_b,"axG",@progbits,_ZN9rocsparseL19gebsrmvn_4xn_kernelILj128ELj1ELj64EfEEvi20rocsparse_direction_NS_24const_host_device_scalarIT2_EEPKiS6_PKS3_S8_S4_PS3_21rocsparse_index_base_b,comdat
.Lfunc_end4:
	.size	_ZN9rocsparseL19gebsrmvn_4xn_kernelILj128ELj1ELj64EfEEvi20rocsparse_direction_NS_24const_host_device_scalarIT2_EEPKiS6_PKS3_S8_S4_PS3_21rocsparse_index_base_b, .Lfunc_end4-_ZN9rocsparseL19gebsrmvn_4xn_kernelILj128ELj1ELj64EfEEvi20rocsparse_direction_NS_24const_host_device_scalarIT2_EEPKiS6_PKS3_S8_S4_PS3_21rocsparse_index_base_b
                                        ; -- End function
	.set _ZN9rocsparseL19gebsrmvn_4xn_kernelILj128ELj1ELj64EfEEvi20rocsparse_direction_NS_24const_host_device_scalarIT2_EEPKiS6_PKS3_S8_S4_PS3_21rocsparse_index_base_b.num_vgpr, 20
	.set _ZN9rocsparseL19gebsrmvn_4xn_kernelILj128ELj1ELj64EfEEvi20rocsparse_direction_NS_24const_host_device_scalarIT2_EEPKiS6_PKS3_S8_S4_PS3_21rocsparse_index_base_b.num_agpr, 0
	.set _ZN9rocsparseL19gebsrmvn_4xn_kernelILj128ELj1ELj64EfEEvi20rocsparse_direction_NS_24const_host_device_scalarIT2_EEPKiS6_PKS3_S8_S4_PS3_21rocsparse_index_base_b.numbered_sgpr, 18
	.set _ZN9rocsparseL19gebsrmvn_4xn_kernelILj128ELj1ELj64EfEEvi20rocsparse_direction_NS_24const_host_device_scalarIT2_EEPKiS6_PKS3_S8_S4_PS3_21rocsparse_index_base_b.num_named_barrier, 0
	.set _ZN9rocsparseL19gebsrmvn_4xn_kernelILj128ELj1ELj64EfEEvi20rocsparse_direction_NS_24const_host_device_scalarIT2_EEPKiS6_PKS3_S8_S4_PS3_21rocsparse_index_base_b.private_seg_size, 0
	.set _ZN9rocsparseL19gebsrmvn_4xn_kernelILj128ELj1ELj64EfEEvi20rocsparse_direction_NS_24const_host_device_scalarIT2_EEPKiS6_PKS3_S8_S4_PS3_21rocsparse_index_base_b.uses_vcc, 1
	.set _ZN9rocsparseL19gebsrmvn_4xn_kernelILj128ELj1ELj64EfEEvi20rocsparse_direction_NS_24const_host_device_scalarIT2_EEPKiS6_PKS3_S8_S4_PS3_21rocsparse_index_base_b.uses_flat_scratch, 0
	.set _ZN9rocsparseL19gebsrmvn_4xn_kernelILj128ELj1ELj64EfEEvi20rocsparse_direction_NS_24const_host_device_scalarIT2_EEPKiS6_PKS3_S8_S4_PS3_21rocsparse_index_base_b.has_dyn_sized_stack, 0
	.set _ZN9rocsparseL19gebsrmvn_4xn_kernelILj128ELj1ELj64EfEEvi20rocsparse_direction_NS_24const_host_device_scalarIT2_EEPKiS6_PKS3_S8_S4_PS3_21rocsparse_index_base_b.has_recursion, 0
	.set _ZN9rocsparseL19gebsrmvn_4xn_kernelILj128ELj1ELj64EfEEvi20rocsparse_direction_NS_24const_host_device_scalarIT2_EEPKiS6_PKS3_S8_S4_PS3_21rocsparse_index_base_b.has_indirect_call, 0
	.section	.AMDGPU.csdata,"",@progbits
; Kernel info:
; codeLenInByte = 1540
; TotalNumSgprs: 20
; NumVgprs: 20
; ScratchSize: 0
; MemoryBound: 0
; FloatMode: 240
; IeeeMode: 1
; LDSByteSize: 0 bytes/workgroup (compile time only)
; SGPRBlocks: 0
; VGPRBlocks: 2
; NumSGPRsForWavesPerEU: 20
; NumVGPRsForWavesPerEU: 20
; Occupancy: 16
; WaveLimiterHint : 1
; COMPUTE_PGM_RSRC2:SCRATCH_EN: 0
; COMPUTE_PGM_RSRC2:USER_SGPR: 2
; COMPUTE_PGM_RSRC2:TRAP_HANDLER: 0
; COMPUTE_PGM_RSRC2:TGID_X_EN: 1
; COMPUTE_PGM_RSRC2:TGID_Y_EN: 0
; COMPUTE_PGM_RSRC2:TGID_Z_EN: 0
; COMPUTE_PGM_RSRC2:TIDIG_COMP_CNT: 0
	.section	.text._ZN9rocsparseL19gebsrmvn_4xn_kernelILj128ELj2ELj4EfEEvi20rocsparse_direction_NS_24const_host_device_scalarIT2_EEPKiS6_PKS3_S8_S4_PS3_21rocsparse_index_base_b,"axG",@progbits,_ZN9rocsparseL19gebsrmvn_4xn_kernelILj128ELj2ELj4EfEEvi20rocsparse_direction_NS_24const_host_device_scalarIT2_EEPKiS6_PKS3_S8_S4_PS3_21rocsparse_index_base_b,comdat
	.globl	_ZN9rocsparseL19gebsrmvn_4xn_kernelILj128ELj2ELj4EfEEvi20rocsparse_direction_NS_24const_host_device_scalarIT2_EEPKiS6_PKS3_S8_S4_PS3_21rocsparse_index_base_b ; -- Begin function _ZN9rocsparseL19gebsrmvn_4xn_kernelILj128ELj2ELj4EfEEvi20rocsparse_direction_NS_24const_host_device_scalarIT2_EEPKiS6_PKS3_S8_S4_PS3_21rocsparse_index_base_b
	.p2align	8
	.type	_ZN9rocsparseL19gebsrmvn_4xn_kernelILj128ELj2ELj4EfEEvi20rocsparse_direction_NS_24const_host_device_scalarIT2_EEPKiS6_PKS3_S8_S4_PS3_21rocsparse_index_base_b,@function
_ZN9rocsparseL19gebsrmvn_4xn_kernelILj128ELj2ELj4EfEEvi20rocsparse_direction_NS_24const_host_device_scalarIT2_EEPKiS6_PKS3_S8_S4_PS3_21rocsparse_index_base_b: ; @_ZN9rocsparseL19gebsrmvn_4xn_kernelILj128ELj2ELj4EfEEvi20rocsparse_direction_NS_24const_host_device_scalarIT2_EEPKiS6_PKS3_S8_S4_PS3_21rocsparse_index_base_b
; %bb.0:
	s_clause 0x2
	s_load_b64 s[16:17], s[0:1], 0x40
	s_load_b64 s[14:15], s[0:1], 0x8
	;; [unrolled: 1-line block ×3, first 2 shown]
	s_wait_kmcnt 0x0
	s_bitcmp1_b32 s17, 0
	s_cselect_b32 s2, -1, 0
	s_delay_alu instid0(SALU_CYCLE_1)
	s_and_b32 vcc_lo, exec_lo, s2
	s_xor_b32 s2, s2, -1
	s_cbranch_vccnz .LBB5_2
; %bb.1:
	s_load_b32 s14, s[14:15], 0x0
.LBB5_2:
	s_and_not1_b32 vcc_lo, exec_lo, s2
	s_cbranch_vccnz .LBB5_4
; %bb.3:
	s_load_b32 s12, s[12:13], 0x0
.LBB5_4:
	s_wait_kmcnt 0x0
	s_cmp_eq_f32 s14, 0
	s_cselect_b32 s2, -1, 0
	s_cmp_eq_f32 s12, 1.0
	s_cselect_b32 s3, -1, 0
	s_delay_alu instid0(SALU_CYCLE_1) | instskip(NEXT) | instid1(SALU_CYCLE_1)
	s_and_b32 s2, s2, s3
	s_and_b32 vcc_lo, exec_lo, s2
	s_cbranch_vccnz .LBB5_23
; %bb.5:
	s_load_b64 s[2:3], s[0:1], 0x0
	v_lshrrev_b32_e32 v1, 2, v0
	s_delay_alu instid0(VALU_DEP_1) | instskip(SKIP_1) | instid1(VALU_DEP_1)
	v_lshl_or_b32 v4, ttmp9, 5, v1
	s_wait_kmcnt 0x0
	v_cmp_gt_i32_e32 vcc_lo, s2, v4
	s_and_saveexec_b32 s2, vcc_lo
	s_cbranch_execz .LBB5_23
; %bb.6:
	s_load_b256 s[4:11], s[0:1], 0x10
	v_ashrrev_i32_e32 v5, 31, v4
	v_and_b32_e32 v7, 3, v0
	s_cmp_lg_u32 s3, 0
	s_delay_alu instid0(VALU_DEP_2) | instskip(SKIP_1) | instid1(VALU_DEP_1)
	v_lshlrev_b64_e32 v[1:2], 2, v[4:5]
	s_wait_kmcnt 0x0
	v_add_co_u32 v1, vcc_lo, s4, v1
	s_delay_alu instid0(VALU_DEP_1) | instskip(SKIP_4) | instid1(VALU_DEP_2)
	v_add_co_ci_u32_e64 v2, null, s5, v2, vcc_lo
	global_load_b64 v[1:2], v[1:2], off
	s_wait_loadcnt 0x0
	v_subrev_nc_u32_e32 v0, s16, v1
	v_subrev_nc_u32_e32 v12, s16, v2
	v_add_nc_u32_e32 v0, v0, v7
	s_delay_alu instid0(VALU_DEP_1)
	v_cmp_lt_i32_e64 s2, v0, v12
	s_cbranch_scc0 .LBB5_12
; %bb.7:
	v_dual_mov_b32 v8, 0 :: v_dual_mov_b32 v9, 0
	v_dual_mov_b32 v10, 0 :: v_dual_mov_b32 v11, 0
	s_and_saveexec_b32 s3, s2
	s_cbranch_execz .LBB5_11
; %bb.8:
	v_dual_mov_b32 v2, 0 :: v_dual_lshlrev_b32 v1, 3, v0
	v_mov_b32_e32 v5, v0
	s_mov_b32 s4, 0
	s_delay_alu instid0(VALU_DEP_2)
	v_dual_mov_b32 v8, v2 :: v_dual_mov_b32 v9, v2
	v_dual_mov_b32 v10, v2 :: v_dual_mov_b32 v11, v2
.LBB5_9:                                ; =>This Inner Loop Header: Depth=1
	s_delay_alu instid0(VALU_DEP_3) | instskip(NEXT) | instid1(VALU_DEP_1)
	v_ashrrev_i32_e32 v6, 31, v5
	v_lshlrev_b64_e32 v[13:14], 2, v[5:6]
	s_delay_alu instid0(VALU_DEP_1) | instskip(SKIP_1) | instid1(VALU_DEP_2)
	v_add_co_u32 v13, vcc_lo, s6, v13
	s_wait_alu 0xfffd
	v_add_co_ci_u32_e64 v14, null, s7, v14, vcc_lo
	global_load_b32 v3, v[13:14], off
	v_lshlrev_b64_e32 v[13:14], 2, v[1:2]
	s_delay_alu instid0(VALU_DEP_1) | instskip(SKIP_1) | instid1(VALU_DEP_2)
	v_add_co_u32 v19, vcc_lo, s8, v13
	s_wait_alu 0xfffd
	v_add_co_ci_u32_e64 v20, null, s9, v14, vcc_lo
	global_load_b128 v[13:16], v[19:20], off offset:16
	s_wait_loadcnt 0x1
	v_subrev_nc_u32_e32 v3, s16, v3
	s_delay_alu instid0(VALU_DEP_1) | instskip(NEXT) | instid1(VALU_DEP_1)
	v_dual_mov_b32 v18, v2 :: v_dual_lshlrev_b32 v17, 1, v3
	v_lshlrev_b64_e32 v[17:18], 2, v[17:18]
	s_delay_alu instid0(VALU_DEP_1) | instskip(SKIP_1) | instid1(VALU_DEP_2)
	v_add_co_u32 v21, vcc_lo, s10, v17
	s_wait_alu 0xfffd
	v_add_co_ci_u32_e64 v22, null, s11, v18, vcc_lo
	global_load_b128 v[17:20], v[19:20], off
	global_load_b64 v[21:22], v[21:22], off
	s_wait_loadcnt 0x0
	v_fmac_f32_e32 v9, v20, v21
	v_fmac_f32_e32 v10, v19, v21
	v_fmac_f32_e32 v11, v18, v21
	s_delay_alu instid0(VALU_DEP_3) | instskip(NEXT) | instid1(VALU_DEP_3)
	v_dual_fmac_f32 v8, v17, v21 :: v_dual_fmac_f32 v9, v16, v22
	v_dual_fmac_f32 v10, v15, v22 :: v_dual_add_nc_u32 v5, 4, v5
	s_delay_alu instid0(VALU_DEP_3) | instskip(NEXT) | instid1(VALU_DEP_3)
	v_fmac_f32_e32 v11, v14, v22
	v_dual_fmac_f32 v8, v13, v22 :: v_dual_add_nc_u32 v1, 32, v1
	s_delay_alu instid0(VALU_DEP_3)
	v_cmp_ge_i32_e32 vcc_lo, v5, v12
	s_wait_alu 0xfffe
	s_or_b32 s4, vcc_lo, s4
	s_wait_alu 0xfffe
	s_and_not1_b32 exec_lo, exec_lo, s4
	s_cbranch_execnz .LBB5_9
; %bb.10:
	s_or_b32 exec_lo, exec_lo, s4
.LBB5_11:
	s_wait_alu 0xfffe
	s_or_b32 exec_lo, exec_lo, s3
	s_cbranch_execz .LBB5_13
	s_branch .LBB5_18
.LBB5_12:
                                        ; implicit-def: $vgpr8
                                        ; implicit-def: $vgpr9
                                        ; implicit-def: $vgpr10
                                        ; implicit-def: $vgpr11
.LBB5_13:
	v_dual_mov_b32 v8, 0 :: v_dual_mov_b32 v9, 0
	v_dual_mov_b32 v10, 0 :: v_dual_mov_b32 v11, 0
	s_and_saveexec_b32 s3, s2
	s_cbranch_execz .LBB5_17
; %bb.14:
	v_dual_mov_b32 v3, 0 :: v_dual_lshlrev_b32 v2, 3, v0
	s_mov_b32 s2, 0
	s_delay_alu instid0(VALU_DEP_1)
	v_dual_mov_b32 v8, v3 :: v_dual_mov_b32 v9, v3
	v_dual_mov_b32 v10, v3 :: v_dual_mov_b32 v11, v3
.LBB5_15:                               ; =>This Inner Loop Header: Depth=1
	v_ashrrev_i32_e32 v1, 31, v0
	s_delay_alu instid0(VALU_DEP_1) | instskip(NEXT) | instid1(VALU_DEP_1)
	v_lshlrev_b64_e32 v[5:6], 2, v[0:1]
	v_add_co_u32 v5, vcc_lo, s6, v5
	s_wait_alu 0xfffd
	s_delay_alu instid0(VALU_DEP_2) | instskip(SKIP_2) | instid1(VALU_DEP_1)
	v_add_co_ci_u32_e64 v6, null, s7, v6, vcc_lo
	global_load_b32 v1, v[5:6], off
	v_lshlrev_b64_e32 v[5:6], 2, v[2:3]
	v_add_co_u32 v5, vcc_lo, s8, v5
	s_wait_alu 0xfffd
	s_delay_alu instid0(VALU_DEP_2) | instskip(SKIP_3) | instid1(VALU_DEP_1)
	v_add_co_ci_u32_e64 v6, null, s9, v6, vcc_lo
	global_load_b128 v[13:16], v[5:6], off offset:16
	s_wait_loadcnt 0x1
	v_subrev_nc_u32_e32 v1, s16, v1
	v_dual_mov_b32 v18, v3 :: v_dual_lshlrev_b32 v17, 1, v1
	s_delay_alu instid0(VALU_DEP_1) | instskip(NEXT) | instid1(VALU_DEP_1)
	v_lshlrev_b64_e32 v[17:18], 2, v[17:18]
	v_add_co_u32 v21, vcc_lo, s10, v17
	s_wait_alu 0xfffd
	s_delay_alu instid0(VALU_DEP_2)
	v_add_co_ci_u32_e64 v22, null, s11, v18, vcc_lo
	global_load_b128 v[17:20], v[5:6], off
	global_load_b64 v[5:6], v[21:22], off
	v_add_nc_u32_e32 v0, 4, v0
	s_wait_loadcnt 0x0
	v_dual_fmac_f32 v11, v19, v5 :: v_dual_add_nc_u32 v2, 32, v2
	v_fmac_f32_e32 v8, v17, v5
	v_fmac_f32_e32 v9, v15, v5
	;; [unrolled: 1-line block ×3, first 2 shown]
	v_cmp_ge_i32_e32 vcc_lo, v0, v12
	v_fmac_f32_e32 v11, v20, v6
	v_fmac_f32_e32 v8, v18, v6
	;; [unrolled: 1-line block ×4, first 2 shown]
	s_wait_alu 0xfffe
	s_or_b32 s2, vcc_lo, s2
	s_wait_alu 0xfffe
	s_and_not1_b32 exec_lo, exec_lo, s2
	s_cbranch_execnz .LBB5_15
; %bb.16:
	s_or_b32 exec_lo, exec_lo, s2
.LBB5_17:
	s_wait_alu 0xfffe
	s_or_b32 exec_lo, exec_lo, s3
.LBB5_18:
	v_mbcnt_lo_u32_b32 v0, -1, 0
	s_mov_b32 s2, -1
	s_delay_alu instid0(VALU_DEP_1) | instskip(NEXT) | instid1(VALU_DEP_1)
	v_xor_b32_e32 v1, 2, v0
	v_cmp_gt_i32_e32 vcc_lo, 32, v1
	s_wait_alu 0xfffd
	v_cndmask_b32_e32 v1, v0, v1, vcc_lo
	s_delay_alu instid0(VALU_DEP_1)
	v_lshlrev_b32_e32 v1, 2, v1
	ds_bpermute_b32 v2, v1, v8
	ds_bpermute_b32 v3, v1, v11
	;; [unrolled: 1-line block ×4, first 2 shown]
	v_xor_b32_e32 v1, 1, v0
	s_delay_alu instid0(VALU_DEP_1) | instskip(SKIP_4) | instid1(VALU_DEP_2)
	v_cmp_gt_i32_e32 vcc_lo, 32, v1
	s_wait_alu 0xfffd
	v_cndmask_b32_e32 v0, v0, v1, vcc_lo
	v_cmp_eq_u32_e32 vcc_lo, 3, v7
	s_wait_dscnt 0x2
	v_dual_add_f32 v1, v11, v3 :: v_dual_lshlrev_b32 v12, 2, v0
	v_add_f32_e32 v0, v8, v2
	s_wait_dscnt 0x0
	v_dual_add_f32 v2, v10, v5 :: v_dual_add_f32 v3, v9, v6
	ds_bpermute_b32 v6, v12, v1
	ds_bpermute_b32 v5, v12, v0
	;; [unrolled: 1-line block ×4, first 2 shown]
	s_and_b32 exec_lo, exec_lo, vcc_lo
	s_cbranch_execz .LBB5_23
; %bb.19:
	s_load_b64 s[0:1], s[0:1], 0x38
	s_wait_dscnt 0x2
	v_dual_add_f32 v0, v0, v5 :: v_dual_add_f32 v1, v1, v6
	s_wait_dscnt 0x0
	v_dual_add_f32 v2, v2, v8 :: v_dual_add_f32 v3, v3, v9
	v_lshlrev_b32_e32 v4, 2, v4
	s_delay_alu instid0(VALU_DEP_3) | instskip(NEXT) | instid1(VALU_DEP_3)
	v_dual_mul_f32 v0, s14, v0 :: v_dual_mul_f32 v1, s14, v1
	v_dual_mul_f32 v2, s14, v2 :: v_dual_mul_f32 v3, s14, v3
	s_cmp_eq_f32 s12, 0
	s_cbranch_scc0 .LBB5_21
; %bb.20:
	v_ashrrev_i32_e32 v5, 31, v4
	s_mov_b32 s2, 0
	s_delay_alu instid0(VALU_DEP_1) | instskip(SKIP_1) | instid1(VALU_DEP_1)
	v_lshlrev_b64_e32 v[5:6], 2, v[4:5]
	s_wait_kmcnt 0x0
	v_add_co_u32 v5, vcc_lo, s0, v5
	s_wait_alu 0xfffd
	s_delay_alu instid0(VALU_DEP_2)
	v_add_co_ci_u32_e64 v6, null, s1, v6, vcc_lo
	global_store_b128 v[5:6], v[0:3], off
.LBB5_21:
	s_wait_alu 0xfffe
	s_and_not1_b32 vcc_lo, exec_lo, s2
	s_wait_alu 0xfffe
	s_cbranch_vccnz .LBB5_23
; %bb.22:
	v_ashrrev_i32_e32 v5, 31, v4
	s_delay_alu instid0(VALU_DEP_1) | instskip(SKIP_1) | instid1(VALU_DEP_1)
	v_lshlrev_b64_e32 v[4:5], 2, v[4:5]
	s_wait_kmcnt 0x0
	v_add_co_u32 v8, vcc_lo, s0, v4
	s_wait_alu 0xfffd
	s_delay_alu instid0(VALU_DEP_2)
	v_add_co_ci_u32_e64 v9, null, s1, v5, vcc_lo
	global_load_b128 v[4:7], v[8:9], off
	s_wait_loadcnt 0x0
	v_dual_fmac_f32 v0, s12, v4 :: v_dual_fmac_f32 v1, s12, v5
	v_dual_fmac_f32 v2, s12, v6 :: v_dual_fmac_f32 v3, s12, v7
	global_store_b128 v[8:9], v[0:3], off
.LBB5_23:
	s_endpgm
	.section	.rodata,"a",@progbits
	.p2align	6, 0x0
	.amdhsa_kernel _ZN9rocsparseL19gebsrmvn_4xn_kernelILj128ELj2ELj4EfEEvi20rocsparse_direction_NS_24const_host_device_scalarIT2_EEPKiS6_PKS3_S8_S4_PS3_21rocsparse_index_base_b
		.amdhsa_group_segment_fixed_size 0
		.amdhsa_private_segment_fixed_size 0
		.amdhsa_kernarg_size 72
		.amdhsa_user_sgpr_count 2
		.amdhsa_user_sgpr_dispatch_ptr 0
		.amdhsa_user_sgpr_queue_ptr 0
		.amdhsa_user_sgpr_kernarg_segment_ptr 1
		.amdhsa_user_sgpr_dispatch_id 0
		.amdhsa_user_sgpr_private_segment_size 0
		.amdhsa_wavefront_size32 1
		.amdhsa_uses_dynamic_stack 0
		.amdhsa_enable_private_segment 0
		.amdhsa_system_sgpr_workgroup_id_x 1
		.amdhsa_system_sgpr_workgroup_id_y 0
		.amdhsa_system_sgpr_workgroup_id_z 0
		.amdhsa_system_sgpr_workgroup_info 0
		.amdhsa_system_vgpr_workitem_id 0
		.amdhsa_next_free_vgpr 23
		.amdhsa_next_free_sgpr 18
		.amdhsa_reserve_vcc 1
		.amdhsa_float_round_mode_32 0
		.amdhsa_float_round_mode_16_64 0
		.amdhsa_float_denorm_mode_32 3
		.amdhsa_float_denorm_mode_16_64 3
		.amdhsa_fp16_overflow 0
		.amdhsa_workgroup_processor_mode 1
		.amdhsa_memory_ordered 1
		.amdhsa_forward_progress 1
		.amdhsa_inst_pref_size 10
		.amdhsa_round_robin_scheduling 0
		.amdhsa_exception_fp_ieee_invalid_op 0
		.amdhsa_exception_fp_denorm_src 0
		.amdhsa_exception_fp_ieee_div_zero 0
		.amdhsa_exception_fp_ieee_overflow 0
		.amdhsa_exception_fp_ieee_underflow 0
		.amdhsa_exception_fp_ieee_inexact 0
		.amdhsa_exception_int_div_zero 0
	.end_amdhsa_kernel
	.section	.text._ZN9rocsparseL19gebsrmvn_4xn_kernelILj128ELj2ELj4EfEEvi20rocsparse_direction_NS_24const_host_device_scalarIT2_EEPKiS6_PKS3_S8_S4_PS3_21rocsparse_index_base_b,"axG",@progbits,_ZN9rocsparseL19gebsrmvn_4xn_kernelILj128ELj2ELj4EfEEvi20rocsparse_direction_NS_24const_host_device_scalarIT2_EEPKiS6_PKS3_S8_S4_PS3_21rocsparse_index_base_b,comdat
.Lfunc_end5:
	.size	_ZN9rocsparseL19gebsrmvn_4xn_kernelILj128ELj2ELj4EfEEvi20rocsparse_direction_NS_24const_host_device_scalarIT2_EEPKiS6_PKS3_S8_S4_PS3_21rocsparse_index_base_b, .Lfunc_end5-_ZN9rocsparseL19gebsrmvn_4xn_kernelILj128ELj2ELj4EfEEvi20rocsparse_direction_NS_24const_host_device_scalarIT2_EEPKiS6_PKS3_S8_S4_PS3_21rocsparse_index_base_b
                                        ; -- End function
	.set _ZN9rocsparseL19gebsrmvn_4xn_kernelILj128ELj2ELj4EfEEvi20rocsparse_direction_NS_24const_host_device_scalarIT2_EEPKiS6_PKS3_S8_S4_PS3_21rocsparse_index_base_b.num_vgpr, 23
	.set _ZN9rocsparseL19gebsrmvn_4xn_kernelILj128ELj2ELj4EfEEvi20rocsparse_direction_NS_24const_host_device_scalarIT2_EEPKiS6_PKS3_S8_S4_PS3_21rocsparse_index_base_b.num_agpr, 0
	.set _ZN9rocsparseL19gebsrmvn_4xn_kernelILj128ELj2ELj4EfEEvi20rocsparse_direction_NS_24const_host_device_scalarIT2_EEPKiS6_PKS3_S8_S4_PS3_21rocsparse_index_base_b.numbered_sgpr, 18
	.set _ZN9rocsparseL19gebsrmvn_4xn_kernelILj128ELj2ELj4EfEEvi20rocsparse_direction_NS_24const_host_device_scalarIT2_EEPKiS6_PKS3_S8_S4_PS3_21rocsparse_index_base_b.num_named_barrier, 0
	.set _ZN9rocsparseL19gebsrmvn_4xn_kernelILj128ELj2ELj4EfEEvi20rocsparse_direction_NS_24const_host_device_scalarIT2_EEPKiS6_PKS3_S8_S4_PS3_21rocsparse_index_base_b.private_seg_size, 0
	.set _ZN9rocsparseL19gebsrmvn_4xn_kernelILj128ELj2ELj4EfEEvi20rocsparse_direction_NS_24const_host_device_scalarIT2_EEPKiS6_PKS3_S8_S4_PS3_21rocsparse_index_base_b.uses_vcc, 1
	.set _ZN9rocsparseL19gebsrmvn_4xn_kernelILj128ELj2ELj4EfEEvi20rocsparse_direction_NS_24const_host_device_scalarIT2_EEPKiS6_PKS3_S8_S4_PS3_21rocsparse_index_base_b.uses_flat_scratch, 0
	.set _ZN9rocsparseL19gebsrmvn_4xn_kernelILj128ELj2ELj4EfEEvi20rocsparse_direction_NS_24const_host_device_scalarIT2_EEPKiS6_PKS3_S8_S4_PS3_21rocsparse_index_base_b.has_dyn_sized_stack, 0
	.set _ZN9rocsparseL19gebsrmvn_4xn_kernelILj128ELj2ELj4EfEEvi20rocsparse_direction_NS_24const_host_device_scalarIT2_EEPKiS6_PKS3_S8_S4_PS3_21rocsparse_index_base_b.has_recursion, 0
	.set _ZN9rocsparseL19gebsrmvn_4xn_kernelILj128ELj2ELj4EfEEvi20rocsparse_direction_NS_24const_host_device_scalarIT2_EEPKiS6_PKS3_S8_S4_PS3_21rocsparse_index_base_b.has_indirect_call, 0
	.section	.AMDGPU.csdata,"",@progbits
; Kernel info:
; codeLenInByte = 1256
; TotalNumSgprs: 20
; NumVgprs: 23
; ScratchSize: 0
; MemoryBound: 0
; FloatMode: 240
; IeeeMode: 1
; LDSByteSize: 0 bytes/workgroup (compile time only)
; SGPRBlocks: 0
; VGPRBlocks: 2
; NumSGPRsForWavesPerEU: 20
; NumVGPRsForWavesPerEU: 23
; Occupancy: 16
; WaveLimiterHint : 1
; COMPUTE_PGM_RSRC2:SCRATCH_EN: 0
; COMPUTE_PGM_RSRC2:USER_SGPR: 2
; COMPUTE_PGM_RSRC2:TRAP_HANDLER: 0
; COMPUTE_PGM_RSRC2:TGID_X_EN: 1
; COMPUTE_PGM_RSRC2:TGID_Y_EN: 0
; COMPUTE_PGM_RSRC2:TGID_Z_EN: 0
; COMPUTE_PGM_RSRC2:TIDIG_COMP_CNT: 0
	.section	.text._ZN9rocsparseL19gebsrmvn_4xn_kernelILj128ELj2ELj8EfEEvi20rocsparse_direction_NS_24const_host_device_scalarIT2_EEPKiS6_PKS3_S8_S4_PS3_21rocsparse_index_base_b,"axG",@progbits,_ZN9rocsparseL19gebsrmvn_4xn_kernelILj128ELj2ELj8EfEEvi20rocsparse_direction_NS_24const_host_device_scalarIT2_EEPKiS6_PKS3_S8_S4_PS3_21rocsparse_index_base_b,comdat
	.globl	_ZN9rocsparseL19gebsrmvn_4xn_kernelILj128ELj2ELj8EfEEvi20rocsparse_direction_NS_24const_host_device_scalarIT2_EEPKiS6_PKS3_S8_S4_PS3_21rocsparse_index_base_b ; -- Begin function _ZN9rocsparseL19gebsrmvn_4xn_kernelILj128ELj2ELj8EfEEvi20rocsparse_direction_NS_24const_host_device_scalarIT2_EEPKiS6_PKS3_S8_S4_PS3_21rocsparse_index_base_b
	.p2align	8
	.type	_ZN9rocsparseL19gebsrmvn_4xn_kernelILj128ELj2ELj8EfEEvi20rocsparse_direction_NS_24const_host_device_scalarIT2_EEPKiS6_PKS3_S8_S4_PS3_21rocsparse_index_base_b,@function
_ZN9rocsparseL19gebsrmvn_4xn_kernelILj128ELj2ELj8EfEEvi20rocsparse_direction_NS_24const_host_device_scalarIT2_EEPKiS6_PKS3_S8_S4_PS3_21rocsparse_index_base_b: ; @_ZN9rocsparseL19gebsrmvn_4xn_kernelILj128ELj2ELj8EfEEvi20rocsparse_direction_NS_24const_host_device_scalarIT2_EEPKiS6_PKS3_S8_S4_PS3_21rocsparse_index_base_b
; %bb.0:
	s_clause 0x2
	s_load_b64 s[16:17], s[0:1], 0x40
	s_load_b64 s[14:15], s[0:1], 0x8
	;; [unrolled: 1-line block ×3, first 2 shown]
	s_wait_kmcnt 0x0
	s_bitcmp1_b32 s17, 0
	s_cselect_b32 s2, -1, 0
	s_delay_alu instid0(SALU_CYCLE_1)
	s_and_b32 vcc_lo, exec_lo, s2
	s_xor_b32 s2, s2, -1
	s_cbranch_vccnz .LBB6_2
; %bb.1:
	s_load_b32 s14, s[14:15], 0x0
.LBB6_2:
	s_and_not1_b32 vcc_lo, exec_lo, s2
	s_cbranch_vccnz .LBB6_4
; %bb.3:
	s_load_b32 s12, s[12:13], 0x0
.LBB6_4:
	s_wait_kmcnt 0x0
	s_cmp_eq_f32 s14, 0
	s_cselect_b32 s2, -1, 0
	s_cmp_eq_f32 s12, 1.0
	s_cselect_b32 s3, -1, 0
	s_delay_alu instid0(SALU_CYCLE_1) | instskip(NEXT) | instid1(SALU_CYCLE_1)
	s_and_b32 s2, s2, s3
	s_and_b32 vcc_lo, exec_lo, s2
	s_cbranch_vccnz .LBB6_23
; %bb.5:
	s_load_b64 s[2:3], s[0:1], 0x0
	v_lshrrev_b32_e32 v1, 3, v0
	s_delay_alu instid0(VALU_DEP_1) | instskip(SKIP_1) | instid1(VALU_DEP_1)
	v_lshl_or_b32 v4, ttmp9, 4, v1
	s_wait_kmcnt 0x0
	v_cmp_gt_i32_e32 vcc_lo, s2, v4
	s_and_saveexec_b32 s2, vcc_lo
	s_cbranch_execz .LBB6_23
; %bb.6:
	s_load_b256 s[4:11], s[0:1], 0x10
	v_ashrrev_i32_e32 v5, 31, v4
	v_and_b32_e32 v7, 7, v0
	s_cmp_lg_u32 s3, 0
	s_delay_alu instid0(VALU_DEP_2) | instskip(SKIP_1) | instid1(VALU_DEP_1)
	v_lshlrev_b64_e32 v[1:2], 2, v[4:5]
	s_wait_kmcnt 0x0
	v_add_co_u32 v1, vcc_lo, s4, v1
	s_delay_alu instid0(VALU_DEP_1) | instskip(SKIP_4) | instid1(VALU_DEP_2)
	v_add_co_ci_u32_e64 v2, null, s5, v2, vcc_lo
	global_load_b64 v[1:2], v[1:2], off
	s_wait_loadcnt 0x0
	v_subrev_nc_u32_e32 v0, s16, v1
	v_subrev_nc_u32_e32 v12, s16, v2
	v_add_nc_u32_e32 v0, v0, v7
	s_delay_alu instid0(VALU_DEP_1)
	v_cmp_lt_i32_e64 s2, v0, v12
	s_cbranch_scc0 .LBB6_12
; %bb.7:
	v_dual_mov_b32 v8, 0 :: v_dual_mov_b32 v9, 0
	v_dual_mov_b32 v10, 0 :: v_dual_mov_b32 v11, 0
	s_and_saveexec_b32 s3, s2
	s_cbranch_execz .LBB6_11
; %bb.8:
	v_dual_mov_b32 v2, 0 :: v_dual_lshlrev_b32 v1, 3, v0
	v_mov_b32_e32 v5, v0
	s_mov_b32 s4, 0
	s_delay_alu instid0(VALU_DEP_2)
	v_dual_mov_b32 v8, v2 :: v_dual_mov_b32 v9, v2
	v_dual_mov_b32 v10, v2 :: v_dual_mov_b32 v11, v2
.LBB6_9:                                ; =>This Inner Loop Header: Depth=1
	s_delay_alu instid0(VALU_DEP_3) | instskip(NEXT) | instid1(VALU_DEP_1)
	v_ashrrev_i32_e32 v6, 31, v5
	v_lshlrev_b64_e32 v[13:14], 2, v[5:6]
	s_delay_alu instid0(VALU_DEP_1) | instskip(SKIP_1) | instid1(VALU_DEP_2)
	v_add_co_u32 v13, vcc_lo, s6, v13
	s_wait_alu 0xfffd
	v_add_co_ci_u32_e64 v14, null, s7, v14, vcc_lo
	global_load_b32 v3, v[13:14], off
	v_lshlrev_b64_e32 v[13:14], 2, v[1:2]
	s_delay_alu instid0(VALU_DEP_1) | instskip(SKIP_1) | instid1(VALU_DEP_2)
	v_add_co_u32 v19, vcc_lo, s8, v13
	s_wait_alu 0xfffd
	v_add_co_ci_u32_e64 v20, null, s9, v14, vcc_lo
	global_load_b128 v[13:16], v[19:20], off offset:16
	s_wait_loadcnt 0x1
	v_subrev_nc_u32_e32 v3, s16, v3
	s_delay_alu instid0(VALU_DEP_1) | instskip(NEXT) | instid1(VALU_DEP_1)
	v_dual_mov_b32 v18, v2 :: v_dual_lshlrev_b32 v17, 1, v3
	v_lshlrev_b64_e32 v[17:18], 2, v[17:18]
	s_delay_alu instid0(VALU_DEP_1) | instskip(SKIP_1) | instid1(VALU_DEP_2)
	v_add_co_u32 v21, vcc_lo, s10, v17
	s_wait_alu 0xfffd
	v_add_co_ci_u32_e64 v22, null, s11, v18, vcc_lo
	global_load_b128 v[17:20], v[19:20], off
	global_load_b64 v[21:22], v[21:22], off
	s_wait_loadcnt 0x0
	v_fmac_f32_e32 v9, v20, v21
	v_fmac_f32_e32 v10, v19, v21
	;; [unrolled: 1-line block ×3, first 2 shown]
	s_delay_alu instid0(VALU_DEP_3) | instskip(NEXT) | instid1(VALU_DEP_3)
	v_dual_fmac_f32 v8, v17, v21 :: v_dual_fmac_f32 v9, v16, v22
	v_dual_fmac_f32 v10, v15, v22 :: v_dual_add_nc_u32 v5, 8, v5
	s_delay_alu instid0(VALU_DEP_3) | instskip(NEXT) | instid1(VALU_DEP_3)
	v_fmac_f32_e32 v11, v14, v22
	v_dual_fmac_f32 v8, v13, v22 :: v_dual_add_nc_u32 v1, 64, v1
	s_delay_alu instid0(VALU_DEP_3)
	v_cmp_ge_i32_e32 vcc_lo, v5, v12
	s_wait_alu 0xfffe
	s_or_b32 s4, vcc_lo, s4
	s_wait_alu 0xfffe
	s_and_not1_b32 exec_lo, exec_lo, s4
	s_cbranch_execnz .LBB6_9
; %bb.10:
	s_or_b32 exec_lo, exec_lo, s4
.LBB6_11:
	s_wait_alu 0xfffe
	s_or_b32 exec_lo, exec_lo, s3
	s_cbranch_execz .LBB6_13
	s_branch .LBB6_18
.LBB6_12:
                                        ; implicit-def: $vgpr8
                                        ; implicit-def: $vgpr9
                                        ; implicit-def: $vgpr10
                                        ; implicit-def: $vgpr11
.LBB6_13:
	v_dual_mov_b32 v8, 0 :: v_dual_mov_b32 v9, 0
	v_dual_mov_b32 v10, 0 :: v_dual_mov_b32 v11, 0
	s_and_saveexec_b32 s3, s2
	s_cbranch_execz .LBB6_17
; %bb.14:
	v_dual_mov_b32 v3, 0 :: v_dual_lshlrev_b32 v2, 3, v0
	s_mov_b32 s2, 0
	s_delay_alu instid0(VALU_DEP_1)
	v_dual_mov_b32 v8, v3 :: v_dual_mov_b32 v9, v3
	v_dual_mov_b32 v10, v3 :: v_dual_mov_b32 v11, v3
.LBB6_15:                               ; =>This Inner Loop Header: Depth=1
	v_ashrrev_i32_e32 v1, 31, v0
	s_delay_alu instid0(VALU_DEP_1) | instskip(NEXT) | instid1(VALU_DEP_1)
	v_lshlrev_b64_e32 v[5:6], 2, v[0:1]
	v_add_co_u32 v5, vcc_lo, s6, v5
	s_wait_alu 0xfffd
	s_delay_alu instid0(VALU_DEP_2) | instskip(SKIP_2) | instid1(VALU_DEP_1)
	v_add_co_ci_u32_e64 v6, null, s7, v6, vcc_lo
	global_load_b32 v1, v[5:6], off
	v_lshlrev_b64_e32 v[5:6], 2, v[2:3]
	v_add_co_u32 v5, vcc_lo, s8, v5
	s_wait_alu 0xfffd
	s_delay_alu instid0(VALU_DEP_2) | instskip(SKIP_3) | instid1(VALU_DEP_1)
	v_add_co_ci_u32_e64 v6, null, s9, v6, vcc_lo
	global_load_b128 v[13:16], v[5:6], off offset:16
	s_wait_loadcnt 0x1
	v_subrev_nc_u32_e32 v1, s16, v1
	v_dual_mov_b32 v18, v3 :: v_dual_lshlrev_b32 v17, 1, v1
	s_delay_alu instid0(VALU_DEP_1) | instskip(NEXT) | instid1(VALU_DEP_1)
	v_lshlrev_b64_e32 v[17:18], 2, v[17:18]
	v_add_co_u32 v21, vcc_lo, s10, v17
	s_wait_alu 0xfffd
	s_delay_alu instid0(VALU_DEP_2)
	v_add_co_ci_u32_e64 v22, null, s11, v18, vcc_lo
	global_load_b128 v[17:20], v[5:6], off
	global_load_b64 v[5:6], v[21:22], off
	v_add_nc_u32_e32 v0, 8, v0
	s_wait_loadcnt 0x0
	v_dual_fmac_f32 v11, v19, v5 :: v_dual_add_nc_u32 v2, 64, v2
	v_fmac_f32_e32 v8, v17, v5
	v_fmac_f32_e32 v9, v15, v5
	;; [unrolled: 1-line block ×3, first 2 shown]
	v_cmp_ge_i32_e32 vcc_lo, v0, v12
	v_fmac_f32_e32 v11, v20, v6
	v_fmac_f32_e32 v8, v18, v6
	;; [unrolled: 1-line block ×4, first 2 shown]
	s_wait_alu 0xfffe
	s_or_b32 s2, vcc_lo, s2
	s_wait_alu 0xfffe
	s_and_not1_b32 exec_lo, exec_lo, s2
	s_cbranch_execnz .LBB6_15
; %bb.16:
	s_or_b32 exec_lo, exec_lo, s2
.LBB6_17:
	s_wait_alu 0xfffe
	s_or_b32 exec_lo, exec_lo, s3
.LBB6_18:
	v_mbcnt_lo_u32_b32 v0, -1, 0
	s_mov_b32 s2, -1
	s_delay_alu instid0(VALU_DEP_1) | instskip(SKIP_1) | instid1(VALU_DEP_2)
	v_xor_b32_e32 v1, 4, v0
	v_xor_b32_e32 v6, 2, v0
	v_cmp_gt_i32_e32 vcc_lo, 32, v1
	s_wait_alu 0xfffd
	v_cndmask_b32_e32 v1, v0, v1, vcc_lo
	s_delay_alu instid0(VALU_DEP_3) | instskip(SKIP_2) | instid1(VALU_DEP_1)
	v_cmp_gt_i32_e32 vcc_lo, 32, v6
	s_wait_alu 0xfffd
	v_cndmask_b32_e32 v6, v0, v6, vcc_lo
	v_lshlrev_b32_e32 v6, 2, v6
	v_lshlrev_b32_e32 v1, 2, v1
	ds_bpermute_b32 v2, v1, v8
	s_wait_dscnt 0x0
	v_add_f32_e32 v2, v8, v2
	ds_bpermute_b32 v3, v1, v11
	ds_bpermute_b32 v5, v1, v10
	;; [unrolled: 1-line block ×3, first 2 shown]
	s_wait_dscnt 0x2
	v_add_f32_e32 v3, v11, v3
	v_xor_b32_e32 v11, 1, v0
	s_delay_alu instid0(VALU_DEP_1)
	v_cmp_gt_i32_e32 vcc_lo, 32, v11
	s_wait_dscnt 0x1
	s_wait_alu 0xfffd
	v_dual_add_f32 v5, v10, v5 :: v_dual_cndmask_b32 v0, v0, v11
	s_wait_dscnt 0x0
	v_add_f32_e32 v8, v9, v1
	ds_bpermute_b32 v1, v6, v2
	ds_bpermute_b32 v9, v6, v3
	ds_bpermute_b32 v10, v6, v5
	v_lshlrev_b32_e32 v11, 2, v0
	ds_bpermute_b32 v6, v6, v8
	v_cmp_eq_u32_e32 vcc_lo, 7, v7
	s_wait_dscnt 0x3
	v_add_f32_e32 v0, v2, v1
	s_wait_dscnt 0x1
	v_dual_add_f32 v1, v3, v9 :: v_dual_add_f32 v2, v5, v10
	s_wait_dscnt 0x0
	v_add_f32_e32 v3, v8, v6
	ds_bpermute_b32 v5, v11, v0
	ds_bpermute_b32 v6, v11, v1
	;; [unrolled: 1-line block ×4, first 2 shown]
	s_and_b32 exec_lo, exec_lo, vcc_lo
	s_cbranch_execz .LBB6_23
; %bb.19:
	s_load_b64 s[0:1], s[0:1], 0x38
	s_wait_dscnt 0x2
	v_dual_add_f32 v0, v0, v5 :: v_dual_add_f32 v1, v1, v6
	s_wait_dscnt 0x0
	v_dual_add_f32 v2, v2, v8 :: v_dual_add_f32 v3, v3, v9
	v_lshlrev_b32_e32 v4, 2, v4
	s_delay_alu instid0(VALU_DEP_3) | instskip(NEXT) | instid1(VALU_DEP_3)
	v_dual_mul_f32 v0, s14, v0 :: v_dual_mul_f32 v1, s14, v1
	v_dual_mul_f32 v2, s14, v2 :: v_dual_mul_f32 v3, s14, v3
	s_cmp_eq_f32 s12, 0
	s_cbranch_scc0 .LBB6_21
; %bb.20:
	v_ashrrev_i32_e32 v5, 31, v4
	s_mov_b32 s2, 0
	s_delay_alu instid0(VALU_DEP_1) | instskip(SKIP_1) | instid1(VALU_DEP_1)
	v_lshlrev_b64_e32 v[5:6], 2, v[4:5]
	s_wait_kmcnt 0x0
	v_add_co_u32 v5, vcc_lo, s0, v5
	s_wait_alu 0xfffd
	s_delay_alu instid0(VALU_DEP_2)
	v_add_co_ci_u32_e64 v6, null, s1, v6, vcc_lo
	global_store_b128 v[5:6], v[0:3], off
.LBB6_21:
	s_wait_alu 0xfffe
	s_and_not1_b32 vcc_lo, exec_lo, s2
	s_wait_alu 0xfffe
	s_cbranch_vccnz .LBB6_23
; %bb.22:
	v_ashrrev_i32_e32 v5, 31, v4
	s_delay_alu instid0(VALU_DEP_1) | instskip(SKIP_1) | instid1(VALU_DEP_1)
	v_lshlrev_b64_e32 v[4:5], 2, v[4:5]
	s_wait_kmcnt 0x0
	v_add_co_u32 v8, vcc_lo, s0, v4
	s_wait_alu 0xfffd
	s_delay_alu instid0(VALU_DEP_2)
	v_add_co_ci_u32_e64 v9, null, s1, v5, vcc_lo
	global_load_b128 v[4:7], v[8:9], off
	s_wait_loadcnt 0x0
	v_dual_fmac_f32 v0, s12, v4 :: v_dual_fmac_f32 v1, s12, v5
	v_dual_fmac_f32 v2, s12, v6 :: v_dual_fmac_f32 v3, s12, v7
	global_store_b128 v[8:9], v[0:3], off
.LBB6_23:
	s_endpgm
	.section	.rodata,"a",@progbits
	.p2align	6, 0x0
	.amdhsa_kernel _ZN9rocsparseL19gebsrmvn_4xn_kernelILj128ELj2ELj8EfEEvi20rocsparse_direction_NS_24const_host_device_scalarIT2_EEPKiS6_PKS3_S8_S4_PS3_21rocsparse_index_base_b
		.amdhsa_group_segment_fixed_size 0
		.amdhsa_private_segment_fixed_size 0
		.amdhsa_kernarg_size 72
		.amdhsa_user_sgpr_count 2
		.amdhsa_user_sgpr_dispatch_ptr 0
		.amdhsa_user_sgpr_queue_ptr 0
		.amdhsa_user_sgpr_kernarg_segment_ptr 1
		.amdhsa_user_sgpr_dispatch_id 0
		.amdhsa_user_sgpr_private_segment_size 0
		.amdhsa_wavefront_size32 1
		.amdhsa_uses_dynamic_stack 0
		.amdhsa_enable_private_segment 0
		.amdhsa_system_sgpr_workgroup_id_x 1
		.amdhsa_system_sgpr_workgroup_id_y 0
		.amdhsa_system_sgpr_workgroup_id_z 0
		.amdhsa_system_sgpr_workgroup_info 0
		.amdhsa_system_vgpr_workitem_id 0
		.amdhsa_next_free_vgpr 23
		.amdhsa_next_free_sgpr 18
		.amdhsa_reserve_vcc 1
		.amdhsa_float_round_mode_32 0
		.amdhsa_float_round_mode_16_64 0
		.amdhsa_float_denorm_mode_32 3
		.amdhsa_float_denorm_mode_16_64 3
		.amdhsa_fp16_overflow 0
		.amdhsa_workgroup_processor_mode 1
		.amdhsa_memory_ordered 1
		.amdhsa_forward_progress 1
		.amdhsa_inst_pref_size 11
		.amdhsa_round_robin_scheduling 0
		.amdhsa_exception_fp_ieee_invalid_op 0
		.amdhsa_exception_fp_denorm_src 0
		.amdhsa_exception_fp_ieee_div_zero 0
		.amdhsa_exception_fp_ieee_overflow 0
		.amdhsa_exception_fp_ieee_underflow 0
		.amdhsa_exception_fp_ieee_inexact 0
		.amdhsa_exception_int_div_zero 0
	.end_amdhsa_kernel
	.section	.text._ZN9rocsparseL19gebsrmvn_4xn_kernelILj128ELj2ELj8EfEEvi20rocsparse_direction_NS_24const_host_device_scalarIT2_EEPKiS6_PKS3_S8_S4_PS3_21rocsparse_index_base_b,"axG",@progbits,_ZN9rocsparseL19gebsrmvn_4xn_kernelILj128ELj2ELj8EfEEvi20rocsparse_direction_NS_24const_host_device_scalarIT2_EEPKiS6_PKS3_S8_S4_PS3_21rocsparse_index_base_b,comdat
.Lfunc_end6:
	.size	_ZN9rocsparseL19gebsrmvn_4xn_kernelILj128ELj2ELj8EfEEvi20rocsparse_direction_NS_24const_host_device_scalarIT2_EEPKiS6_PKS3_S8_S4_PS3_21rocsparse_index_base_b, .Lfunc_end6-_ZN9rocsparseL19gebsrmvn_4xn_kernelILj128ELj2ELj8EfEEvi20rocsparse_direction_NS_24const_host_device_scalarIT2_EEPKiS6_PKS3_S8_S4_PS3_21rocsparse_index_base_b
                                        ; -- End function
	.set _ZN9rocsparseL19gebsrmvn_4xn_kernelILj128ELj2ELj8EfEEvi20rocsparse_direction_NS_24const_host_device_scalarIT2_EEPKiS6_PKS3_S8_S4_PS3_21rocsparse_index_base_b.num_vgpr, 23
	.set _ZN9rocsparseL19gebsrmvn_4xn_kernelILj128ELj2ELj8EfEEvi20rocsparse_direction_NS_24const_host_device_scalarIT2_EEPKiS6_PKS3_S8_S4_PS3_21rocsparse_index_base_b.num_agpr, 0
	.set _ZN9rocsparseL19gebsrmvn_4xn_kernelILj128ELj2ELj8EfEEvi20rocsparse_direction_NS_24const_host_device_scalarIT2_EEPKiS6_PKS3_S8_S4_PS3_21rocsparse_index_base_b.numbered_sgpr, 18
	.set _ZN9rocsparseL19gebsrmvn_4xn_kernelILj128ELj2ELj8EfEEvi20rocsparse_direction_NS_24const_host_device_scalarIT2_EEPKiS6_PKS3_S8_S4_PS3_21rocsparse_index_base_b.num_named_barrier, 0
	.set _ZN9rocsparseL19gebsrmvn_4xn_kernelILj128ELj2ELj8EfEEvi20rocsparse_direction_NS_24const_host_device_scalarIT2_EEPKiS6_PKS3_S8_S4_PS3_21rocsparse_index_base_b.private_seg_size, 0
	.set _ZN9rocsparseL19gebsrmvn_4xn_kernelILj128ELj2ELj8EfEEvi20rocsparse_direction_NS_24const_host_device_scalarIT2_EEPKiS6_PKS3_S8_S4_PS3_21rocsparse_index_base_b.uses_vcc, 1
	.set _ZN9rocsparseL19gebsrmvn_4xn_kernelILj128ELj2ELj8EfEEvi20rocsparse_direction_NS_24const_host_device_scalarIT2_EEPKiS6_PKS3_S8_S4_PS3_21rocsparse_index_base_b.uses_flat_scratch, 0
	.set _ZN9rocsparseL19gebsrmvn_4xn_kernelILj128ELj2ELj8EfEEvi20rocsparse_direction_NS_24const_host_device_scalarIT2_EEPKiS6_PKS3_S8_S4_PS3_21rocsparse_index_base_b.has_dyn_sized_stack, 0
	.set _ZN9rocsparseL19gebsrmvn_4xn_kernelILj128ELj2ELj8EfEEvi20rocsparse_direction_NS_24const_host_device_scalarIT2_EEPKiS6_PKS3_S8_S4_PS3_21rocsparse_index_base_b.has_recursion, 0
	.set _ZN9rocsparseL19gebsrmvn_4xn_kernelILj128ELj2ELj8EfEEvi20rocsparse_direction_NS_24const_host_device_scalarIT2_EEPKiS6_PKS3_S8_S4_PS3_21rocsparse_index_base_b.has_indirect_call, 0
	.section	.AMDGPU.csdata,"",@progbits
; Kernel info:
; codeLenInByte = 1344
; TotalNumSgprs: 20
; NumVgprs: 23
; ScratchSize: 0
; MemoryBound: 0
; FloatMode: 240
; IeeeMode: 1
; LDSByteSize: 0 bytes/workgroup (compile time only)
; SGPRBlocks: 0
; VGPRBlocks: 2
; NumSGPRsForWavesPerEU: 20
; NumVGPRsForWavesPerEU: 23
; Occupancy: 16
; WaveLimiterHint : 1
; COMPUTE_PGM_RSRC2:SCRATCH_EN: 0
; COMPUTE_PGM_RSRC2:USER_SGPR: 2
; COMPUTE_PGM_RSRC2:TRAP_HANDLER: 0
; COMPUTE_PGM_RSRC2:TGID_X_EN: 1
; COMPUTE_PGM_RSRC2:TGID_Y_EN: 0
; COMPUTE_PGM_RSRC2:TGID_Z_EN: 0
; COMPUTE_PGM_RSRC2:TIDIG_COMP_CNT: 0
	.section	.text._ZN9rocsparseL19gebsrmvn_4xn_kernelILj128ELj2ELj16EfEEvi20rocsparse_direction_NS_24const_host_device_scalarIT2_EEPKiS6_PKS3_S8_S4_PS3_21rocsparse_index_base_b,"axG",@progbits,_ZN9rocsparseL19gebsrmvn_4xn_kernelILj128ELj2ELj16EfEEvi20rocsparse_direction_NS_24const_host_device_scalarIT2_EEPKiS6_PKS3_S8_S4_PS3_21rocsparse_index_base_b,comdat
	.globl	_ZN9rocsparseL19gebsrmvn_4xn_kernelILj128ELj2ELj16EfEEvi20rocsparse_direction_NS_24const_host_device_scalarIT2_EEPKiS6_PKS3_S8_S4_PS3_21rocsparse_index_base_b ; -- Begin function _ZN9rocsparseL19gebsrmvn_4xn_kernelILj128ELj2ELj16EfEEvi20rocsparse_direction_NS_24const_host_device_scalarIT2_EEPKiS6_PKS3_S8_S4_PS3_21rocsparse_index_base_b
	.p2align	8
	.type	_ZN9rocsparseL19gebsrmvn_4xn_kernelILj128ELj2ELj16EfEEvi20rocsparse_direction_NS_24const_host_device_scalarIT2_EEPKiS6_PKS3_S8_S4_PS3_21rocsparse_index_base_b,@function
_ZN9rocsparseL19gebsrmvn_4xn_kernelILj128ELj2ELj16EfEEvi20rocsparse_direction_NS_24const_host_device_scalarIT2_EEPKiS6_PKS3_S8_S4_PS3_21rocsparse_index_base_b: ; @_ZN9rocsparseL19gebsrmvn_4xn_kernelILj128ELj2ELj16EfEEvi20rocsparse_direction_NS_24const_host_device_scalarIT2_EEPKiS6_PKS3_S8_S4_PS3_21rocsparse_index_base_b
; %bb.0:
	s_clause 0x2
	s_load_b64 s[16:17], s[0:1], 0x40
	s_load_b64 s[14:15], s[0:1], 0x8
	;; [unrolled: 1-line block ×3, first 2 shown]
	s_wait_kmcnt 0x0
	s_bitcmp1_b32 s17, 0
	s_cselect_b32 s2, -1, 0
	s_delay_alu instid0(SALU_CYCLE_1)
	s_and_b32 vcc_lo, exec_lo, s2
	s_xor_b32 s2, s2, -1
	s_cbranch_vccnz .LBB7_2
; %bb.1:
	s_load_b32 s14, s[14:15], 0x0
.LBB7_2:
	s_and_not1_b32 vcc_lo, exec_lo, s2
	s_cbranch_vccnz .LBB7_4
; %bb.3:
	s_load_b32 s12, s[12:13], 0x0
.LBB7_4:
	s_wait_kmcnt 0x0
	s_cmp_eq_f32 s14, 0
	s_cselect_b32 s2, -1, 0
	s_cmp_eq_f32 s12, 1.0
	s_cselect_b32 s3, -1, 0
	s_delay_alu instid0(SALU_CYCLE_1) | instskip(NEXT) | instid1(SALU_CYCLE_1)
	s_and_b32 s2, s2, s3
	s_and_b32 vcc_lo, exec_lo, s2
	s_cbranch_vccnz .LBB7_23
; %bb.5:
	s_load_b64 s[2:3], s[0:1], 0x0
	v_lshrrev_b32_e32 v1, 4, v0
	s_delay_alu instid0(VALU_DEP_1) | instskip(SKIP_1) | instid1(VALU_DEP_1)
	v_lshl_or_b32 v4, ttmp9, 3, v1
	s_wait_kmcnt 0x0
	v_cmp_gt_i32_e32 vcc_lo, s2, v4
	s_and_saveexec_b32 s2, vcc_lo
	s_cbranch_execz .LBB7_23
; %bb.6:
	s_load_b256 s[4:11], s[0:1], 0x10
	v_ashrrev_i32_e32 v5, 31, v4
	v_and_b32_e32 v7, 15, v0
	s_cmp_lg_u32 s3, 0
	s_delay_alu instid0(VALU_DEP_2) | instskip(SKIP_1) | instid1(VALU_DEP_1)
	v_lshlrev_b64_e32 v[1:2], 2, v[4:5]
	s_wait_kmcnt 0x0
	v_add_co_u32 v1, vcc_lo, s4, v1
	s_delay_alu instid0(VALU_DEP_1) | instskip(SKIP_4) | instid1(VALU_DEP_2)
	v_add_co_ci_u32_e64 v2, null, s5, v2, vcc_lo
	global_load_b64 v[1:2], v[1:2], off
	s_wait_loadcnt 0x0
	v_subrev_nc_u32_e32 v0, s16, v1
	v_subrev_nc_u32_e32 v12, s16, v2
	v_add_nc_u32_e32 v0, v0, v7
	s_delay_alu instid0(VALU_DEP_1)
	v_cmp_lt_i32_e64 s2, v0, v12
	s_cbranch_scc0 .LBB7_12
; %bb.7:
	v_dual_mov_b32 v8, 0 :: v_dual_mov_b32 v9, 0
	v_dual_mov_b32 v10, 0 :: v_dual_mov_b32 v11, 0
	s_and_saveexec_b32 s3, s2
	s_cbranch_execz .LBB7_11
; %bb.8:
	v_dual_mov_b32 v2, 0 :: v_dual_lshlrev_b32 v1, 3, v0
	v_mov_b32_e32 v5, v0
	s_mov_b32 s4, 0
	s_delay_alu instid0(VALU_DEP_2)
	v_dual_mov_b32 v8, v2 :: v_dual_mov_b32 v9, v2
	v_dual_mov_b32 v10, v2 :: v_dual_mov_b32 v11, v2
.LBB7_9:                                ; =>This Inner Loop Header: Depth=1
	s_delay_alu instid0(VALU_DEP_3) | instskip(NEXT) | instid1(VALU_DEP_1)
	v_ashrrev_i32_e32 v6, 31, v5
	v_lshlrev_b64_e32 v[13:14], 2, v[5:6]
	s_delay_alu instid0(VALU_DEP_1) | instskip(SKIP_1) | instid1(VALU_DEP_2)
	v_add_co_u32 v13, vcc_lo, s6, v13
	s_wait_alu 0xfffd
	v_add_co_ci_u32_e64 v14, null, s7, v14, vcc_lo
	global_load_b32 v3, v[13:14], off
	v_lshlrev_b64_e32 v[13:14], 2, v[1:2]
	s_delay_alu instid0(VALU_DEP_1) | instskip(SKIP_1) | instid1(VALU_DEP_2)
	v_add_co_u32 v19, vcc_lo, s8, v13
	s_wait_alu 0xfffd
	v_add_co_ci_u32_e64 v20, null, s9, v14, vcc_lo
	global_load_b128 v[13:16], v[19:20], off offset:16
	s_wait_loadcnt 0x1
	v_subrev_nc_u32_e32 v3, s16, v3
	s_delay_alu instid0(VALU_DEP_1) | instskip(NEXT) | instid1(VALU_DEP_1)
	v_dual_mov_b32 v18, v2 :: v_dual_lshlrev_b32 v17, 1, v3
	v_lshlrev_b64_e32 v[17:18], 2, v[17:18]
	s_delay_alu instid0(VALU_DEP_1) | instskip(SKIP_1) | instid1(VALU_DEP_2)
	v_add_co_u32 v21, vcc_lo, s10, v17
	s_wait_alu 0xfffd
	v_add_co_ci_u32_e64 v22, null, s11, v18, vcc_lo
	global_load_b128 v[17:20], v[19:20], off
	global_load_b64 v[21:22], v[21:22], off
	s_wait_loadcnt 0x0
	v_fmac_f32_e32 v9, v20, v21
	v_fmac_f32_e32 v10, v19, v21
	;; [unrolled: 1-line block ×3, first 2 shown]
	s_delay_alu instid0(VALU_DEP_3) | instskip(NEXT) | instid1(VALU_DEP_3)
	v_dual_fmac_f32 v8, v17, v21 :: v_dual_fmac_f32 v9, v16, v22
	v_dual_fmac_f32 v10, v15, v22 :: v_dual_add_nc_u32 v5, 16, v5
	s_delay_alu instid0(VALU_DEP_3) | instskip(NEXT) | instid1(VALU_DEP_3)
	v_fmac_f32_e32 v11, v14, v22
	v_dual_fmac_f32 v8, v13, v22 :: v_dual_add_nc_u32 v1, 0x80, v1
	s_delay_alu instid0(VALU_DEP_3)
	v_cmp_ge_i32_e32 vcc_lo, v5, v12
	s_wait_alu 0xfffe
	s_or_b32 s4, vcc_lo, s4
	s_wait_alu 0xfffe
	s_and_not1_b32 exec_lo, exec_lo, s4
	s_cbranch_execnz .LBB7_9
; %bb.10:
	s_or_b32 exec_lo, exec_lo, s4
.LBB7_11:
	s_wait_alu 0xfffe
	s_or_b32 exec_lo, exec_lo, s3
	s_cbranch_execz .LBB7_13
	s_branch .LBB7_18
.LBB7_12:
                                        ; implicit-def: $vgpr8
                                        ; implicit-def: $vgpr9
                                        ; implicit-def: $vgpr10
                                        ; implicit-def: $vgpr11
.LBB7_13:
	v_dual_mov_b32 v8, 0 :: v_dual_mov_b32 v9, 0
	v_dual_mov_b32 v10, 0 :: v_dual_mov_b32 v11, 0
	s_and_saveexec_b32 s3, s2
	s_cbranch_execz .LBB7_17
; %bb.14:
	v_dual_mov_b32 v3, 0 :: v_dual_lshlrev_b32 v2, 3, v0
	s_mov_b32 s2, 0
	s_delay_alu instid0(VALU_DEP_1)
	v_dual_mov_b32 v8, v3 :: v_dual_mov_b32 v9, v3
	v_dual_mov_b32 v10, v3 :: v_dual_mov_b32 v11, v3
.LBB7_15:                               ; =>This Inner Loop Header: Depth=1
	v_ashrrev_i32_e32 v1, 31, v0
	s_delay_alu instid0(VALU_DEP_1) | instskip(NEXT) | instid1(VALU_DEP_1)
	v_lshlrev_b64_e32 v[5:6], 2, v[0:1]
	v_add_co_u32 v5, vcc_lo, s6, v5
	s_wait_alu 0xfffd
	s_delay_alu instid0(VALU_DEP_2) | instskip(SKIP_2) | instid1(VALU_DEP_1)
	v_add_co_ci_u32_e64 v6, null, s7, v6, vcc_lo
	global_load_b32 v1, v[5:6], off
	v_lshlrev_b64_e32 v[5:6], 2, v[2:3]
	v_add_co_u32 v5, vcc_lo, s8, v5
	s_wait_alu 0xfffd
	s_delay_alu instid0(VALU_DEP_2) | instskip(SKIP_3) | instid1(VALU_DEP_1)
	v_add_co_ci_u32_e64 v6, null, s9, v6, vcc_lo
	global_load_b128 v[13:16], v[5:6], off offset:16
	s_wait_loadcnt 0x1
	v_subrev_nc_u32_e32 v1, s16, v1
	v_dual_mov_b32 v18, v3 :: v_dual_lshlrev_b32 v17, 1, v1
	s_delay_alu instid0(VALU_DEP_1) | instskip(NEXT) | instid1(VALU_DEP_1)
	v_lshlrev_b64_e32 v[17:18], 2, v[17:18]
	v_add_co_u32 v21, vcc_lo, s10, v17
	s_wait_alu 0xfffd
	s_delay_alu instid0(VALU_DEP_2)
	v_add_co_ci_u32_e64 v22, null, s11, v18, vcc_lo
	global_load_b128 v[17:20], v[5:6], off
	global_load_b64 v[5:6], v[21:22], off
	v_add_nc_u32_e32 v0, 16, v0
	s_wait_loadcnt 0x0
	v_dual_fmac_f32 v11, v19, v5 :: v_dual_add_nc_u32 v2, 0x80, v2
	v_fmac_f32_e32 v8, v17, v5
	v_fmac_f32_e32 v9, v15, v5
	;; [unrolled: 1-line block ×3, first 2 shown]
	v_cmp_ge_i32_e32 vcc_lo, v0, v12
	v_fmac_f32_e32 v11, v20, v6
	v_fmac_f32_e32 v8, v18, v6
	;; [unrolled: 1-line block ×4, first 2 shown]
	s_wait_alu 0xfffe
	s_or_b32 s2, vcc_lo, s2
	s_wait_alu 0xfffe
	s_and_not1_b32 exec_lo, exec_lo, s2
	s_cbranch_execnz .LBB7_15
; %bb.16:
	s_or_b32 exec_lo, exec_lo, s2
.LBB7_17:
	s_wait_alu 0xfffe
	s_or_b32 exec_lo, exec_lo, s3
.LBB7_18:
	v_mbcnt_lo_u32_b32 v0, -1, 0
	s_mov_b32 s2, -1
	s_delay_alu instid0(VALU_DEP_1) | instskip(SKIP_1) | instid1(VALU_DEP_2)
	v_xor_b32_e32 v1, 8, v0
	v_xor_b32_e32 v6, 4, v0
	v_cmp_gt_i32_e32 vcc_lo, 32, v1
	s_wait_alu 0xfffd
	v_cndmask_b32_e32 v1, v0, v1, vcc_lo
	s_delay_alu instid0(VALU_DEP_3) | instskip(SKIP_2) | instid1(VALU_DEP_1)
	v_cmp_gt_i32_e32 vcc_lo, 32, v6
	s_wait_alu 0xfffd
	v_cndmask_b32_e32 v6, v0, v6, vcc_lo
	v_lshlrev_b32_e32 v6, 2, v6
	v_lshlrev_b32_e32 v1, 2, v1
	ds_bpermute_b32 v2, v1, v8
	s_wait_dscnt 0x0
	v_add_f32_e32 v2, v8, v2
	ds_bpermute_b32 v3, v1, v11
	ds_bpermute_b32 v5, v1, v10
	;; [unrolled: 1-line block ×4, first 2 shown]
	s_wait_dscnt 0x3
	v_add_f32_e32 v3, v11, v3
	v_xor_b32_e32 v11, 2, v0
	s_wait_dscnt 0x0
	v_dual_add_f32 v1, v9, v1 :: v_dual_add_f32 v2, v2, v8
	v_add_f32_e32 v5, v10, v5
	ds_bpermute_b32 v9, v6, v3
	v_cmp_gt_i32_e32 vcc_lo, 32, v11
	ds_bpermute_b32 v10, v6, v5
	ds_bpermute_b32 v6, v6, v1
	s_wait_alu 0xfffd
	v_cndmask_b32_e32 v11, v0, v11, vcc_lo
	s_wait_dscnt 0x0
	v_dual_add_f32 v3, v3, v9 :: v_dual_add_f32 v6, v1, v6
	v_add_f32_e32 v5, v5, v10
	s_delay_alu instid0(VALU_DEP_3)
	v_lshlrev_b32_e32 v11, 2, v11
	ds_bpermute_b32 v1, v11, v2
	ds_bpermute_b32 v8, v11, v3
	;; [unrolled: 1-line block ×4, first 2 shown]
	v_xor_b32_e32 v11, 1, v0
	s_delay_alu instid0(VALU_DEP_1) | instskip(SKIP_4) | instid1(VALU_DEP_2)
	v_cmp_gt_i32_e32 vcc_lo, 32, v11
	s_wait_alu 0xfffd
	v_cndmask_b32_e32 v0, v0, v11, vcc_lo
	v_cmp_eq_u32_e32 vcc_lo, 15, v7
	s_wait_dscnt 0x3
	v_dual_add_f32 v0, v2, v1 :: v_dual_lshlrev_b32 v11, 2, v0
	s_wait_dscnt 0x1
	v_dual_add_f32 v1, v3, v8 :: v_dual_add_f32 v2, v5, v9
	s_wait_dscnt 0x0
	v_add_f32_e32 v3, v6, v10
	ds_bpermute_b32 v5, v11, v0
	ds_bpermute_b32 v6, v11, v1
	;; [unrolled: 1-line block ×4, first 2 shown]
	s_and_b32 exec_lo, exec_lo, vcc_lo
	s_cbranch_execz .LBB7_23
; %bb.19:
	s_load_b64 s[0:1], s[0:1], 0x38
	s_wait_dscnt 0x2
	v_dual_add_f32 v0, v0, v5 :: v_dual_add_f32 v1, v1, v6
	s_wait_dscnt 0x0
	v_dual_add_f32 v2, v2, v8 :: v_dual_add_f32 v3, v3, v9
	v_lshlrev_b32_e32 v4, 2, v4
	s_delay_alu instid0(VALU_DEP_3) | instskip(NEXT) | instid1(VALU_DEP_3)
	v_dual_mul_f32 v0, s14, v0 :: v_dual_mul_f32 v1, s14, v1
	v_dual_mul_f32 v2, s14, v2 :: v_dual_mul_f32 v3, s14, v3
	s_cmp_eq_f32 s12, 0
	s_cbranch_scc0 .LBB7_21
; %bb.20:
	v_ashrrev_i32_e32 v5, 31, v4
	s_mov_b32 s2, 0
	s_delay_alu instid0(VALU_DEP_1) | instskip(SKIP_1) | instid1(VALU_DEP_1)
	v_lshlrev_b64_e32 v[5:6], 2, v[4:5]
	s_wait_kmcnt 0x0
	v_add_co_u32 v5, vcc_lo, s0, v5
	s_wait_alu 0xfffd
	s_delay_alu instid0(VALU_DEP_2)
	v_add_co_ci_u32_e64 v6, null, s1, v6, vcc_lo
	global_store_b128 v[5:6], v[0:3], off
.LBB7_21:
	s_wait_alu 0xfffe
	s_and_not1_b32 vcc_lo, exec_lo, s2
	s_wait_alu 0xfffe
	s_cbranch_vccnz .LBB7_23
; %bb.22:
	v_ashrrev_i32_e32 v5, 31, v4
	s_delay_alu instid0(VALU_DEP_1) | instskip(SKIP_1) | instid1(VALU_DEP_1)
	v_lshlrev_b64_e32 v[4:5], 2, v[4:5]
	s_wait_kmcnt 0x0
	v_add_co_u32 v8, vcc_lo, s0, v4
	s_wait_alu 0xfffd
	s_delay_alu instid0(VALU_DEP_2)
	v_add_co_ci_u32_e64 v9, null, s1, v5, vcc_lo
	global_load_b128 v[4:7], v[8:9], off
	s_wait_loadcnt 0x0
	v_dual_fmac_f32 v0, s12, v4 :: v_dual_fmac_f32 v1, s12, v5
	v_dual_fmac_f32 v2, s12, v6 :: v_dual_fmac_f32 v3, s12, v7
	global_store_b128 v[8:9], v[0:3], off
.LBB7_23:
	s_endpgm
	.section	.rodata,"a",@progbits
	.p2align	6, 0x0
	.amdhsa_kernel _ZN9rocsparseL19gebsrmvn_4xn_kernelILj128ELj2ELj16EfEEvi20rocsparse_direction_NS_24const_host_device_scalarIT2_EEPKiS6_PKS3_S8_S4_PS3_21rocsparse_index_base_b
		.amdhsa_group_segment_fixed_size 0
		.amdhsa_private_segment_fixed_size 0
		.amdhsa_kernarg_size 72
		.amdhsa_user_sgpr_count 2
		.amdhsa_user_sgpr_dispatch_ptr 0
		.amdhsa_user_sgpr_queue_ptr 0
		.amdhsa_user_sgpr_kernarg_segment_ptr 1
		.amdhsa_user_sgpr_dispatch_id 0
		.amdhsa_user_sgpr_private_segment_size 0
		.amdhsa_wavefront_size32 1
		.amdhsa_uses_dynamic_stack 0
		.amdhsa_enable_private_segment 0
		.amdhsa_system_sgpr_workgroup_id_x 1
		.amdhsa_system_sgpr_workgroup_id_y 0
		.amdhsa_system_sgpr_workgroup_id_z 0
		.amdhsa_system_sgpr_workgroup_info 0
		.amdhsa_system_vgpr_workitem_id 0
		.amdhsa_next_free_vgpr 23
		.amdhsa_next_free_sgpr 18
		.amdhsa_reserve_vcc 1
		.amdhsa_float_round_mode_32 0
		.amdhsa_float_round_mode_16_64 0
		.amdhsa_float_denorm_mode_32 3
		.amdhsa_float_denorm_mode_16_64 3
		.amdhsa_fp16_overflow 0
		.amdhsa_workgroup_processor_mode 1
		.amdhsa_memory_ordered 1
		.amdhsa_forward_progress 1
		.amdhsa_inst_pref_size 12
		.amdhsa_round_robin_scheduling 0
		.amdhsa_exception_fp_ieee_invalid_op 0
		.amdhsa_exception_fp_denorm_src 0
		.amdhsa_exception_fp_ieee_div_zero 0
		.amdhsa_exception_fp_ieee_overflow 0
		.amdhsa_exception_fp_ieee_underflow 0
		.amdhsa_exception_fp_ieee_inexact 0
		.amdhsa_exception_int_div_zero 0
	.end_amdhsa_kernel
	.section	.text._ZN9rocsparseL19gebsrmvn_4xn_kernelILj128ELj2ELj16EfEEvi20rocsparse_direction_NS_24const_host_device_scalarIT2_EEPKiS6_PKS3_S8_S4_PS3_21rocsparse_index_base_b,"axG",@progbits,_ZN9rocsparseL19gebsrmvn_4xn_kernelILj128ELj2ELj16EfEEvi20rocsparse_direction_NS_24const_host_device_scalarIT2_EEPKiS6_PKS3_S8_S4_PS3_21rocsparse_index_base_b,comdat
.Lfunc_end7:
	.size	_ZN9rocsparseL19gebsrmvn_4xn_kernelILj128ELj2ELj16EfEEvi20rocsparse_direction_NS_24const_host_device_scalarIT2_EEPKiS6_PKS3_S8_S4_PS3_21rocsparse_index_base_b, .Lfunc_end7-_ZN9rocsparseL19gebsrmvn_4xn_kernelILj128ELj2ELj16EfEEvi20rocsparse_direction_NS_24const_host_device_scalarIT2_EEPKiS6_PKS3_S8_S4_PS3_21rocsparse_index_base_b
                                        ; -- End function
	.set _ZN9rocsparseL19gebsrmvn_4xn_kernelILj128ELj2ELj16EfEEvi20rocsparse_direction_NS_24const_host_device_scalarIT2_EEPKiS6_PKS3_S8_S4_PS3_21rocsparse_index_base_b.num_vgpr, 23
	.set _ZN9rocsparseL19gebsrmvn_4xn_kernelILj128ELj2ELj16EfEEvi20rocsparse_direction_NS_24const_host_device_scalarIT2_EEPKiS6_PKS3_S8_S4_PS3_21rocsparse_index_base_b.num_agpr, 0
	.set _ZN9rocsparseL19gebsrmvn_4xn_kernelILj128ELj2ELj16EfEEvi20rocsparse_direction_NS_24const_host_device_scalarIT2_EEPKiS6_PKS3_S8_S4_PS3_21rocsparse_index_base_b.numbered_sgpr, 18
	.set _ZN9rocsparseL19gebsrmvn_4xn_kernelILj128ELj2ELj16EfEEvi20rocsparse_direction_NS_24const_host_device_scalarIT2_EEPKiS6_PKS3_S8_S4_PS3_21rocsparse_index_base_b.num_named_barrier, 0
	.set _ZN9rocsparseL19gebsrmvn_4xn_kernelILj128ELj2ELj16EfEEvi20rocsparse_direction_NS_24const_host_device_scalarIT2_EEPKiS6_PKS3_S8_S4_PS3_21rocsparse_index_base_b.private_seg_size, 0
	.set _ZN9rocsparseL19gebsrmvn_4xn_kernelILj128ELj2ELj16EfEEvi20rocsparse_direction_NS_24const_host_device_scalarIT2_EEPKiS6_PKS3_S8_S4_PS3_21rocsparse_index_base_b.uses_vcc, 1
	.set _ZN9rocsparseL19gebsrmvn_4xn_kernelILj128ELj2ELj16EfEEvi20rocsparse_direction_NS_24const_host_device_scalarIT2_EEPKiS6_PKS3_S8_S4_PS3_21rocsparse_index_base_b.uses_flat_scratch, 0
	.set _ZN9rocsparseL19gebsrmvn_4xn_kernelILj128ELj2ELj16EfEEvi20rocsparse_direction_NS_24const_host_device_scalarIT2_EEPKiS6_PKS3_S8_S4_PS3_21rocsparse_index_base_b.has_dyn_sized_stack, 0
	.set _ZN9rocsparseL19gebsrmvn_4xn_kernelILj128ELj2ELj16EfEEvi20rocsparse_direction_NS_24const_host_device_scalarIT2_EEPKiS6_PKS3_S8_S4_PS3_21rocsparse_index_base_b.has_recursion, 0
	.set _ZN9rocsparseL19gebsrmvn_4xn_kernelILj128ELj2ELj16EfEEvi20rocsparse_direction_NS_24const_host_device_scalarIT2_EEPKiS6_PKS3_S8_S4_PS3_21rocsparse_index_base_b.has_indirect_call, 0
	.section	.AMDGPU.csdata,"",@progbits
; Kernel info:
; codeLenInByte = 1424
; TotalNumSgprs: 20
; NumVgprs: 23
; ScratchSize: 0
; MemoryBound: 0
; FloatMode: 240
; IeeeMode: 1
; LDSByteSize: 0 bytes/workgroup (compile time only)
; SGPRBlocks: 0
; VGPRBlocks: 2
; NumSGPRsForWavesPerEU: 20
; NumVGPRsForWavesPerEU: 23
; Occupancy: 16
; WaveLimiterHint : 1
; COMPUTE_PGM_RSRC2:SCRATCH_EN: 0
; COMPUTE_PGM_RSRC2:USER_SGPR: 2
; COMPUTE_PGM_RSRC2:TRAP_HANDLER: 0
; COMPUTE_PGM_RSRC2:TGID_X_EN: 1
; COMPUTE_PGM_RSRC2:TGID_Y_EN: 0
; COMPUTE_PGM_RSRC2:TGID_Z_EN: 0
; COMPUTE_PGM_RSRC2:TIDIG_COMP_CNT: 0
	.section	.text._ZN9rocsparseL19gebsrmvn_4xn_kernelILj128ELj2ELj32EfEEvi20rocsparse_direction_NS_24const_host_device_scalarIT2_EEPKiS6_PKS3_S8_S4_PS3_21rocsparse_index_base_b,"axG",@progbits,_ZN9rocsparseL19gebsrmvn_4xn_kernelILj128ELj2ELj32EfEEvi20rocsparse_direction_NS_24const_host_device_scalarIT2_EEPKiS6_PKS3_S8_S4_PS3_21rocsparse_index_base_b,comdat
	.globl	_ZN9rocsparseL19gebsrmvn_4xn_kernelILj128ELj2ELj32EfEEvi20rocsparse_direction_NS_24const_host_device_scalarIT2_EEPKiS6_PKS3_S8_S4_PS3_21rocsparse_index_base_b ; -- Begin function _ZN9rocsparseL19gebsrmvn_4xn_kernelILj128ELj2ELj32EfEEvi20rocsparse_direction_NS_24const_host_device_scalarIT2_EEPKiS6_PKS3_S8_S4_PS3_21rocsparse_index_base_b
	.p2align	8
	.type	_ZN9rocsparseL19gebsrmvn_4xn_kernelILj128ELj2ELj32EfEEvi20rocsparse_direction_NS_24const_host_device_scalarIT2_EEPKiS6_PKS3_S8_S4_PS3_21rocsparse_index_base_b,@function
_ZN9rocsparseL19gebsrmvn_4xn_kernelILj128ELj2ELj32EfEEvi20rocsparse_direction_NS_24const_host_device_scalarIT2_EEPKiS6_PKS3_S8_S4_PS3_21rocsparse_index_base_b: ; @_ZN9rocsparseL19gebsrmvn_4xn_kernelILj128ELj2ELj32EfEEvi20rocsparse_direction_NS_24const_host_device_scalarIT2_EEPKiS6_PKS3_S8_S4_PS3_21rocsparse_index_base_b
; %bb.0:
	s_clause 0x2
	s_load_b64 s[16:17], s[0:1], 0x40
	s_load_b64 s[14:15], s[0:1], 0x8
	;; [unrolled: 1-line block ×3, first 2 shown]
	s_wait_kmcnt 0x0
	s_bitcmp1_b32 s17, 0
	s_cselect_b32 s2, -1, 0
	s_delay_alu instid0(SALU_CYCLE_1)
	s_and_b32 vcc_lo, exec_lo, s2
	s_xor_b32 s2, s2, -1
	s_cbranch_vccnz .LBB8_2
; %bb.1:
	s_load_b32 s14, s[14:15], 0x0
.LBB8_2:
	s_and_not1_b32 vcc_lo, exec_lo, s2
	s_cbranch_vccnz .LBB8_4
; %bb.3:
	s_load_b32 s12, s[12:13], 0x0
.LBB8_4:
	s_wait_kmcnt 0x0
	s_cmp_eq_f32 s14, 0
	s_cselect_b32 s2, -1, 0
	s_cmp_eq_f32 s12, 1.0
	s_cselect_b32 s3, -1, 0
	s_delay_alu instid0(SALU_CYCLE_1) | instskip(NEXT) | instid1(SALU_CYCLE_1)
	s_and_b32 s2, s2, s3
	s_and_b32 vcc_lo, exec_lo, s2
	s_cbranch_vccnz .LBB8_23
; %bb.5:
	s_load_b64 s[2:3], s[0:1], 0x0
	v_lshrrev_b32_e32 v1, 5, v0
	s_delay_alu instid0(VALU_DEP_1) | instskip(SKIP_1) | instid1(VALU_DEP_1)
	v_lshl_or_b32 v4, ttmp9, 2, v1
	s_wait_kmcnt 0x0
	v_cmp_gt_i32_e32 vcc_lo, s2, v4
	s_and_saveexec_b32 s2, vcc_lo
	s_cbranch_execz .LBB8_23
; %bb.6:
	s_load_b256 s[4:11], s[0:1], 0x10
	v_ashrrev_i32_e32 v5, 31, v4
	v_and_b32_e32 v7, 31, v0
	s_cmp_lg_u32 s3, 0
	s_delay_alu instid0(VALU_DEP_2) | instskip(SKIP_1) | instid1(VALU_DEP_1)
	v_lshlrev_b64_e32 v[1:2], 2, v[4:5]
	s_wait_kmcnt 0x0
	v_add_co_u32 v1, vcc_lo, s4, v1
	s_delay_alu instid0(VALU_DEP_1) | instskip(SKIP_4) | instid1(VALU_DEP_2)
	v_add_co_ci_u32_e64 v2, null, s5, v2, vcc_lo
	global_load_b64 v[1:2], v[1:2], off
	s_wait_loadcnt 0x0
	v_subrev_nc_u32_e32 v0, s16, v1
	v_subrev_nc_u32_e32 v12, s16, v2
	v_add_nc_u32_e32 v0, v0, v7
	s_delay_alu instid0(VALU_DEP_1)
	v_cmp_lt_i32_e64 s2, v0, v12
	s_cbranch_scc0 .LBB8_12
; %bb.7:
	v_dual_mov_b32 v8, 0 :: v_dual_mov_b32 v9, 0
	v_dual_mov_b32 v10, 0 :: v_dual_mov_b32 v11, 0
	s_and_saveexec_b32 s3, s2
	s_cbranch_execz .LBB8_11
; %bb.8:
	v_dual_mov_b32 v2, 0 :: v_dual_lshlrev_b32 v1, 3, v0
	v_mov_b32_e32 v5, v0
	s_mov_b32 s4, 0
	s_delay_alu instid0(VALU_DEP_2)
	v_dual_mov_b32 v8, v2 :: v_dual_mov_b32 v9, v2
	v_dual_mov_b32 v10, v2 :: v_dual_mov_b32 v11, v2
.LBB8_9:                                ; =>This Inner Loop Header: Depth=1
	s_delay_alu instid0(VALU_DEP_3) | instskip(NEXT) | instid1(VALU_DEP_1)
	v_ashrrev_i32_e32 v6, 31, v5
	v_lshlrev_b64_e32 v[13:14], 2, v[5:6]
	s_delay_alu instid0(VALU_DEP_1) | instskip(SKIP_1) | instid1(VALU_DEP_2)
	v_add_co_u32 v13, vcc_lo, s6, v13
	s_wait_alu 0xfffd
	v_add_co_ci_u32_e64 v14, null, s7, v14, vcc_lo
	global_load_b32 v3, v[13:14], off
	v_lshlrev_b64_e32 v[13:14], 2, v[1:2]
	s_delay_alu instid0(VALU_DEP_1) | instskip(SKIP_1) | instid1(VALU_DEP_2)
	v_add_co_u32 v19, vcc_lo, s8, v13
	s_wait_alu 0xfffd
	v_add_co_ci_u32_e64 v20, null, s9, v14, vcc_lo
	global_load_b128 v[13:16], v[19:20], off offset:16
	s_wait_loadcnt 0x1
	v_subrev_nc_u32_e32 v3, s16, v3
	s_delay_alu instid0(VALU_DEP_1) | instskip(NEXT) | instid1(VALU_DEP_1)
	v_dual_mov_b32 v18, v2 :: v_dual_lshlrev_b32 v17, 1, v3
	v_lshlrev_b64_e32 v[17:18], 2, v[17:18]
	s_delay_alu instid0(VALU_DEP_1) | instskip(SKIP_1) | instid1(VALU_DEP_2)
	v_add_co_u32 v21, vcc_lo, s10, v17
	s_wait_alu 0xfffd
	v_add_co_ci_u32_e64 v22, null, s11, v18, vcc_lo
	global_load_b128 v[17:20], v[19:20], off
	global_load_b64 v[21:22], v[21:22], off
	s_wait_loadcnt 0x0
	v_fmac_f32_e32 v9, v20, v21
	v_fmac_f32_e32 v10, v19, v21
	;; [unrolled: 1-line block ×3, first 2 shown]
	s_delay_alu instid0(VALU_DEP_3) | instskip(NEXT) | instid1(VALU_DEP_3)
	v_dual_fmac_f32 v8, v17, v21 :: v_dual_fmac_f32 v9, v16, v22
	v_dual_fmac_f32 v10, v15, v22 :: v_dual_add_nc_u32 v5, 32, v5
	s_delay_alu instid0(VALU_DEP_3) | instskip(NEXT) | instid1(VALU_DEP_3)
	v_fmac_f32_e32 v11, v14, v22
	v_dual_fmac_f32 v8, v13, v22 :: v_dual_add_nc_u32 v1, 0x100, v1
	s_delay_alu instid0(VALU_DEP_3)
	v_cmp_ge_i32_e32 vcc_lo, v5, v12
	s_wait_alu 0xfffe
	s_or_b32 s4, vcc_lo, s4
	s_wait_alu 0xfffe
	s_and_not1_b32 exec_lo, exec_lo, s4
	s_cbranch_execnz .LBB8_9
; %bb.10:
	s_or_b32 exec_lo, exec_lo, s4
.LBB8_11:
	s_wait_alu 0xfffe
	s_or_b32 exec_lo, exec_lo, s3
	s_cbranch_execz .LBB8_13
	s_branch .LBB8_18
.LBB8_12:
                                        ; implicit-def: $vgpr8
                                        ; implicit-def: $vgpr9
                                        ; implicit-def: $vgpr10
                                        ; implicit-def: $vgpr11
.LBB8_13:
	v_dual_mov_b32 v8, 0 :: v_dual_mov_b32 v9, 0
	v_dual_mov_b32 v10, 0 :: v_dual_mov_b32 v11, 0
	s_and_saveexec_b32 s3, s2
	s_cbranch_execz .LBB8_17
; %bb.14:
	v_dual_mov_b32 v3, 0 :: v_dual_lshlrev_b32 v2, 3, v0
	s_mov_b32 s2, 0
	s_delay_alu instid0(VALU_DEP_1)
	v_dual_mov_b32 v8, v3 :: v_dual_mov_b32 v9, v3
	v_dual_mov_b32 v10, v3 :: v_dual_mov_b32 v11, v3
.LBB8_15:                               ; =>This Inner Loop Header: Depth=1
	v_ashrrev_i32_e32 v1, 31, v0
	s_delay_alu instid0(VALU_DEP_1) | instskip(NEXT) | instid1(VALU_DEP_1)
	v_lshlrev_b64_e32 v[5:6], 2, v[0:1]
	v_add_co_u32 v5, vcc_lo, s6, v5
	s_wait_alu 0xfffd
	s_delay_alu instid0(VALU_DEP_2) | instskip(SKIP_2) | instid1(VALU_DEP_1)
	v_add_co_ci_u32_e64 v6, null, s7, v6, vcc_lo
	global_load_b32 v1, v[5:6], off
	v_lshlrev_b64_e32 v[5:6], 2, v[2:3]
	v_add_co_u32 v5, vcc_lo, s8, v5
	s_wait_alu 0xfffd
	s_delay_alu instid0(VALU_DEP_2) | instskip(SKIP_3) | instid1(VALU_DEP_1)
	v_add_co_ci_u32_e64 v6, null, s9, v6, vcc_lo
	global_load_b128 v[13:16], v[5:6], off offset:16
	s_wait_loadcnt 0x1
	v_subrev_nc_u32_e32 v1, s16, v1
	v_dual_mov_b32 v18, v3 :: v_dual_lshlrev_b32 v17, 1, v1
	s_delay_alu instid0(VALU_DEP_1) | instskip(NEXT) | instid1(VALU_DEP_1)
	v_lshlrev_b64_e32 v[17:18], 2, v[17:18]
	v_add_co_u32 v21, vcc_lo, s10, v17
	s_wait_alu 0xfffd
	s_delay_alu instid0(VALU_DEP_2)
	v_add_co_ci_u32_e64 v22, null, s11, v18, vcc_lo
	global_load_b128 v[17:20], v[5:6], off
	global_load_b64 v[5:6], v[21:22], off
	v_add_nc_u32_e32 v0, 32, v0
	s_wait_loadcnt 0x0
	v_dual_fmac_f32 v11, v19, v5 :: v_dual_add_nc_u32 v2, 0x100, v2
	v_fmac_f32_e32 v8, v17, v5
	v_fmac_f32_e32 v9, v15, v5
	;; [unrolled: 1-line block ×3, first 2 shown]
	v_cmp_ge_i32_e32 vcc_lo, v0, v12
	v_fmac_f32_e32 v11, v20, v6
	v_fmac_f32_e32 v8, v18, v6
	;; [unrolled: 1-line block ×4, first 2 shown]
	s_wait_alu 0xfffe
	s_or_b32 s2, vcc_lo, s2
	s_wait_alu 0xfffe
	s_and_not1_b32 exec_lo, exec_lo, s2
	s_cbranch_execnz .LBB8_15
; %bb.16:
	s_or_b32 exec_lo, exec_lo, s2
.LBB8_17:
	s_wait_alu 0xfffe
	s_or_b32 exec_lo, exec_lo, s3
.LBB8_18:
	v_mbcnt_lo_u32_b32 v0, -1, 0
	s_mov_b32 s2, -1
	s_delay_alu instid0(VALU_DEP_1) | instskip(SKIP_1) | instid1(VALU_DEP_2)
	v_xor_b32_e32 v1, 16, v0
	v_xor_b32_e32 v6, 8, v0
	v_cmp_gt_i32_e32 vcc_lo, 32, v1
	s_wait_alu 0xfffd
	v_cndmask_b32_e32 v1, v0, v1, vcc_lo
	s_delay_alu instid0(VALU_DEP_3) | instskip(SKIP_2) | instid1(VALU_DEP_1)
	v_cmp_gt_i32_e32 vcc_lo, 32, v6
	s_wait_alu 0xfffd
	v_cndmask_b32_e32 v6, v0, v6, vcc_lo
	v_lshlrev_b32_e32 v6, 2, v6
	v_lshlrev_b32_e32 v1, 2, v1
	ds_bpermute_b32 v2, v1, v8
	s_wait_dscnt 0x0
	v_add_f32_e32 v2, v8, v2
	ds_bpermute_b32 v5, v1, v10
	ds_bpermute_b32 v3, v1, v11
	;; [unrolled: 1-line block ×4, first 2 shown]
	s_wait_dscnt 0x3
	v_add_f32_e32 v5, v10, v5
	s_wait_dscnt 0x2
	v_add_f32_e32 v3, v11, v3
	;; [unrolled: 2-line block ×3, first 2 shown]
	v_xor_b32_e32 v11, 4, v0
	s_wait_dscnt 0x0
	v_add_f32_e32 v2, v2, v8
	ds_bpermute_b32 v10, v6, v5
	ds_bpermute_b32 v9, v6, v3
	;; [unrolled: 1-line block ×3, first 2 shown]
	v_cmp_gt_i32_e32 vcc_lo, 32, v11
	s_wait_alu 0xfffd
	v_cndmask_b32_e32 v11, v0, v11, vcc_lo
	s_delay_alu instid0(VALU_DEP_1)
	v_lshlrev_b32_e32 v11, 2, v11
	s_wait_dscnt 0x2
	v_add_f32_e32 v5, v5, v10
	s_wait_dscnt 0x1
	v_add_f32_e32 v3, v3, v9
	;; [unrolled: 2-line block ×3, first 2 shown]
	ds_bpermute_b32 v6, v11, v2
	ds_bpermute_b32 v9, v11, v5
	;; [unrolled: 1-line block ×4, first 2 shown]
	v_xor_b32_e32 v11, 2, v0
	s_delay_alu instid0(VALU_DEP_1)
	v_cmp_gt_i32_e32 vcc_lo, 32, v11
	s_wait_dscnt 0x2
	v_dual_add_f32 v2, v2, v6 :: v_dual_add_f32 v5, v5, v9
	s_wait_alu 0xfffd
	v_cndmask_b32_e32 v11, v0, v11, vcc_lo
	s_wait_dscnt 0x0
	v_dual_add_f32 v3, v3, v8 :: v_dual_add_f32 v6, v1, v10
	s_delay_alu instid0(VALU_DEP_2)
	v_lshlrev_b32_e32 v11, 2, v11
	ds_bpermute_b32 v1, v11, v2
	ds_bpermute_b32 v8, v11, v3
	;; [unrolled: 1-line block ×4, first 2 shown]
	v_xor_b32_e32 v11, 1, v0
	s_delay_alu instid0(VALU_DEP_1) | instskip(SKIP_4) | instid1(VALU_DEP_2)
	v_cmp_gt_i32_e32 vcc_lo, 32, v11
	s_wait_alu 0xfffd
	v_cndmask_b32_e32 v0, v0, v11, vcc_lo
	v_cmp_eq_u32_e32 vcc_lo, 31, v7
	s_wait_dscnt 0x3
	v_dual_add_f32 v0, v2, v1 :: v_dual_lshlrev_b32 v11, 2, v0
	s_wait_dscnt 0x1
	v_dual_add_f32 v1, v3, v8 :: v_dual_add_f32 v2, v5, v9
	s_wait_dscnt 0x0
	v_add_f32_e32 v3, v6, v10
	ds_bpermute_b32 v5, v11, v0
	ds_bpermute_b32 v6, v11, v1
	;; [unrolled: 1-line block ×4, first 2 shown]
	s_and_b32 exec_lo, exec_lo, vcc_lo
	s_cbranch_execz .LBB8_23
; %bb.19:
	s_load_b64 s[0:1], s[0:1], 0x38
	s_wait_dscnt 0x2
	v_dual_add_f32 v0, v0, v5 :: v_dual_add_f32 v1, v1, v6
	s_wait_dscnt 0x0
	v_dual_add_f32 v2, v2, v8 :: v_dual_add_f32 v3, v3, v9
	v_lshlrev_b32_e32 v4, 2, v4
	s_delay_alu instid0(VALU_DEP_3) | instskip(NEXT) | instid1(VALU_DEP_3)
	v_dual_mul_f32 v0, s14, v0 :: v_dual_mul_f32 v1, s14, v1
	v_dual_mul_f32 v2, s14, v2 :: v_dual_mul_f32 v3, s14, v3
	s_cmp_eq_f32 s12, 0
	s_cbranch_scc0 .LBB8_21
; %bb.20:
	v_ashrrev_i32_e32 v5, 31, v4
	s_mov_b32 s2, 0
	s_delay_alu instid0(VALU_DEP_1) | instskip(SKIP_1) | instid1(VALU_DEP_1)
	v_lshlrev_b64_e32 v[5:6], 2, v[4:5]
	s_wait_kmcnt 0x0
	v_add_co_u32 v5, vcc_lo, s0, v5
	s_wait_alu 0xfffd
	s_delay_alu instid0(VALU_DEP_2)
	v_add_co_ci_u32_e64 v6, null, s1, v6, vcc_lo
	global_store_b128 v[5:6], v[0:3], off
.LBB8_21:
	s_wait_alu 0xfffe
	s_and_not1_b32 vcc_lo, exec_lo, s2
	s_wait_alu 0xfffe
	s_cbranch_vccnz .LBB8_23
; %bb.22:
	v_ashrrev_i32_e32 v5, 31, v4
	s_delay_alu instid0(VALU_DEP_1) | instskip(SKIP_1) | instid1(VALU_DEP_1)
	v_lshlrev_b64_e32 v[4:5], 2, v[4:5]
	s_wait_kmcnt 0x0
	v_add_co_u32 v8, vcc_lo, s0, v4
	s_wait_alu 0xfffd
	s_delay_alu instid0(VALU_DEP_2)
	v_add_co_ci_u32_e64 v9, null, s1, v5, vcc_lo
	global_load_b128 v[4:7], v[8:9], off
	s_wait_loadcnt 0x0
	v_dual_fmac_f32 v0, s12, v4 :: v_dual_fmac_f32 v1, s12, v5
	v_dual_fmac_f32 v2, s12, v6 :: v_dual_fmac_f32 v3, s12, v7
	global_store_b128 v[8:9], v[0:3], off
.LBB8_23:
	s_endpgm
	.section	.rodata,"a",@progbits
	.p2align	6, 0x0
	.amdhsa_kernel _ZN9rocsparseL19gebsrmvn_4xn_kernelILj128ELj2ELj32EfEEvi20rocsparse_direction_NS_24const_host_device_scalarIT2_EEPKiS6_PKS3_S8_S4_PS3_21rocsparse_index_base_b
		.amdhsa_group_segment_fixed_size 0
		.amdhsa_private_segment_fixed_size 0
		.amdhsa_kernarg_size 72
		.amdhsa_user_sgpr_count 2
		.amdhsa_user_sgpr_dispatch_ptr 0
		.amdhsa_user_sgpr_queue_ptr 0
		.amdhsa_user_sgpr_kernarg_segment_ptr 1
		.amdhsa_user_sgpr_dispatch_id 0
		.amdhsa_user_sgpr_private_segment_size 0
		.amdhsa_wavefront_size32 1
		.amdhsa_uses_dynamic_stack 0
		.amdhsa_enable_private_segment 0
		.amdhsa_system_sgpr_workgroup_id_x 1
		.amdhsa_system_sgpr_workgroup_id_y 0
		.amdhsa_system_sgpr_workgroup_id_z 0
		.amdhsa_system_sgpr_workgroup_info 0
		.amdhsa_system_vgpr_workitem_id 0
		.amdhsa_next_free_vgpr 23
		.amdhsa_next_free_sgpr 18
		.amdhsa_reserve_vcc 1
		.amdhsa_float_round_mode_32 0
		.amdhsa_float_round_mode_16_64 0
		.amdhsa_float_denorm_mode_32 3
		.amdhsa_float_denorm_mode_16_64 3
		.amdhsa_fp16_overflow 0
		.amdhsa_workgroup_processor_mode 1
		.amdhsa_memory_ordered 1
		.amdhsa_forward_progress 1
		.amdhsa_inst_pref_size 12
		.amdhsa_round_robin_scheduling 0
		.amdhsa_exception_fp_ieee_invalid_op 0
		.amdhsa_exception_fp_denorm_src 0
		.amdhsa_exception_fp_ieee_div_zero 0
		.amdhsa_exception_fp_ieee_overflow 0
		.amdhsa_exception_fp_ieee_underflow 0
		.amdhsa_exception_fp_ieee_inexact 0
		.amdhsa_exception_int_div_zero 0
	.end_amdhsa_kernel
	.section	.text._ZN9rocsparseL19gebsrmvn_4xn_kernelILj128ELj2ELj32EfEEvi20rocsparse_direction_NS_24const_host_device_scalarIT2_EEPKiS6_PKS3_S8_S4_PS3_21rocsparse_index_base_b,"axG",@progbits,_ZN9rocsparseL19gebsrmvn_4xn_kernelILj128ELj2ELj32EfEEvi20rocsparse_direction_NS_24const_host_device_scalarIT2_EEPKiS6_PKS3_S8_S4_PS3_21rocsparse_index_base_b,comdat
.Lfunc_end8:
	.size	_ZN9rocsparseL19gebsrmvn_4xn_kernelILj128ELj2ELj32EfEEvi20rocsparse_direction_NS_24const_host_device_scalarIT2_EEPKiS6_PKS3_S8_S4_PS3_21rocsparse_index_base_b, .Lfunc_end8-_ZN9rocsparseL19gebsrmvn_4xn_kernelILj128ELj2ELj32EfEEvi20rocsparse_direction_NS_24const_host_device_scalarIT2_EEPKiS6_PKS3_S8_S4_PS3_21rocsparse_index_base_b
                                        ; -- End function
	.set _ZN9rocsparseL19gebsrmvn_4xn_kernelILj128ELj2ELj32EfEEvi20rocsparse_direction_NS_24const_host_device_scalarIT2_EEPKiS6_PKS3_S8_S4_PS3_21rocsparse_index_base_b.num_vgpr, 23
	.set _ZN9rocsparseL19gebsrmvn_4xn_kernelILj128ELj2ELj32EfEEvi20rocsparse_direction_NS_24const_host_device_scalarIT2_EEPKiS6_PKS3_S8_S4_PS3_21rocsparse_index_base_b.num_agpr, 0
	.set _ZN9rocsparseL19gebsrmvn_4xn_kernelILj128ELj2ELj32EfEEvi20rocsparse_direction_NS_24const_host_device_scalarIT2_EEPKiS6_PKS3_S8_S4_PS3_21rocsparse_index_base_b.numbered_sgpr, 18
	.set _ZN9rocsparseL19gebsrmvn_4xn_kernelILj128ELj2ELj32EfEEvi20rocsparse_direction_NS_24const_host_device_scalarIT2_EEPKiS6_PKS3_S8_S4_PS3_21rocsparse_index_base_b.num_named_barrier, 0
	.set _ZN9rocsparseL19gebsrmvn_4xn_kernelILj128ELj2ELj32EfEEvi20rocsparse_direction_NS_24const_host_device_scalarIT2_EEPKiS6_PKS3_S8_S4_PS3_21rocsparse_index_base_b.private_seg_size, 0
	.set _ZN9rocsparseL19gebsrmvn_4xn_kernelILj128ELj2ELj32EfEEvi20rocsparse_direction_NS_24const_host_device_scalarIT2_EEPKiS6_PKS3_S8_S4_PS3_21rocsparse_index_base_b.uses_vcc, 1
	.set _ZN9rocsparseL19gebsrmvn_4xn_kernelILj128ELj2ELj32EfEEvi20rocsparse_direction_NS_24const_host_device_scalarIT2_EEPKiS6_PKS3_S8_S4_PS3_21rocsparse_index_base_b.uses_flat_scratch, 0
	.set _ZN9rocsparseL19gebsrmvn_4xn_kernelILj128ELj2ELj32EfEEvi20rocsparse_direction_NS_24const_host_device_scalarIT2_EEPKiS6_PKS3_S8_S4_PS3_21rocsparse_index_base_b.has_dyn_sized_stack, 0
	.set _ZN9rocsparseL19gebsrmvn_4xn_kernelILj128ELj2ELj32EfEEvi20rocsparse_direction_NS_24const_host_device_scalarIT2_EEPKiS6_PKS3_S8_S4_PS3_21rocsparse_index_base_b.has_recursion, 0
	.set _ZN9rocsparseL19gebsrmvn_4xn_kernelILj128ELj2ELj32EfEEvi20rocsparse_direction_NS_24const_host_device_scalarIT2_EEPKiS6_PKS3_S8_S4_PS3_21rocsparse_index_base_b.has_indirect_call, 0
	.section	.AMDGPU.csdata,"",@progbits
; Kernel info:
; codeLenInByte = 1524
; TotalNumSgprs: 20
; NumVgprs: 23
; ScratchSize: 0
; MemoryBound: 0
; FloatMode: 240
; IeeeMode: 1
; LDSByteSize: 0 bytes/workgroup (compile time only)
; SGPRBlocks: 0
; VGPRBlocks: 2
; NumSGPRsForWavesPerEU: 20
; NumVGPRsForWavesPerEU: 23
; Occupancy: 16
; WaveLimiterHint : 1
; COMPUTE_PGM_RSRC2:SCRATCH_EN: 0
; COMPUTE_PGM_RSRC2:USER_SGPR: 2
; COMPUTE_PGM_RSRC2:TRAP_HANDLER: 0
; COMPUTE_PGM_RSRC2:TGID_X_EN: 1
; COMPUTE_PGM_RSRC2:TGID_Y_EN: 0
; COMPUTE_PGM_RSRC2:TGID_Z_EN: 0
; COMPUTE_PGM_RSRC2:TIDIG_COMP_CNT: 0
	.section	.text._ZN9rocsparseL19gebsrmvn_4xn_kernelILj128ELj2ELj64EfEEvi20rocsparse_direction_NS_24const_host_device_scalarIT2_EEPKiS6_PKS3_S8_S4_PS3_21rocsparse_index_base_b,"axG",@progbits,_ZN9rocsparseL19gebsrmvn_4xn_kernelILj128ELj2ELj64EfEEvi20rocsparse_direction_NS_24const_host_device_scalarIT2_EEPKiS6_PKS3_S8_S4_PS3_21rocsparse_index_base_b,comdat
	.globl	_ZN9rocsparseL19gebsrmvn_4xn_kernelILj128ELj2ELj64EfEEvi20rocsparse_direction_NS_24const_host_device_scalarIT2_EEPKiS6_PKS3_S8_S4_PS3_21rocsparse_index_base_b ; -- Begin function _ZN9rocsparseL19gebsrmvn_4xn_kernelILj128ELj2ELj64EfEEvi20rocsparse_direction_NS_24const_host_device_scalarIT2_EEPKiS6_PKS3_S8_S4_PS3_21rocsparse_index_base_b
	.p2align	8
	.type	_ZN9rocsparseL19gebsrmvn_4xn_kernelILj128ELj2ELj64EfEEvi20rocsparse_direction_NS_24const_host_device_scalarIT2_EEPKiS6_PKS3_S8_S4_PS3_21rocsparse_index_base_b,@function
_ZN9rocsparseL19gebsrmvn_4xn_kernelILj128ELj2ELj64EfEEvi20rocsparse_direction_NS_24const_host_device_scalarIT2_EEPKiS6_PKS3_S8_S4_PS3_21rocsparse_index_base_b: ; @_ZN9rocsparseL19gebsrmvn_4xn_kernelILj128ELj2ELj64EfEEvi20rocsparse_direction_NS_24const_host_device_scalarIT2_EEPKiS6_PKS3_S8_S4_PS3_21rocsparse_index_base_b
; %bb.0:
	s_clause 0x2
	s_load_b64 s[16:17], s[0:1], 0x40
	s_load_b64 s[14:15], s[0:1], 0x8
	;; [unrolled: 1-line block ×3, first 2 shown]
	s_wait_kmcnt 0x0
	s_bitcmp1_b32 s17, 0
	s_cselect_b32 s2, -1, 0
	s_delay_alu instid0(SALU_CYCLE_1)
	s_and_b32 vcc_lo, exec_lo, s2
	s_xor_b32 s2, s2, -1
	s_cbranch_vccnz .LBB9_2
; %bb.1:
	s_load_b32 s14, s[14:15], 0x0
.LBB9_2:
	s_and_not1_b32 vcc_lo, exec_lo, s2
	s_cbranch_vccnz .LBB9_4
; %bb.3:
	s_load_b32 s12, s[12:13], 0x0
.LBB9_4:
	s_wait_kmcnt 0x0
	s_cmp_eq_f32 s14, 0
	s_cselect_b32 s2, -1, 0
	s_cmp_eq_f32 s12, 1.0
	s_cselect_b32 s3, -1, 0
	s_delay_alu instid0(SALU_CYCLE_1) | instskip(NEXT) | instid1(SALU_CYCLE_1)
	s_and_b32 s2, s2, s3
	s_and_b32 vcc_lo, exec_lo, s2
	s_cbranch_vccnz .LBB9_23
; %bb.5:
	s_load_b64 s[2:3], s[0:1], 0x0
	v_lshrrev_b32_e32 v1, 6, v0
	s_delay_alu instid0(VALU_DEP_1) | instskip(SKIP_1) | instid1(VALU_DEP_1)
	v_lshl_or_b32 v4, ttmp9, 1, v1
	s_wait_kmcnt 0x0
	v_cmp_gt_i32_e32 vcc_lo, s2, v4
	s_and_saveexec_b32 s2, vcc_lo
	s_cbranch_execz .LBB9_23
; %bb.6:
	s_load_b256 s[4:11], s[0:1], 0x10
	v_ashrrev_i32_e32 v5, 31, v4
	v_and_b32_e32 v7, 63, v0
	s_cmp_lg_u32 s3, 0
	s_delay_alu instid0(VALU_DEP_2) | instskip(SKIP_1) | instid1(VALU_DEP_1)
	v_lshlrev_b64_e32 v[1:2], 2, v[4:5]
	s_wait_kmcnt 0x0
	v_add_co_u32 v1, vcc_lo, s4, v1
	s_delay_alu instid0(VALU_DEP_1) | instskip(SKIP_4) | instid1(VALU_DEP_2)
	v_add_co_ci_u32_e64 v2, null, s5, v2, vcc_lo
	global_load_b64 v[1:2], v[1:2], off
	s_wait_loadcnt 0x0
	v_subrev_nc_u32_e32 v0, s16, v1
	v_subrev_nc_u32_e32 v12, s16, v2
	v_add_nc_u32_e32 v0, v0, v7
	s_delay_alu instid0(VALU_DEP_1)
	v_cmp_lt_i32_e64 s2, v0, v12
	s_cbranch_scc0 .LBB9_12
; %bb.7:
	v_dual_mov_b32 v8, 0 :: v_dual_mov_b32 v9, 0
	v_dual_mov_b32 v10, 0 :: v_dual_mov_b32 v11, 0
	s_and_saveexec_b32 s3, s2
	s_cbranch_execz .LBB9_11
; %bb.8:
	v_dual_mov_b32 v2, 0 :: v_dual_lshlrev_b32 v1, 3, v0
	v_mov_b32_e32 v5, v0
	s_mov_b32 s4, 0
	s_delay_alu instid0(VALU_DEP_2)
	v_dual_mov_b32 v8, v2 :: v_dual_mov_b32 v9, v2
	v_dual_mov_b32 v10, v2 :: v_dual_mov_b32 v11, v2
.LBB9_9:                                ; =>This Inner Loop Header: Depth=1
	s_delay_alu instid0(VALU_DEP_3) | instskip(NEXT) | instid1(VALU_DEP_1)
	v_ashrrev_i32_e32 v6, 31, v5
	v_lshlrev_b64_e32 v[13:14], 2, v[5:6]
	s_delay_alu instid0(VALU_DEP_1) | instskip(SKIP_1) | instid1(VALU_DEP_2)
	v_add_co_u32 v13, vcc_lo, s6, v13
	s_wait_alu 0xfffd
	v_add_co_ci_u32_e64 v14, null, s7, v14, vcc_lo
	global_load_b32 v3, v[13:14], off
	v_lshlrev_b64_e32 v[13:14], 2, v[1:2]
	s_delay_alu instid0(VALU_DEP_1) | instskip(SKIP_1) | instid1(VALU_DEP_2)
	v_add_co_u32 v19, vcc_lo, s8, v13
	s_wait_alu 0xfffd
	v_add_co_ci_u32_e64 v20, null, s9, v14, vcc_lo
	global_load_b128 v[13:16], v[19:20], off offset:16
	s_wait_loadcnt 0x1
	v_subrev_nc_u32_e32 v3, s16, v3
	s_delay_alu instid0(VALU_DEP_1) | instskip(NEXT) | instid1(VALU_DEP_1)
	v_dual_mov_b32 v18, v2 :: v_dual_lshlrev_b32 v17, 1, v3
	v_lshlrev_b64_e32 v[17:18], 2, v[17:18]
	s_delay_alu instid0(VALU_DEP_1) | instskip(SKIP_1) | instid1(VALU_DEP_2)
	v_add_co_u32 v21, vcc_lo, s10, v17
	s_wait_alu 0xfffd
	v_add_co_ci_u32_e64 v22, null, s11, v18, vcc_lo
	global_load_b128 v[17:20], v[19:20], off
	global_load_b64 v[21:22], v[21:22], off
	s_wait_loadcnt 0x0
	v_fmac_f32_e32 v9, v20, v21
	v_fmac_f32_e32 v10, v19, v21
	;; [unrolled: 1-line block ×3, first 2 shown]
	s_delay_alu instid0(VALU_DEP_3) | instskip(NEXT) | instid1(VALU_DEP_3)
	v_dual_fmac_f32 v8, v17, v21 :: v_dual_fmac_f32 v9, v16, v22
	v_dual_fmac_f32 v10, v15, v22 :: v_dual_add_nc_u32 v5, 64, v5
	s_delay_alu instid0(VALU_DEP_3) | instskip(NEXT) | instid1(VALU_DEP_3)
	v_fmac_f32_e32 v11, v14, v22
	v_dual_fmac_f32 v8, v13, v22 :: v_dual_add_nc_u32 v1, 0x200, v1
	s_delay_alu instid0(VALU_DEP_3)
	v_cmp_ge_i32_e32 vcc_lo, v5, v12
	s_wait_alu 0xfffe
	s_or_b32 s4, vcc_lo, s4
	s_wait_alu 0xfffe
	s_and_not1_b32 exec_lo, exec_lo, s4
	s_cbranch_execnz .LBB9_9
; %bb.10:
	s_or_b32 exec_lo, exec_lo, s4
.LBB9_11:
	s_wait_alu 0xfffe
	s_or_b32 exec_lo, exec_lo, s3
	s_cbranch_execz .LBB9_13
	s_branch .LBB9_18
.LBB9_12:
                                        ; implicit-def: $vgpr8
                                        ; implicit-def: $vgpr9
                                        ; implicit-def: $vgpr10
                                        ; implicit-def: $vgpr11
.LBB9_13:
	v_dual_mov_b32 v8, 0 :: v_dual_mov_b32 v9, 0
	v_dual_mov_b32 v10, 0 :: v_dual_mov_b32 v11, 0
	s_and_saveexec_b32 s3, s2
	s_cbranch_execz .LBB9_17
; %bb.14:
	v_dual_mov_b32 v3, 0 :: v_dual_lshlrev_b32 v2, 3, v0
	s_mov_b32 s2, 0
	s_delay_alu instid0(VALU_DEP_1)
	v_dual_mov_b32 v8, v3 :: v_dual_mov_b32 v9, v3
	v_dual_mov_b32 v10, v3 :: v_dual_mov_b32 v11, v3
.LBB9_15:                               ; =>This Inner Loop Header: Depth=1
	v_ashrrev_i32_e32 v1, 31, v0
	s_delay_alu instid0(VALU_DEP_1) | instskip(NEXT) | instid1(VALU_DEP_1)
	v_lshlrev_b64_e32 v[5:6], 2, v[0:1]
	v_add_co_u32 v5, vcc_lo, s6, v5
	s_wait_alu 0xfffd
	s_delay_alu instid0(VALU_DEP_2) | instskip(SKIP_2) | instid1(VALU_DEP_1)
	v_add_co_ci_u32_e64 v6, null, s7, v6, vcc_lo
	global_load_b32 v1, v[5:6], off
	v_lshlrev_b64_e32 v[5:6], 2, v[2:3]
	v_add_co_u32 v5, vcc_lo, s8, v5
	s_wait_alu 0xfffd
	s_delay_alu instid0(VALU_DEP_2) | instskip(SKIP_3) | instid1(VALU_DEP_1)
	v_add_co_ci_u32_e64 v6, null, s9, v6, vcc_lo
	global_load_b128 v[13:16], v[5:6], off offset:16
	s_wait_loadcnt 0x1
	v_subrev_nc_u32_e32 v1, s16, v1
	v_dual_mov_b32 v18, v3 :: v_dual_lshlrev_b32 v17, 1, v1
	s_delay_alu instid0(VALU_DEP_1) | instskip(NEXT) | instid1(VALU_DEP_1)
	v_lshlrev_b64_e32 v[17:18], 2, v[17:18]
	v_add_co_u32 v21, vcc_lo, s10, v17
	s_wait_alu 0xfffd
	s_delay_alu instid0(VALU_DEP_2)
	v_add_co_ci_u32_e64 v22, null, s11, v18, vcc_lo
	global_load_b128 v[17:20], v[5:6], off
	global_load_b64 v[5:6], v[21:22], off
	v_add_nc_u32_e32 v0, 64, v0
	s_wait_loadcnt 0x0
	v_dual_fmac_f32 v11, v19, v5 :: v_dual_add_nc_u32 v2, 0x200, v2
	v_fmac_f32_e32 v8, v17, v5
	v_fmac_f32_e32 v9, v15, v5
	;; [unrolled: 1-line block ×3, first 2 shown]
	v_cmp_ge_i32_e32 vcc_lo, v0, v12
	v_fmac_f32_e32 v11, v20, v6
	v_fmac_f32_e32 v8, v18, v6
	v_fmac_f32_e32 v9, v16, v6
	v_fmac_f32_e32 v10, v14, v6
	s_wait_alu 0xfffe
	s_or_b32 s2, vcc_lo, s2
	s_wait_alu 0xfffe
	s_and_not1_b32 exec_lo, exec_lo, s2
	s_cbranch_execnz .LBB9_15
; %bb.16:
	s_or_b32 exec_lo, exec_lo, s2
.LBB9_17:
	s_wait_alu 0xfffe
	s_or_b32 exec_lo, exec_lo, s3
.LBB9_18:
	v_mbcnt_lo_u32_b32 v0, -1, 0
	s_mov_b32 s2, -1
	s_delay_alu instid0(VALU_DEP_1) | instskip(SKIP_1) | instid1(VALU_DEP_2)
	v_or_b32_e32 v1, 32, v0
	v_xor_b32_e32 v6, 16, v0
	v_cmp_gt_i32_e32 vcc_lo, 32, v1
	s_wait_alu 0xfffd
	v_cndmask_b32_e32 v1, v0, v1, vcc_lo
	s_delay_alu instid0(VALU_DEP_3) | instskip(SKIP_2) | instid1(VALU_DEP_1)
	v_cmp_gt_i32_e32 vcc_lo, 32, v6
	s_wait_alu 0xfffd
	v_cndmask_b32_e32 v6, v0, v6, vcc_lo
	v_lshlrev_b32_e32 v6, 2, v6
	v_lshlrev_b32_e32 v1, 2, v1
	ds_bpermute_b32 v2, v1, v8
	s_wait_dscnt 0x0
	v_add_f32_e32 v2, v8, v2
	ds_bpermute_b32 v3, v1, v11
	ds_bpermute_b32 v5, v1, v10
	;; [unrolled: 1-line block ×4, first 2 shown]
	s_wait_dscnt 0x3
	v_add_f32_e32 v3, v11, v3
	s_wait_dscnt 0x2
	v_add_f32_e32 v5, v10, v5
	;; [unrolled: 2-line block ×3, first 2 shown]
	v_xor_b32_e32 v11, 8, v0
	s_wait_dscnt 0x0
	v_add_f32_e32 v2, v2, v8
	ds_bpermute_b32 v9, v6, v3
	ds_bpermute_b32 v10, v6, v5
	;; [unrolled: 1-line block ×3, first 2 shown]
	v_cmp_gt_i32_e32 vcc_lo, 32, v11
	s_wait_alu 0xfffd
	v_cndmask_b32_e32 v11, v0, v11, vcc_lo
	s_delay_alu instid0(VALU_DEP_1)
	v_lshlrev_b32_e32 v11, 2, v11
	s_wait_dscnt 0x2
	v_add_f32_e32 v3, v3, v9
	s_wait_dscnt 0x1
	v_add_f32_e32 v5, v5, v10
	s_wait_dscnt 0x0
	v_add_f32_e32 v1, v1, v6
	ds_bpermute_b32 v6, v11, v2
	ds_bpermute_b32 v8, v11, v3
	;; [unrolled: 1-line block ×4, first 2 shown]
	v_xor_b32_e32 v11, 4, v0
	s_delay_alu instid0(VALU_DEP_1) | instskip(SKIP_3) | instid1(VALU_DEP_1)
	v_cmp_gt_i32_e32 vcc_lo, 32, v11
	s_wait_alu 0xfffd
	v_cndmask_b32_e32 v11, v0, v11, vcc_lo
	s_wait_dscnt 0x3
	v_dual_add_f32 v2, v2, v6 :: v_dual_lshlrev_b32 v11, 2, v11
	s_wait_dscnt 0x2
	v_add_f32_e32 v3, v3, v8
	s_wait_dscnt 0x1
	v_add_f32_e32 v5, v5, v9
	;; [unrolled: 2-line block ×3, first 2 shown]
	ds_bpermute_b32 v6, v11, v2
	ds_bpermute_b32 v8, v11, v3
	;; [unrolled: 1-line block ×4, first 2 shown]
	v_xor_b32_e32 v11, 2, v0
	s_delay_alu instid0(VALU_DEP_1) | instskip(SKIP_3) | instid1(VALU_DEP_1)
	v_cmp_gt_i32_e32 vcc_lo, 32, v11
	s_wait_alu 0xfffd
	v_cndmask_b32_e32 v11, v0, v11, vcc_lo
	s_wait_dscnt 0x3
	v_dual_add_f32 v2, v2, v6 :: v_dual_lshlrev_b32 v11, 2, v11
	s_wait_dscnt 0x2
	v_add_f32_e32 v3, v3, v8
	s_wait_dscnt 0x1
	v_add_f32_e32 v5, v5, v9
	s_wait_dscnt 0x0
	v_add_f32_e32 v6, v1, v10
	ds_bpermute_b32 v1, v11, v2
	ds_bpermute_b32 v8, v11, v3
	;; [unrolled: 1-line block ×4, first 2 shown]
	v_xor_b32_e32 v11, 1, v0
	s_delay_alu instid0(VALU_DEP_1) | instskip(SKIP_4) | instid1(VALU_DEP_2)
	v_cmp_gt_i32_e32 vcc_lo, 32, v11
	s_wait_alu 0xfffd
	v_cndmask_b32_e32 v0, v0, v11, vcc_lo
	v_cmp_eq_u32_e32 vcc_lo, 63, v7
	s_wait_dscnt 0x3
	v_dual_add_f32 v0, v2, v1 :: v_dual_lshlrev_b32 v11, 2, v0
	s_wait_dscnt 0x1
	v_dual_add_f32 v1, v3, v8 :: v_dual_add_f32 v2, v5, v9
	s_wait_dscnt 0x0
	v_add_f32_e32 v3, v6, v10
	ds_bpermute_b32 v5, v11, v0
	ds_bpermute_b32 v6, v11, v1
	;; [unrolled: 1-line block ×4, first 2 shown]
	s_and_b32 exec_lo, exec_lo, vcc_lo
	s_cbranch_execz .LBB9_23
; %bb.19:
	s_load_b64 s[0:1], s[0:1], 0x38
	s_wait_dscnt 0x2
	v_dual_add_f32 v0, v0, v5 :: v_dual_add_f32 v1, v1, v6
	s_wait_dscnt 0x0
	v_dual_add_f32 v2, v2, v8 :: v_dual_add_f32 v3, v3, v9
	v_lshlrev_b32_e32 v4, 2, v4
	s_delay_alu instid0(VALU_DEP_3) | instskip(NEXT) | instid1(VALU_DEP_3)
	v_dual_mul_f32 v0, s14, v0 :: v_dual_mul_f32 v1, s14, v1
	v_dual_mul_f32 v2, s14, v2 :: v_dual_mul_f32 v3, s14, v3
	s_cmp_eq_f32 s12, 0
	s_cbranch_scc0 .LBB9_21
; %bb.20:
	v_ashrrev_i32_e32 v5, 31, v4
	s_mov_b32 s2, 0
	s_delay_alu instid0(VALU_DEP_1) | instskip(SKIP_1) | instid1(VALU_DEP_1)
	v_lshlrev_b64_e32 v[5:6], 2, v[4:5]
	s_wait_kmcnt 0x0
	v_add_co_u32 v5, vcc_lo, s0, v5
	s_wait_alu 0xfffd
	s_delay_alu instid0(VALU_DEP_2)
	v_add_co_ci_u32_e64 v6, null, s1, v6, vcc_lo
	global_store_b128 v[5:6], v[0:3], off
.LBB9_21:
	s_wait_alu 0xfffe
	s_and_not1_b32 vcc_lo, exec_lo, s2
	s_wait_alu 0xfffe
	s_cbranch_vccnz .LBB9_23
; %bb.22:
	v_ashrrev_i32_e32 v5, 31, v4
	s_delay_alu instid0(VALU_DEP_1) | instskip(SKIP_1) | instid1(VALU_DEP_1)
	v_lshlrev_b64_e32 v[4:5], 2, v[4:5]
	s_wait_kmcnt 0x0
	v_add_co_u32 v8, vcc_lo, s0, v4
	s_wait_alu 0xfffd
	s_delay_alu instid0(VALU_DEP_2)
	v_add_co_ci_u32_e64 v9, null, s1, v5, vcc_lo
	global_load_b128 v[4:7], v[8:9], off
	s_wait_loadcnt 0x0
	v_dual_fmac_f32 v0, s12, v4 :: v_dual_fmac_f32 v1, s12, v5
	v_dual_fmac_f32 v2, s12, v6 :: v_dual_fmac_f32 v3, s12, v7
	global_store_b128 v[8:9], v[0:3], off
.LBB9_23:
	s_endpgm
	.section	.rodata,"a",@progbits
	.p2align	6, 0x0
	.amdhsa_kernel _ZN9rocsparseL19gebsrmvn_4xn_kernelILj128ELj2ELj64EfEEvi20rocsparse_direction_NS_24const_host_device_scalarIT2_EEPKiS6_PKS3_S8_S4_PS3_21rocsparse_index_base_b
		.amdhsa_group_segment_fixed_size 0
		.amdhsa_private_segment_fixed_size 0
		.amdhsa_kernarg_size 72
		.amdhsa_user_sgpr_count 2
		.amdhsa_user_sgpr_dispatch_ptr 0
		.amdhsa_user_sgpr_queue_ptr 0
		.amdhsa_user_sgpr_kernarg_segment_ptr 1
		.amdhsa_user_sgpr_dispatch_id 0
		.amdhsa_user_sgpr_private_segment_size 0
		.amdhsa_wavefront_size32 1
		.amdhsa_uses_dynamic_stack 0
		.amdhsa_enable_private_segment 0
		.amdhsa_system_sgpr_workgroup_id_x 1
		.amdhsa_system_sgpr_workgroup_id_y 0
		.amdhsa_system_sgpr_workgroup_id_z 0
		.amdhsa_system_sgpr_workgroup_info 0
		.amdhsa_system_vgpr_workitem_id 0
		.amdhsa_next_free_vgpr 23
		.amdhsa_next_free_sgpr 18
		.amdhsa_reserve_vcc 1
		.amdhsa_float_round_mode_32 0
		.amdhsa_float_round_mode_16_64 0
		.amdhsa_float_denorm_mode_32 3
		.amdhsa_float_denorm_mode_16_64 3
		.amdhsa_fp16_overflow 0
		.amdhsa_workgroup_processor_mode 1
		.amdhsa_memory_ordered 1
		.amdhsa_forward_progress 1
		.amdhsa_inst_pref_size 13
		.amdhsa_round_robin_scheduling 0
		.amdhsa_exception_fp_ieee_invalid_op 0
		.amdhsa_exception_fp_denorm_src 0
		.amdhsa_exception_fp_ieee_div_zero 0
		.amdhsa_exception_fp_ieee_overflow 0
		.amdhsa_exception_fp_ieee_underflow 0
		.amdhsa_exception_fp_ieee_inexact 0
		.amdhsa_exception_int_div_zero 0
	.end_amdhsa_kernel
	.section	.text._ZN9rocsparseL19gebsrmvn_4xn_kernelILj128ELj2ELj64EfEEvi20rocsparse_direction_NS_24const_host_device_scalarIT2_EEPKiS6_PKS3_S8_S4_PS3_21rocsparse_index_base_b,"axG",@progbits,_ZN9rocsparseL19gebsrmvn_4xn_kernelILj128ELj2ELj64EfEEvi20rocsparse_direction_NS_24const_host_device_scalarIT2_EEPKiS6_PKS3_S8_S4_PS3_21rocsparse_index_base_b,comdat
.Lfunc_end9:
	.size	_ZN9rocsparseL19gebsrmvn_4xn_kernelILj128ELj2ELj64EfEEvi20rocsparse_direction_NS_24const_host_device_scalarIT2_EEPKiS6_PKS3_S8_S4_PS3_21rocsparse_index_base_b, .Lfunc_end9-_ZN9rocsparseL19gebsrmvn_4xn_kernelILj128ELj2ELj64EfEEvi20rocsparse_direction_NS_24const_host_device_scalarIT2_EEPKiS6_PKS3_S8_S4_PS3_21rocsparse_index_base_b
                                        ; -- End function
	.set _ZN9rocsparseL19gebsrmvn_4xn_kernelILj128ELj2ELj64EfEEvi20rocsparse_direction_NS_24const_host_device_scalarIT2_EEPKiS6_PKS3_S8_S4_PS3_21rocsparse_index_base_b.num_vgpr, 23
	.set _ZN9rocsparseL19gebsrmvn_4xn_kernelILj128ELj2ELj64EfEEvi20rocsparse_direction_NS_24const_host_device_scalarIT2_EEPKiS6_PKS3_S8_S4_PS3_21rocsparse_index_base_b.num_agpr, 0
	.set _ZN9rocsparseL19gebsrmvn_4xn_kernelILj128ELj2ELj64EfEEvi20rocsparse_direction_NS_24const_host_device_scalarIT2_EEPKiS6_PKS3_S8_S4_PS3_21rocsparse_index_base_b.numbered_sgpr, 18
	.set _ZN9rocsparseL19gebsrmvn_4xn_kernelILj128ELj2ELj64EfEEvi20rocsparse_direction_NS_24const_host_device_scalarIT2_EEPKiS6_PKS3_S8_S4_PS3_21rocsparse_index_base_b.num_named_barrier, 0
	.set _ZN9rocsparseL19gebsrmvn_4xn_kernelILj128ELj2ELj64EfEEvi20rocsparse_direction_NS_24const_host_device_scalarIT2_EEPKiS6_PKS3_S8_S4_PS3_21rocsparse_index_base_b.private_seg_size, 0
	.set _ZN9rocsparseL19gebsrmvn_4xn_kernelILj128ELj2ELj64EfEEvi20rocsparse_direction_NS_24const_host_device_scalarIT2_EEPKiS6_PKS3_S8_S4_PS3_21rocsparse_index_base_b.uses_vcc, 1
	.set _ZN9rocsparseL19gebsrmvn_4xn_kernelILj128ELj2ELj64EfEEvi20rocsparse_direction_NS_24const_host_device_scalarIT2_EEPKiS6_PKS3_S8_S4_PS3_21rocsparse_index_base_b.uses_flat_scratch, 0
	.set _ZN9rocsparseL19gebsrmvn_4xn_kernelILj128ELj2ELj64EfEEvi20rocsparse_direction_NS_24const_host_device_scalarIT2_EEPKiS6_PKS3_S8_S4_PS3_21rocsparse_index_base_b.has_dyn_sized_stack, 0
	.set _ZN9rocsparseL19gebsrmvn_4xn_kernelILj128ELj2ELj64EfEEvi20rocsparse_direction_NS_24const_host_device_scalarIT2_EEPKiS6_PKS3_S8_S4_PS3_21rocsparse_index_base_b.has_recursion, 0
	.set _ZN9rocsparseL19gebsrmvn_4xn_kernelILj128ELj2ELj64EfEEvi20rocsparse_direction_NS_24const_host_device_scalarIT2_EEPKiS6_PKS3_S8_S4_PS3_21rocsparse_index_base_b.has_indirect_call, 0
	.section	.AMDGPU.csdata,"",@progbits
; Kernel info:
; codeLenInByte = 1616
; TotalNumSgprs: 20
; NumVgprs: 23
; ScratchSize: 0
; MemoryBound: 0
; FloatMode: 240
; IeeeMode: 1
; LDSByteSize: 0 bytes/workgroup (compile time only)
; SGPRBlocks: 0
; VGPRBlocks: 2
; NumSGPRsForWavesPerEU: 20
; NumVGPRsForWavesPerEU: 23
; Occupancy: 16
; WaveLimiterHint : 1
; COMPUTE_PGM_RSRC2:SCRATCH_EN: 0
; COMPUTE_PGM_RSRC2:USER_SGPR: 2
; COMPUTE_PGM_RSRC2:TRAP_HANDLER: 0
; COMPUTE_PGM_RSRC2:TGID_X_EN: 1
; COMPUTE_PGM_RSRC2:TGID_Y_EN: 0
; COMPUTE_PGM_RSRC2:TGID_Z_EN: 0
; COMPUTE_PGM_RSRC2:TIDIG_COMP_CNT: 0
	.section	.text._ZN9rocsparseL19gebsrmvn_4xn_kernelILj128ELj3ELj4EfEEvi20rocsparse_direction_NS_24const_host_device_scalarIT2_EEPKiS6_PKS3_S8_S4_PS3_21rocsparse_index_base_b,"axG",@progbits,_ZN9rocsparseL19gebsrmvn_4xn_kernelILj128ELj3ELj4EfEEvi20rocsparse_direction_NS_24const_host_device_scalarIT2_EEPKiS6_PKS3_S8_S4_PS3_21rocsparse_index_base_b,comdat
	.globl	_ZN9rocsparseL19gebsrmvn_4xn_kernelILj128ELj3ELj4EfEEvi20rocsparse_direction_NS_24const_host_device_scalarIT2_EEPKiS6_PKS3_S8_S4_PS3_21rocsparse_index_base_b ; -- Begin function _ZN9rocsparseL19gebsrmvn_4xn_kernelILj128ELj3ELj4EfEEvi20rocsparse_direction_NS_24const_host_device_scalarIT2_EEPKiS6_PKS3_S8_S4_PS3_21rocsparse_index_base_b
	.p2align	8
	.type	_ZN9rocsparseL19gebsrmvn_4xn_kernelILj128ELj3ELj4EfEEvi20rocsparse_direction_NS_24const_host_device_scalarIT2_EEPKiS6_PKS3_S8_S4_PS3_21rocsparse_index_base_b,@function
_ZN9rocsparseL19gebsrmvn_4xn_kernelILj128ELj3ELj4EfEEvi20rocsparse_direction_NS_24const_host_device_scalarIT2_EEPKiS6_PKS3_S8_S4_PS3_21rocsparse_index_base_b: ; @_ZN9rocsparseL19gebsrmvn_4xn_kernelILj128ELj3ELj4EfEEvi20rocsparse_direction_NS_24const_host_device_scalarIT2_EEPKiS6_PKS3_S8_S4_PS3_21rocsparse_index_base_b
; %bb.0:
	s_clause 0x2
	s_load_b64 s[16:17], s[0:1], 0x40
	s_load_b64 s[14:15], s[0:1], 0x8
	;; [unrolled: 1-line block ×3, first 2 shown]
	s_wait_kmcnt 0x0
	s_bitcmp1_b32 s17, 0
	s_cselect_b32 s2, -1, 0
	s_delay_alu instid0(SALU_CYCLE_1)
	s_and_b32 vcc_lo, exec_lo, s2
	s_xor_b32 s2, s2, -1
	s_cbranch_vccnz .LBB10_2
; %bb.1:
	s_load_b32 s14, s[14:15], 0x0
.LBB10_2:
	s_and_not1_b32 vcc_lo, exec_lo, s2
	s_cbranch_vccnz .LBB10_4
; %bb.3:
	s_load_b32 s12, s[12:13], 0x0
.LBB10_4:
	s_wait_kmcnt 0x0
	s_cmp_eq_f32 s14, 0
	s_cselect_b32 s2, -1, 0
	s_cmp_eq_f32 s12, 1.0
	s_cselect_b32 s3, -1, 0
	s_delay_alu instid0(SALU_CYCLE_1) | instskip(NEXT) | instid1(SALU_CYCLE_1)
	s_and_b32 s2, s2, s3
	s_and_b32 vcc_lo, exec_lo, s2
	s_cbranch_vccnz .LBB10_23
; %bb.5:
	s_load_b64 s[2:3], s[0:1], 0x0
	v_lshrrev_b32_e32 v1, 2, v0
	s_delay_alu instid0(VALU_DEP_1) | instskip(SKIP_1) | instid1(VALU_DEP_1)
	v_lshl_or_b32 v4, ttmp9, 5, v1
	s_wait_kmcnt 0x0
	v_cmp_gt_i32_e32 vcc_lo, s2, v4
	s_and_saveexec_b32 s2, vcc_lo
	s_cbranch_execz .LBB10_23
; %bb.6:
	s_load_b256 s[4:11], s[0:1], 0x10
	v_ashrrev_i32_e32 v5, 31, v4
	v_and_b32_e32 v7, 3, v0
	s_cmp_lg_u32 s3, 0
	s_delay_alu instid0(VALU_DEP_2) | instskip(SKIP_1) | instid1(VALU_DEP_1)
	v_lshlrev_b64_e32 v[1:2], 2, v[4:5]
	s_wait_kmcnt 0x0
	v_add_co_u32 v1, vcc_lo, s4, v1
	s_delay_alu instid0(VALU_DEP_1) | instskip(SKIP_4) | instid1(VALU_DEP_2)
	v_add_co_ci_u32_e64 v2, null, s5, v2, vcc_lo
	global_load_b64 v[1:2], v[1:2], off
	s_wait_loadcnt 0x0
	v_subrev_nc_u32_e32 v0, s16, v1
	v_subrev_nc_u32_e32 v12, s16, v2
	v_add_nc_u32_e32 v0, v0, v7
	s_delay_alu instid0(VALU_DEP_1)
	v_cmp_lt_i32_e64 s2, v0, v12
	s_cbranch_scc0 .LBB10_12
; %bb.7:
	v_dual_mov_b32 v8, 0 :: v_dual_mov_b32 v9, 0
	v_dual_mov_b32 v10, 0 :: v_dual_mov_b32 v11, 0
	s_and_saveexec_b32 s3, s2
	s_cbranch_execz .LBB10_11
; %bb.8:
	v_dual_mov_b32 v2, 0 :: v_dual_mov_b32 v5, v0
	v_mul_lo_u32 v1, v0, 12
	s_mov_b32 s4, 0
	s_delay_alu instid0(VALU_DEP_2)
	v_dual_mov_b32 v8, v2 :: v_dual_mov_b32 v9, v2
	v_dual_mov_b32 v10, v2 :: v_dual_mov_b32 v11, v2
.LBB10_9:                               ; =>This Inner Loop Header: Depth=1
	v_ashrrev_i32_e32 v6, 31, v5
	s_delay_alu instid0(VALU_DEP_4) | instskip(SKIP_1) | instid1(VALU_DEP_3)
	v_dual_mov_b32 v16, v2 :: v_dual_add_nc_u32 v15, 4, v1
	v_dual_mov_b32 v18, v2 :: v_dual_add_nc_u32 v17, 8, v1
	v_lshlrev_b64_e32 v[13:14], 2, v[5:6]
	v_mov_b32_e32 v26, v2
	s_delay_alu instid0(VALU_DEP_4)
	v_lshlrev_b64_e32 v[19:20], 2, v[15:16]
	v_add_nc_u32_e32 v5, 4, v5
	v_lshlrev_b64_e32 v[17:18], 2, v[17:18]
	v_add_co_u32 v13, vcc_lo, s6, v13
	s_wait_alu 0xfffd
	v_add_co_ci_u32_e64 v14, null, s7, v14, vcc_lo
	global_load_b32 v3, v[13:14], off
	v_lshlrev_b64_e32 v[13:14], 2, v[1:2]
	v_add_nc_u32_e32 v1, 48, v1
	s_delay_alu instid0(VALU_DEP_2) | instskip(SKIP_1) | instid1(VALU_DEP_3)
	v_add_co_u32 v13, vcc_lo, s8, v13
	s_wait_alu 0xfffd
	v_add_co_ci_u32_e64 v14, null, s9, v14, vcc_lo
	v_add_co_u32 v19, vcc_lo, s8, v19
	s_wait_alu 0xfffd
	v_add_co_ci_u32_e64 v20, null, s9, v20, vcc_lo
	;; [unrolled: 3-line block ×3, first 2 shown]
	s_clause 0x1
	global_load_b128 v[13:16], v[13:14], off
	global_load_b128 v[17:20], v[19:20], off
	s_wait_loadcnt 0x2
	v_subrev_nc_u32_e32 v3, s16, v3
	s_delay_alu instid0(VALU_DEP_1) | instskip(SKIP_1) | instid1(VALU_DEP_2)
	v_lshl_add_u32 v21, v3, 1, v3
	v_mov_b32_e32 v22, v2
	v_dual_mov_b32 v24, v2 :: v_dual_add_nc_u32 v25, 2, v21
	v_add_nc_u32_e32 v23, 1, v21
	s_delay_alu instid0(VALU_DEP_3) | instskip(NEXT) | instid1(VALU_DEP_3)
	v_lshlrev_b64_e32 v[21:22], 2, v[21:22]
	v_lshlrev_b64_e32 v[25:26], 2, v[25:26]
	s_delay_alu instid0(VALU_DEP_3) | instskip(NEXT) | instid1(VALU_DEP_3)
	v_lshlrev_b64_e32 v[23:24], 2, v[23:24]
	v_add_co_u32 v21, vcc_lo, s10, v21
	s_wait_alu 0xfffd
	s_delay_alu instid0(VALU_DEP_4)
	v_add_co_ci_u32_e64 v22, null, s11, v22, vcc_lo
	global_load_b32 v3, v[21:22], off
	v_add_co_u32 v21, vcc_lo, s10, v23
	s_wait_alu 0xfffd
	v_add_co_ci_u32_e64 v22, null, s11, v24, vcc_lo
	v_add_co_u32 v25, vcc_lo, s10, v25
	s_wait_alu 0xfffd
	v_add_co_ci_u32_e64 v26, null, s11, v26, vcc_lo
	global_load_b32 v6, v[21:22], off
	global_load_b128 v[21:24], v[27:28], off
	global_load_b32 v25, v[25:26], off
	v_cmp_ge_i32_e32 vcc_lo, v5, v12
	s_wait_alu 0xfffe
	s_or_b32 s4, vcc_lo, s4
	s_wait_loadcnt 0x3
	v_fmac_f32_e32 v8, v13, v3
	s_wait_loadcnt 0x2
	s_delay_alu instid0(VALU_DEP_1) | instskip(NEXT) | instid1(VALU_DEP_1)
	v_dual_fmac_f32 v11, v14, v3 :: v_dual_fmac_f32 v8, v17, v6
	v_dual_fmac_f32 v10, v15, v3 :: v_dual_fmac_f32 v11, v18, v6
	s_wait_loadcnt 0x0
	s_delay_alu instid0(VALU_DEP_2) | instskip(NEXT) | instid1(VALU_DEP_2)
	v_dual_fmac_f32 v9, v16, v3 :: v_dual_fmac_f32 v8, v21, v25
	v_dual_fmac_f32 v10, v19, v6 :: v_dual_fmac_f32 v11, v22, v25
	s_delay_alu instid0(VALU_DEP_1) | instskip(NEXT) | instid1(VALU_DEP_1)
	v_dual_fmac_f32 v9, v20, v6 :: v_dual_fmac_f32 v10, v23, v25
	v_fmac_f32_e32 v9, v24, v25
	s_wait_alu 0xfffe
	s_and_not1_b32 exec_lo, exec_lo, s4
	s_cbranch_execnz .LBB10_9
; %bb.10:
	s_or_b32 exec_lo, exec_lo, s4
.LBB10_11:
	s_wait_alu 0xfffe
	s_or_b32 exec_lo, exec_lo, s3
	s_cbranch_execz .LBB10_13
	s_branch .LBB10_18
.LBB10_12:
                                        ; implicit-def: $vgpr8
                                        ; implicit-def: $vgpr9
                                        ; implicit-def: $vgpr10
                                        ; implicit-def: $vgpr11
.LBB10_13:
	v_dual_mov_b32 v8, 0 :: v_dual_mov_b32 v9, 0
	v_dual_mov_b32 v10, 0 :: v_dual_mov_b32 v11, 0
	s_and_saveexec_b32 s3, s2
	s_cbranch_execz .LBB10_17
; %bb.14:
	v_mad_co_u64_u32 v[2:3], null, v0, 12, 11
	v_dual_mov_b32 v6, 0 :: v_dual_mov_b32 v9, 0
	v_dual_mov_b32 v8, 0 :: v_dual_mov_b32 v11, 0
	v_mov_b32_e32 v10, 0
	s_mov_b32 s2, 0
.LBB10_15:                              ; =>This Inner Loop Header: Depth=1
	v_ashrrev_i32_e32 v1, 31, v0
	v_dual_mov_b32 v18, v6 :: v_dual_add_nc_u32 v5, -11, v2
	v_dual_mov_b32 v16, v6 :: v_dual_add_nc_u32 v15, -2, v2
	s_delay_alu instid0(VALU_DEP_3) | instskip(NEXT) | instid1(VALU_DEP_3)
	v_lshlrev_b64_e32 v[13:14], 2, v[0:1]
	v_lshlrev_b64_e32 v[19:20], 2, v[5:6]
	v_dual_mov_b32 v3, v6 :: v_dual_add_nc_u32 v0, 4, v0
	s_delay_alu instid0(VALU_DEP_4) | instskip(NEXT) | instid1(VALU_DEP_4)
	v_lshlrev_b64_e32 v[15:16], 2, v[15:16]
	v_add_co_u32 v13, vcc_lo, s6, v13
	s_wait_alu 0xfffd
	v_add_co_ci_u32_e64 v14, null, s7, v14, vcc_lo
	v_add_co_u32 v19, vcc_lo, s8, v19
	s_wait_alu 0xfffd
	v_add_co_ci_u32_e64 v20, null, s9, v20, vcc_lo
	global_load_b32 v1, v[13:14], off
	v_dual_mov_b32 v14, v6 :: v_dual_add_nc_u32 v13, -5, v2
	v_lshlrev_b64_e32 v[21:22], 2, v[2:3]
	s_delay_alu instid0(VALU_DEP_2) | instskip(NEXT) | instid1(VALU_DEP_1)
	v_lshlrev_b64_e32 v[13:14], 2, v[13:14]
	v_add_co_u32 v23, vcc_lo, s8, v13
	s_wait_alu 0xfffd
	s_delay_alu instid0(VALU_DEP_2)
	v_add_co_ci_u32_e64 v24, null, s9, v14, vcc_lo
	v_add_co_u32 v25, vcc_lo, s8, v15
	s_wait_alu 0xfffd
	v_add_co_ci_u32_e64 v26, null, s9, v16, vcc_lo
	s_clause 0x2
	global_load_b128 v[13:16], v[19:20], off
	global_load_b32 v3, v[23:24], off
	global_load_b32 v27, v[25:26], off
	v_add_co_u32 v21, vcc_lo, s8, v21
	s_wait_alu 0xfffd
	v_add_co_ci_u32_e64 v22, null, s9, v22, vcc_lo
	s_wait_loadcnt 0x3
	v_subrev_nc_u32_e32 v1, s16, v1
	s_delay_alu instid0(VALU_DEP_1) | instskip(NEXT) | instid1(VALU_DEP_1)
	v_lshl_add_u32 v17, v1, 1, v1
	v_lshlrev_b64_e32 v[18:19], 2, v[17:18]
	s_delay_alu instid0(VALU_DEP_1) | instskip(SKIP_1) | instid1(VALU_DEP_2)
	v_add_co_u32 v18, vcc_lo, s10, v18
	s_wait_alu 0xfffd
	v_add_co_ci_u32_e64 v19, null, s11, v19, vcc_lo
	global_load_b32 v1, v[18:19], off
	s_wait_loadcnt 0x0
	v_fmac_f32_e32 v9, v27, v1
	v_fmac_f32_e32 v8, v13, v1
	v_add_nc_u32_e32 v5, 1, v17
	v_fmac_f32_e32 v11, v16, v1
	v_fmac_f32_e32 v10, v3, v1
	s_delay_alu instid0(VALU_DEP_3) | instskip(SKIP_1) | instid1(VALU_DEP_1)
	v_lshlrev_b64_e32 v[23:24], 2, v[5:6]
	v_add_nc_u32_e32 v5, -7, v2
	v_lshlrev_b64_e32 v[25:26], 2, v[5:6]
	s_delay_alu instid0(VALU_DEP_3) | instskip(SKIP_1) | instid1(VALU_DEP_4)
	v_add_co_u32 v18, vcc_lo, s10, v23
	s_wait_alu 0xfffd
	v_add_co_ci_u32_e64 v19, null, s11, v24, vcc_lo
	s_delay_alu instid0(VALU_DEP_3) | instskip(SKIP_4) | instid1(VALU_DEP_2)
	v_add_co_u32 v25, vcc_lo, s8, v25
	global_load_b32 v28, v[18:19], off
	v_add_nc_u32_e32 v5, -4, v2
	s_wait_alu 0xfffd
	v_add_co_ci_u32_e64 v26, null, s9, v26, vcc_lo
	v_lshlrev_b64_e32 v[23:24], 2, v[5:6]
	v_add_nc_u32_e32 v5, -1, v2
	global_load_b32 v29, v[25:26], off
	v_add_co_u32 v23, vcc_lo, s8, v23
	v_lshlrev_b64_e32 v[18:19], 2, v[5:6]
	v_add_nc_u32_e32 v5, 2, v17
	s_wait_alu 0xfffd
	v_add_co_ci_u32_e64 v24, null, s9, v24, vcc_lo
	s_delay_alu instid0(VALU_DEP_3)
	v_add_co_u32 v17, vcc_lo, s8, v18
	global_load_b32 v30, v[23:24], off
	v_lshlrev_b64_e32 v[25:26], 2, v[5:6]
	v_add_nc_u32_e32 v5, -6, v2
	s_wait_alu 0xfffd
	v_add_co_ci_u32_e64 v18, null, s9, v19, vcc_lo
	s_delay_alu instid0(VALU_DEP_2)
	v_lshlrev_b64_e32 v[19:20], 2, v[5:6]
	v_add_nc_u32_e32 v5, -3, v2
	global_load_b32 v31, v[17:18], off
	v_add_co_u32 v17, vcc_lo, s10, v25
	s_wait_alu 0xfffd
	v_add_co_ci_u32_e64 v18, null, s11, v26, vcc_lo
	v_lshlrev_b64_e32 v[23:24], 2, v[5:6]
	v_add_co_u32 v19, vcc_lo, s8, v19
	s_wait_alu 0xfffd
	v_add_co_ci_u32_e64 v20, null, s9, v20, vcc_lo
	v_add_nc_u32_e32 v2, 48, v2
	s_delay_alu instid0(VALU_DEP_4)
	v_add_co_u32 v23, vcc_lo, s8, v23
	s_wait_alu 0xfffd
	v_add_co_ci_u32_e64 v24, null, s9, v24, vcc_lo
	global_load_b32 v5, v[17:18], off
	s_clause 0x2
	global_load_b32 v17, v[19:20], off
	global_load_b32 v18, v[23:24], off
	;; [unrolled: 1-line block ×3, first 2 shown]
	v_cmp_ge_i32_e32 vcc_lo, v0, v12
	s_wait_alu 0xfffe
	s_or_b32 s2, vcc_lo, s2
	s_wait_loadcnt 0x5
	v_fmac_f32_e32 v10, v30, v28
	s_wait_loadcnt 0x4
	v_fmac_f32_e32 v9, v31, v28
	v_fmac_f32_e32 v8, v14, v28
	s_wait_loadcnt 0x3
	s_delay_alu instid0(VALU_DEP_1) | instskip(SKIP_1) | instid1(VALU_DEP_1)
	v_dual_fmac_f32 v11, v29, v28 :: v_dual_fmac_f32 v8, v15, v5
	s_wait_loadcnt 0x2
	v_fmac_f32_e32 v11, v17, v5
	s_wait_loadcnt 0x1
	v_fmac_f32_e32 v10, v18, v5
	;; [unrolled: 2-line block ×3, first 2 shown]
	s_wait_alu 0xfffe
	s_and_not1_b32 exec_lo, exec_lo, s2
	s_cbranch_execnz .LBB10_15
; %bb.16:
	s_or_b32 exec_lo, exec_lo, s2
.LBB10_17:
	s_wait_alu 0xfffe
	s_or_b32 exec_lo, exec_lo, s3
.LBB10_18:
	v_mbcnt_lo_u32_b32 v0, -1, 0
	s_mov_b32 s2, -1
	s_delay_alu instid0(VALU_DEP_1) | instskip(NEXT) | instid1(VALU_DEP_1)
	v_xor_b32_e32 v1, 2, v0
	v_cmp_gt_i32_e32 vcc_lo, 32, v1
	s_wait_alu 0xfffd
	v_cndmask_b32_e32 v1, v0, v1, vcc_lo
	s_delay_alu instid0(VALU_DEP_1)
	v_lshlrev_b32_e32 v1, 2, v1
	ds_bpermute_b32 v2, v1, v8
	ds_bpermute_b32 v3, v1, v11
	;; [unrolled: 1-line block ×4, first 2 shown]
	v_xor_b32_e32 v1, 1, v0
	s_delay_alu instid0(VALU_DEP_1) | instskip(SKIP_4) | instid1(VALU_DEP_2)
	v_cmp_gt_i32_e32 vcc_lo, 32, v1
	s_wait_alu 0xfffd
	v_cndmask_b32_e32 v0, v0, v1, vcc_lo
	v_cmp_eq_u32_e32 vcc_lo, 3, v7
	s_wait_dscnt 0x2
	v_dual_add_f32 v1, v11, v3 :: v_dual_lshlrev_b32 v12, 2, v0
	v_add_f32_e32 v0, v8, v2
	s_wait_dscnt 0x0
	v_dual_add_f32 v2, v10, v5 :: v_dual_add_f32 v3, v9, v6
	ds_bpermute_b32 v6, v12, v1
	ds_bpermute_b32 v5, v12, v0
	;; [unrolled: 1-line block ×4, first 2 shown]
	s_and_b32 exec_lo, exec_lo, vcc_lo
	s_cbranch_execz .LBB10_23
; %bb.19:
	s_load_b64 s[0:1], s[0:1], 0x38
	s_wait_dscnt 0x2
	v_dual_add_f32 v0, v0, v5 :: v_dual_add_f32 v1, v1, v6
	s_wait_dscnt 0x0
	v_dual_add_f32 v2, v2, v8 :: v_dual_add_f32 v3, v3, v9
	v_lshlrev_b32_e32 v4, 2, v4
	s_delay_alu instid0(VALU_DEP_3) | instskip(NEXT) | instid1(VALU_DEP_3)
	v_dual_mul_f32 v0, s14, v0 :: v_dual_mul_f32 v1, s14, v1
	v_dual_mul_f32 v2, s14, v2 :: v_dual_mul_f32 v3, s14, v3
	s_cmp_eq_f32 s12, 0
	s_cbranch_scc0 .LBB10_21
; %bb.20:
	v_ashrrev_i32_e32 v5, 31, v4
	s_mov_b32 s2, 0
	s_delay_alu instid0(VALU_DEP_1) | instskip(SKIP_1) | instid1(VALU_DEP_1)
	v_lshlrev_b64_e32 v[5:6], 2, v[4:5]
	s_wait_kmcnt 0x0
	v_add_co_u32 v5, vcc_lo, s0, v5
	s_wait_alu 0xfffd
	s_delay_alu instid0(VALU_DEP_2)
	v_add_co_ci_u32_e64 v6, null, s1, v6, vcc_lo
	global_store_b128 v[5:6], v[0:3], off
.LBB10_21:
	s_wait_alu 0xfffe
	s_and_not1_b32 vcc_lo, exec_lo, s2
	s_wait_alu 0xfffe
	s_cbranch_vccnz .LBB10_23
; %bb.22:
	v_ashrrev_i32_e32 v5, 31, v4
	s_delay_alu instid0(VALU_DEP_1) | instskip(SKIP_1) | instid1(VALU_DEP_1)
	v_lshlrev_b64_e32 v[4:5], 2, v[4:5]
	s_wait_kmcnt 0x0
	v_add_co_u32 v8, vcc_lo, s0, v4
	s_wait_alu 0xfffd
	s_delay_alu instid0(VALU_DEP_2)
	v_add_co_ci_u32_e64 v9, null, s1, v5, vcc_lo
	global_load_b128 v[4:7], v[8:9], off
	s_wait_loadcnt 0x0
	v_dual_fmac_f32 v0, s12, v4 :: v_dual_fmac_f32 v1, s12, v5
	v_dual_fmac_f32 v2, s12, v6 :: v_dual_fmac_f32 v3, s12, v7
	global_store_b128 v[8:9], v[0:3], off
.LBB10_23:
	s_endpgm
	.section	.rodata,"a",@progbits
	.p2align	6, 0x0
	.amdhsa_kernel _ZN9rocsparseL19gebsrmvn_4xn_kernelILj128ELj3ELj4EfEEvi20rocsparse_direction_NS_24const_host_device_scalarIT2_EEPKiS6_PKS3_S8_S4_PS3_21rocsparse_index_base_b
		.amdhsa_group_segment_fixed_size 0
		.amdhsa_private_segment_fixed_size 0
		.amdhsa_kernarg_size 72
		.amdhsa_user_sgpr_count 2
		.amdhsa_user_sgpr_dispatch_ptr 0
		.amdhsa_user_sgpr_queue_ptr 0
		.amdhsa_user_sgpr_kernarg_segment_ptr 1
		.amdhsa_user_sgpr_dispatch_id 0
		.amdhsa_user_sgpr_private_segment_size 0
		.amdhsa_wavefront_size32 1
		.amdhsa_uses_dynamic_stack 0
		.amdhsa_enable_private_segment 0
		.amdhsa_system_sgpr_workgroup_id_x 1
		.amdhsa_system_sgpr_workgroup_id_y 0
		.amdhsa_system_sgpr_workgroup_id_z 0
		.amdhsa_system_sgpr_workgroup_info 0
		.amdhsa_system_vgpr_workitem_id 0
		.amdhsa_next_free_vgpr 32
		.amdhsa_next_free_sgpr 18
		.amdhsa_reserve_vcc 1
		.amdhsa_float_round_mode_32 0
		.amdhsa_float_round_mode_16_64 0
		.amdhsa_float_denorm_mode_32 3
		.amdhsa_float_denorm_mode_16_64 3
		.amdhsa_fp16_overflow 0
		.amdhsa_workgroup_processor_mode 1
		.amdhsa_memory_ordered 1
		.amdhsa_forward_progress 1
		.amdhsa_inst_pref_size 16
		.amdhsa_round_robin_scheduling 0
		.amdhsa_exception_fp_ieee_invalid_op 0
		.amdhsa_exception_fp_denorm_src 0
		.amdhsa_exception_fp_ieee_div_zero 0
		.amdhsa_exception_fp_ieee_overflow 0
		.amdhsa_exception_fp_ieee_underflow 0
		.amdhsa_exception_fp_ieee_inexact 0
		.amdhsa_exception_int_div_zero 0
	.end_amdhsa_kernel
	.section	.text._ZN9rocsparseL19gebsrmvn_4xn_kernelILj128ELj3ELj4EfEEvi20rocsparse_direction_NS_24const_host_device_scalarIT2_EEPKiS6_PKS3_S8_S4_PS3_21rocsparse_index_base_b,"axG",@progbits,_ZN9rocsparseL19gebsrmvn_4xn_kernelILj128ELj3ELj4EfEEvi20rocsparse_direction_NS_24const_host_device_scalarIT2_EEPKiS6_PKS3_S8_S4_PS3_21rocsparse_index_base_b,comdat
.Lfunc_end10:
	.size	_ZN9rocsparseL19gebsrmvn_4xn_kernelILj128ELj3ELj4EfEEvi20rocsparse_direction_NS_24const_host_device_scalarIT2_EEPKiS6_PKS3_S8_S4_PS3_21rocsparse_index_base_b, .Lfunc_end10-_ZN9rocsparseL19gebsrmvn_4xn_kernelILj128ELj3ELj4EfEEvi20rocsparse_direction_NS_24const_host_device_scalarIT2_EEPKiS6_PKS3_S8_S4_PS3_21rocsparse_index_base_b
                                        ; -- End function
	.set _ZN9rocsparseL19gebsrmvn_4xn_kernelILj128ELj3ELj4EfEEvi20rocsparse_direction_NS_24const_host_device_scalarIT2_EEPKiS6_PKS3_S8_S4_PS3_21rocsparse_index_base_b.num_vgpr, 32
	.set _ZN9rocsparseL19gebsrmvn_4xn_kernelILj128ELj3ELj4EfEEvi20rocsparse_direction_NS_24const_host_device_scalarIT2_EEPKiS6_PKS3_S8_S4_PS3_21rocsparse_index_base_b.num_agpr, 0
	.set _ZN9rocsparseL19gebsrmvn_4xn_kernelILj128ELj3ELj4EfEEvi20rocsparse_direction_NS_24const_host_device_scalarIT2_EEPKiS6_PKS3_S8_S4_PS3_21rocsparse_index_base_b.numbered_sgpr, 18
	.set _ZN9rocsparseL19gebsrmvn_4xn_kernelILj128ELj3ELj4EfEEvi20rocsparse_direction_NS_24const_host_device_scalarIT2_EEPKiS6_PKS3_S8_S4_PS3_21rocsparse_index_base_b.num_named_barrier, 0
	.set _ZN9rocsparseL19gebsrmvn_4xn_kernelILj128ELj3ELj4EfEEvi20rocsparse_direction_NS_24const_host_device_scalarIT2_EEPKiS6_PKS3_S8_S4_PS3_21rocsparse_index_base_b.private_seg_size, 0
	.set _ZN9rocsparseL19gebsrmvn_4xn_kernelILj128ELj3ELj4EfEEvi20rocsparse_direction_NS_24const_host_device_scalarIT2_EEPKiS6_PKS3_S8_S4_PS3_21rocsparse_index_base_b.uses_vcc, 1
	.set _ZN9rocsparseL19gebsrmvn_4xn_kernelILj128ELj3ELj4EfEEvi20rocsparse_direction_NS_24const_host_device_scalarIT2_EEPKiS6_PKS3_S8_S4_PS3_21rocsparse_index_base_b.uses_flat_scratch, 0
	.set _ZN9rocsparseL19gebsrmvn_4xn_kernelILj128ELj3ELj4EfEEvi20rocsparse_direction_NS_24const_host_device_scalarIT2_EEPKiS6_PKS3_S8_S4_PS3_21rocsparse_index_base_b.has_dyn_sized_stack, 0
	.set _ZN9rocsparseL19gebsrmvn_4xn_kernelILj128ELj3ELj4EfEEvi20rocsparse_direction_NS_24const_host_device_scalarIT2_EEPKiS6_PKS3_S8_S4_PS3_21rocsparse_index_base_b.has_recursion, 0
	.set _ZN9rocsparseL19gebsrmvn_4xn_kernelILj128ELj3ELj4EfEEvi20rocsparse_direction_NS_24const_host_device_scalarIT2_EEPKiS6_PKS3_S8_S4_PS3_21rocsparse_index_base_b.has_indirect_call, 0
	.section	.AMDGPU.csdata,"",@progbits
; Kernel info:
; codeLenInByte = 1948
; TotalNumSgprs: 20
; NumVgprs: 32
; ScratchSize: 0
; MemoryBound: 0
; FloatMode: 240
; IeeeMode: 1
; LDSByteSize: 0 bytes/workgroup (compile time only)
; SGPRBlocks: 0
; VGPRBlocks: 3
; NumSGPRsForWavesPerEU: 20
; NumVGPRsForWavesPerEU: 32
; Occupancy: 16
; WaveLimiterHint : 1
; COMPUTE_PGM_RSRC2:SCRATCH_EN: 0
; COMPUTE_PGM_RSRC2:USER_SGPR: 2
; COMPUTE_PGM_RSRC2:TRAP_HANDLER: 0
; COMPUTE_PGM_RSRC2:TGID_X_EN: 1
; COMPUTE_PGM_RSRC2:TGID_Y_EN: 0
; COMPUTE_PGM_RSRC2:TGID_Z_EN: 0
; COMPUTE_PGM_RSRC2:TIDIG_COMP_CNT: 0
	.section	.text._ZN9rocsparseL19gebsrmvn_4xn_kernelILj128ELj3ELj8EfEEvi20rocsparse_direction_NS_24const_host_device_scalarIT2_EEPKiS6_PKS3_S8_S4_PS3_21rocsparse_index_base_b,"axG",@progbits,_ZN9rocsparseL19gebsrmvn_4xn_kernelILj128ELj3ELj8EfEEvi20rocsparse_direction_NS_24const_host_device_scalarIT2_EEPKiS6_PKS3_S8_S4_PS3_21rocsparse_index_base_b,comdat
	.globl	_ZN9rocsparseL19gebsrmvn_4xn_kernelILj128ELj3ELj8EfEEvi20rocsparse_direction_NS_24const_host_device_scalarIT2_EEPKiS6_PKS3_S8_S4_PS3_21rocsparse_index_base_b ; -- Begin function _ZN9rocsparseL19gebsrmvn_4xn_kernelILj128ELj3ELj8EfEEvi20rocsparse_direction_NS_24const_host_device_scalarIT2_EEPKiS6_PKS3_S8_S4_PS3_21rocsparse_index_base_b
	.p2align	8
	.type	_ZN9rocsparseL19gebsrmvn_4xn_kernelILj128ELj3ELj8EfEEvi20rocsparse_direction_NS_24const_host_device_scalarIT2_EEPKiS6_PKS3_S8_S4_PS3_21rocsparse_index_base_b,@function
_ZN9rocsparseL19gebsrmvn_4xn_kernelILj128ELj3ELj8EfEEvi20rocsparse_direction_NS_24const_host_device_scalarIT2_EEPKiS6_PKS3_S8_S4_PS3_21rocsparse_index_base_b: ; @_ZN9rocsparseL19gebsrmvn_4xn_kernelILj128ELj3ELj8EfEEvi20rocsparse_direction_NS_24const_host_device_scalarIT2_EEPKiS6_PKS3_S8_S4_PS3_21rocsparse_index_base_b
; %bb.0:
	s_clause 0x2
	s_load_b64 s[16:17], s[0:1], 0x40
	s_load_b64 s[14:15], s[0:1], 0x8
	;; [unrolled: 1-line block ×3, first 2 shown]
	s_wait_kmcnt 0x0
	s_bitcmp1_b32 s17, 0
	s_cselect_b32 s2, -1, 0
	s_delay_alu instid0(SALU_CYCLE_1)
	s_and_b32 vcc_lo, exec_lo, s2
	s_xor_b32 s2, s2, -1
	s_cbranch_vccnz .LBB11_2
; %bb.1:
	s_load_b32 s14, s[14:15], 0x0
.LBB11_2:
	s_and_not1_b32 vcc_lo, exec_lo, s2
	s_cbranch_vccnz .LBB11_4
; %bb.3:
	s_load_b32 s12, s[12:13], 0x0
.LBB11_4:
	s_wait_kmcnt 0x0
	s_cmp_eq_f32 s14, 0
	s_cselect_b32 s2, -1, 0
	s_cmp_eq_f32 s12, 1.0
	s_cselect_b32 s3, -1, 0
	s_delay_alu instid0(SALU_CYCLE_1) | instskip(NEXT) | instid1(SALU_CYCLE_1)
	s_and_b32 s2, s2, s3
	s_and_b32 vcc_lo, exec_lo, s2
	s_cbranch_vccnz .LBB11_23
; %bb.5:
	s_load_b64 s[2:3], s[0:1], 0x0
	v_lshrrev_b32_e32 v1, 3, v0
	s_delay_alu instid0(VALU_DEP_1) | instskip(SKIP_1) | instid1(VALU_DEP_1)
	v_lshl_or_b32 v4, ttmp9, 4, v1
	s_wait_kmcnt 0x0
	v_cmp_gt_i32_e32 vcc_lo, s2, v4
	s_and_saveexec_b32 s2, vcc_lo
	s_cbranch_execz .LBB11_23
; %bb.6:
	s_load_b256 s[4:11], s[0:1], 0x10
	v_ashrrev_i32_e32 v5, 31, v4
	v_and_b32_e32 v7, 7, v0
	s_cmp_lg_u32 s3, 0
	s_delay_alu instid0(VALU_DEP_2) | instskip(SKIP_1) | instid1(VALU_DEP_1)
	v_lshlrev_b64_e32 v[1:2], 2, v[4:5]
	s_wait_kmcnt 0x0
	v_add_co_u32 v1, vcc_lo, s4, v1
	s_delay_alu instid0(VALU_DEP_1) | instskip(SKIP_4) | instid1(VALU_DEP_2)
	v_add_co_ci_u32_e64 v2, null, s5, v2, vcc_lo
	global_load_b64 v[1:2], v[1:2], off
	s_wait_loadcnt 0x0
	v_subrev_nc_u32_e32 v0, s16, v1
	v_subrev_nc_u32_e32 v12, s16, v2
	v_add_nc_u32_e32 v0, v0, v7
	s_delay_alu instid0(VALU_DEP_1)
	v_cmp_lt_i32_e64 s2, v0, v12
	s_cbranch_scc0 .LBB11_12
; %bb.7:
	v_dual_mov_b32 v8, 0 :: v_dual_mov_b32 v9, 0
	v_dual_mov_b32 v10, 0 :: v_dual_mov_b32 v11, 0
	s_and_saveexec_b32 s3, s2
	s_cbranch_execz .LBB11_11
; %bb.8:
	v_dual_mov_b32 v2, 0 :: v_dual_mov_b32 v5, v0
	v_mul_lo_u32 v1, v0, 12
	s_mov_b32 s4, 0
	s_delay_alu instid0(VALU_DEP_2)
	v_dual_mov_b32 v8, v2 :: v_dual_mov_b32 v9, v2
	v_dual_mov_b32 v10, v2 :: v_dual_mov_b32 v11, v2
.LBB11_9:                               ; =>This Inner Loop Header: Depth=1
	v_ashrrev_i32_e32 v6, 31, v5
	s_delay_alu instid0(VALU_DEP_4) | instskip(SKIP_1) | instid1(VALU_DEP_3)
	v_dual_mov_b32 v16, v2 :: v_dual_add_nc_u32 v15, 4, v1
	v_dual_mov_b32 v18, v2 :: v_dual_add_nc_u32 v17, 8, v1
	v_lshlrev_b64_e32 v[13:14], 2, v[5:6]
	v_mov_b32_e32 v26, v2
	s_delay_alu instid0(VALU_DEP_4)
	v_lshlrev_b64_e32 v[19:20], 2, v[15:16]
	v_add_nc_u32_e32 v5, 8, v5
	v_lshlrev_b64_e32 v[17:18], 2, v[17:18]
	v_add_co_u32 v13, vcc_lo, s6, v13
	s_wait_alu 0xfffd
	v_add_co_ci_u32_e64 v14, null, s7, v14, vcc_lo
	global_load_b32 v3, v[13:14], off
	v_lshlrev_b64_e32 v[13:14], 2, v[1:2]
	v_add_nc_u32_e32 v1, 0x60, v1
	s_delay_alu instid0(VALU_DEP_2) | instskip(SKIP_1) | instid1(VALU_DEP_3)
	v_add_co_u32 v13, vcc_lo, s8, v13
	s_wait_alu 0xfffd
	v_add_co_ci_u32_e64 v14, null, s9, v14, vcc_lo
	v_add_co_u32 v19, vcc_lo, s8, v19
	s_wait_alu 0xfffd
	v_add_co_ci_u32_e64 v20, null, s9, v20, vcc_lo
	;; [unrolled: 3-line block ×3, first 2 shown]
	s_clause 0x1
	global_load_b128 v[13:16], v[13:14], off
	global_load_b128 v[17:20], v[19:20], off
	s_wait_loadcnt 0x2
	v_subrev_nc_u32_e32 v3, s16, v3
	s_delay_alu instid0(VALU_DEP_1) | instskip(SKIP_1) | instid1(VALU_DEP_2)
	v_lshl_add_u32 v21, v3, 1, v3
	v_mov_b32_e32 v22, v2
	v_dual_mov_b32 v24, v2 :: v_dual_add_nc_u32 v25, 2, v21
	v_add_nc_u32_e32 v23, 1, v21
	s_delay_alu instid0(VALU_DEP_3) | instskip(NEXT) | instid1(VALU_DEP_3)
	v_lshlrev_b64_e32 v[21:22], 2, v[21:22]
	v_lshlrev_b64_e32 v[25:26], 2, v[25:26]
	s_delay_alu instid0(VALU_DEP_3) | instskip(NEXT) | instid1(VALU_DEP_3)
	v_lshlrev_b64_e32 v[23:24], 2, v[23:24]
	v_add_co_u32 v21, vcc_lo, s10, v21
	s_wait_alu 0xfffd
	s_delay_alu instid0(VALU_DEP_4)
	v_add_co_ci_u32_e64 v22, null, s11, v22, vcc_lo
	global_load_b32 v3, v[21:22], off
	v_add_co_u32 v21, vcc_lo, s10, v23
	s_wait_alu 0xfffd
	v_add_co_ci_u32_e64 v22, null, s11, v24, vcc_lo
	v_add_co_u32 v25, vcc_lo, s10, v25
	s_wait_alu 0xfffd
	v_add_co_ci_u32_e64 v26, null, s11, v26, vcc_lo
	global_load_b32 v6, v[21:22], off
	global_load_b128 v[21:24], v[27:28], off
	global_load_b32 v25, v[25:26], off
	v_cmp_ge_i32_e32 vcc_lo, v5, v12
	s_wait_alu 0xfffe
	s_or_b32 s4, vcc_lo, s4
	s_wait_loadcnt 0x3
	v_fmac_f32_e32 v8, v13, v3
	s_wait_loadcnt 0x2
	s_delay_alu instid0(VALU_DEP_1) | instskip(NEXT) | instid1(VALU_DEP_1)
	v_dual_fmac_f32 v11, v14, v3 :: v_dual_fmac_f32 v8, v17, v6
	v_dual_fmac_f32 v10, v15, v3 :: v_dual_fmac_f32 v11, v18, v6
	s_wait_loadcnt 0x0
	s_delay_alu instid0(VALU_DEP_2) | instskip(NEXT) | instid1(VALU_DEP_2)
	v_dual_fmac_f32 v9, v16, v3 :: v_dual_fmac_f32 v8, v21, v25
	v_dual_fmac_f32 v10, v19, v6 :: v_dual_fmac_f32 v11, v22, v25
	s_delay_alu instid0(VALU_DEP_1) | instskip(NEXT) | instid1(VALU_DEP_1)
	v_dual_fmac_f32 v9, v20, v6 :: v_dual_fmac_f32 v10, v23, v25
	v_fmac_f32_e32 v9, v24, v25
	s_wait_alu 0xfffe
	s_and_not1_b32 exec_lo, exec_lo, s4
	s_cbranch_execnz .LBB11_9
; %bb.10:
	s_or_b32 exec_lo, exec_lo, s4
.LBB11_11:
	s_wait_alu 0xfffe
	s_or_b32 exec_lo, exec_lo, s3
	s_cbranch_execz .LBB11_13
	s_branch .LBB11_18
.LBB11_12:
                                        ; implicit-def: $vgpr8
                                        ; implicit-def: $vgpr9
                                        ; implicit-def: $vgpr10
                                        ; implicit-def: $vgpr11
.LBB11_13:
	v_dual_mov_b32 v8, 0 :: v_dual_mov_b32 v9, 0
	v_dual_mov_b32 v10, 0 :: v_dual_mov_b32 v11, 0
	s_and_saveexec_b32 s3, s2
	s_cbranch_execz .LBB11_17
; %bb.14:
	v_mad_co_u64_u32 v[2:3], null, v0, 12, 11
	v_dual_mov_b32 v6, 0 :: v_dual_mov_b32 v9, 0
	v_dual_mov_b32 v8, 0 :: v_dual_mov_b32 v11, 0
	v_mov_b32_e32 v10, 0
	s_mov_b32 s2, 0
.LBB11_15:                              ; =>This Inner Loop Header: Depth=1
	v_ashrrev_i32_e32 v1, 31, v0
	v_dual_mov_b32 v18, v6 :: v_dual_add_nc_u32 v5, -11, v2
	v_dual_mov_b32 v16, v6 :: v_dual_add_nc_u32 v15, -2, v2
	s_delay_alu instid0(VALU_DEP_3) | instskip(NEXT) | instid1(VALU_DEP_3)
	v_lshlrev_b64_e32 v[13:14], 2, v[0:1]
	v_lshlrev_b64_e32 v[19:20], 2, v[5:6]
	v_dual_mov_b32 v3, v6 :: v_dual_add_nc_u32 v0, 8, v0
	s_delay_alu instid0(VALU_DEP_4) | instskip(NEXT) | instid1(VALU_DEP_4)
	v_lshlrev_b64_e32 v[15:16], 2, v[15:16]
	v_add_co_u32 v13, vcc_lo, s6, v13
	s_wait_alu 0xfffd
	v_add_co_ci_u32_e64 v14, null, s7, v14, vcc_lo
	v_add_co_u32 v19, vcc_lo, s8, v19
	s_wait_alu 0xfffd
	v_add_co_ci_u32_e64 v20, null, s9, v20, vcc_lo
	global_load_b32 v1, v[13:14], off
	v_dual_mov_b32 v14, v6 :: v_dual_add_nc_u32 v13, -5, v2
	v_lshlrev_b64_e32 v[21:22], 2, v[2:3]
	s_delay_alu instid0(VALU_DEP_2) | instskip(NEXT) | instid1(VALU_DEP_1)
	v_lshlrev_b64_e32 v[13:14], 2, v[13:14]
	v_add_co_u32 v23, vcc_lo, s8, v13
	s_wait_alu 0xfffd
	s_delay_alu instid0(VALU_DEP_2)
	v_add_co_ci_u32_e64 v24, null, s9, v14, vcc_lo
	v_add_co_u32 v25, vcc_lo, s8, v15
	s_wait_alu 0xfffd
	v_add_co_ci_u32_e64 v26, null, s9, v16, vcc_lo
	s_clause 0x2
	global_load_b128 v[13:16], v[19:20], off
	global_load_b32 v3, v[23:24], off
	global_load_b32 v27, v[25:26], off
	v_add_co_u32 v21, vcc_lo, s8, v21
	s_wait_alu 0xfffd
	v_add_co_ci_u32_e64 v22, null, s9, v22, vcc_lo
	s_wait_loadcnt 0x3
	v_subrev_nc_u32_e32 v1, s16, v1
	s_delay_alu instid0(VALU_DEP_1) | instskip(NEXT) | instid1(VALU_DEP_1)
	v_lshl_add_u32 v17, v1, 1, v1
	v_lshlrev_b64_e32 v[18:19], 2, v[17:18]
	s_delay_alu instid0(VALU_DEP_1) | instskip(SKIP_1) | instid1(VALU_DEP_2)
	v_add_co_u32 v18, vcc_lo, s10, v18
	s_wait_alu 0xfffd
	v_add_co_ci_u32_e64 v19, null, s11, v19, vcc_lo
	global_load_b32 v1, v[18:19], off
	s_wait_loadcnt 0x0
	v_fmac_f32_e32 v9, v27, v1
	v_fmac_f32_e32 v8, v13, v1
	v_add_nc_u32_e32 v5, 1, v17
	v_fmac_f32_e32 v11, v16, v1
	v_fmac_f32_e32 v10, v3, v1
	s_delay_alu instid0(VALU_DEP_3) | instskip(SKIP_1) | instid1(VALU_DEP_1)
	v_lshlrev_b64_e32 v[23:24], 2, v[5:6]
	v_add_nc_u32_e32 v5, -7, v2
	v_lshlrev_b64_e32 v[25:26], 2, v[5:6]
	s_delay_alu instid0(VALU_DEP_3) | instskip(SKIP_1) | instid1(VALU_DEP_4)
	v_add_co_u32 v18, vcc_lo, s10, v23
	s_wait_alu 0xfffd
	v_add_co_ci_u32_e64 v19, null, s11, v24, vcc_lo
	s_delay_alu instid0(VALU_DEP_3) | instskip(SKIP_4) | instid1(VALU_DEP_2)
	v_add_co_u32 v25, vcc_lo, s8, v25
	global_load_b32 v28, v[18:19], off
	v_add_nc_u32_e32 v5, -4, v2
	s_wait_alu 0xfffd
	v_add_co_ci_u32_e64 v26, null, s9, v26, vcc_lo
	v_lshlrev_b64_e32 v[23:24], 2, v[5:6]
	v_add_nc_u32_e32 v5, -1, v2
	global_load_b32 v29, v[25:26], off
	v_add_co_u32 v23, vcc_lo, s8, v23
	v_lshlrev_b64_e32 v[18:19], 2, v[5:6]
	v_add_nc_u32_e32 v5, 2, v17
	s_wait_alu 0xfffd
	v_add_co_ci_u32_e64 v24, null, s9, v24, vcc_lo
	s_delay_alu instid0(VALU_DEP_3)
	v_add_co_u32 v17, vcc_lo, s8, v18
	global_load_b32 v30, v[23:24], off
	v_lshlrev_b64_e32 v[25:26], 2, v[5:6]
	v_add_nc_u32_e32 v5, -6, v2
	s_wait_alu 0xfffd
	v_add_co_ci_u32_e64 v18, null, s9, v19, vcc_lo
	s_delay_alu instid0(VALU_DEP_2)
	v_lshlrev_b64_e32 v[19:20], 2, v[5:6]
	v_add_nc_u32_e32 v5, -3, v2
	global_load_b32 v31, v[17:18], off
	v_add_co_u32 v17, vcc_lo, s10, v25
	s_wait_alu 0xfffd
	v_add_co_ci_u32_e64 v18, null, s11, v26, vcc_lo
	v_lshlrev_b64_e32 v[23:24], 2, v[5:6]
	v_add_co_u32 v19, vcc_lo, s8, v19
	s_wait_alu 0xfffd
	v_add_co_ci_u32_e64 v20, null, s9, v20, vcc_lo
	v_add_nc_u32_e32 v2, 0x60, v2
	s_delay_alu instid0(VALU_DEP_4)
	v_add_co_u32 v23, vcc_lo, s8, v23
	s_wait_alu 0xfffd
	v_add_co_ci_u32_e64 v24, null, s9, v24, vcc_lo
	global_load_b32 v5, v[17:18], off
	s_clause 0x2
	global_load_b32 v17, v[19:20], off
	global_load_b32 v18, v[23:24], off
	;; [unrolled: 1-line block ×3, first 2 shown]
	v_cmp_ge_i32_e32 vcc_lo, v0, v12
	s_wait_alu 0xfffe
	s_or_b32 s2, vcc_lo, s2
	s_wait_loadcnt 0x5
	v_fmac_f32_e32 v10, v30, v28
	s_wait_loadcnt 0x4
	v_fmac_f32_e32 v9, v31, v28
	v_fmac_f32_e32 v8, v14, v28
	s_wait_loadcnt 0x3
	s_delay_alu instid0(VALU_DEP_1) | instskip(SKIP_1) | instid1(VALU_DEP_1)
	v_dual_fmac_f32 v11, v29, v28 :: v_dual_fmac_f32 v8, v15, v5
	s_wait_loadcnt 0x2
	v_fmac_f32_e32 v11, v17, v5
	s_wait_loadcnt 0x1
	v_fmac_f32_e32 v10, v18, v5
	;; [unrolled: 2-line block ×3, first 2 shown]
	s_wait_alu 0xfffe
	s_and_not1_b32 exec_lo, exec_lo, s2
	s_cbranch_execnz .LBB11_15
; %bb.16:
	s_or_b32 exec_lo, exec_lo, s2
.LBB11_17:
	s_wait_alu 0xfffe
	s_or_b32 exec_lo, exec_lo, s3
.LBB11_18:
	v_mbcnt_lo_u32_b32 v0, -1, 0
	s_mov_b32 s2, -1
	s_delay_alu instid0(VALU_DEP_1) | instskip(SKIP_1) | instid1(VALU_DEP_2)
	v_xor_b32_e32 v1, 4, v0
	v_xor_b32_e32 v6, 2, v0
	v_cmp_gt_i32_e32 vcc_lo, 32, v1
	s_wait_alu 0xfffd
	v_cndmask_b32_e32 v1, v0, v1, vcc_lo
	s_delay_alu instid0(VALU_DEP_3) | instskip(SKIP_2) | instid1(VALU_DEP_1)
	v_cmp_gt_i32_e32 vcc_lo, 32, v6
	s_wait_alu 0xfffd
	v_cndmask_b32_e32 v6, v0, v6, vcc_lo
	v_lshlrev_b32_e32 v6, 2, v6
	v_lshlrev_b32_e32 v1, 2, v1
	ds_bpermute_b32 v2, v1, v8
	s_wait_dscnt 0x0
	v_add_f32_e32 v2, v8, v2
	ds_bpermute_b32 v3, v1, v11
	ds_bpermute_b32 v5, v1, v10
	;; [unrolled: 1-line block ×3, first 2 shown]
	s_wait_dscnt 0x2
	v_add_f32_e32 v3, v11, v3
	v_xor_b32_e32 v11, 1, v0
	s_delay_alu instid0(VALU_DEP_1)
	v_cmp_gt_i32_e32 vcc_lo, 32, v11
	s_wait_dscnt 0x1
	s_wait_alu 0xfffd
	v_dual_add_f32 v5, v10, v5 :: v_dual_cndmask_b32 v0, v0, v11
	s_wait_dscnt 0x0
	v_add_f32_e32 v8, v9, v1
	ds_bpermute_b32 v1, v6, v2
	ds_bpermute_b32 v9, v6, v3
	;; [unrolled: 1-line block ×3, first 2 shown]
	v_lshlrev_b32_e32 v11, 2, v0
	ds_bpermute_b32 v6, v6, v8
	v_cmp_eq_u32_e32 vcc_lo, 7, v7
	s_wait_dscnt 0x3
	v_add_f32_e32 v0, v2, v1
	s_wait_dscnt 0x1
	v_dual_add_f32 v1, v3, v9 :: v_dual_add_f32 v2, v5, v10
	s_wait_dscnt 0x0
	v_add_f32_e32 v3, v8, v6
	ds_bpermute_b32 v5, v11, v0
	ds_bpermute_b32 v6, v11, v1
	;; [unrolled: 1-line block ×4, first 2 shown]
	s_and_b32 exec_lo, exec_lo, vcc_lo
	s_cbranch_execz .LBB11_23
; %bb.19:
	s_load_b64 s[0:1], s[0:1], 0x38
	s_wait_dscnt 0x2
	v_dual_add_f32 v0, v0, v5 :: v_dual_add_f32 v1, v1, v6
	s_wait_dscnt 0x0
	v_dual_add_f32 v2, v2, v8 :: v_dual_add_f32 v3, v3, v9
	v_lshlrev_b32_e32 v4, 2, v4
	s_delay_alu instid0(VALU_DEP_3) | instskip(NEXT) | instid1(VALU_DEP_3)
	v_dual_mul_f32 v0, s14, v0 :: v_dual_mul_f32 v1, s14, v1
	v_dual_mul_f32 v2, s14, v2 :: v_dual_mul_f32 v3, s14, v3
	s_cmp_eq_f32 s12, 0
	s_cbranch_scc0 .LBB11_21
; %bb.20:
	v_ashrrev_i32_e32 v5, 31, v4
	s_mov_b32 s2, 0
	s_delay_alu instid0(VALU_DEP_1) | instskip(SKIP_1) | instid1(VALU_DEP_1)
	v_lshlrev_b64_e32 v[5:6], 2, v[4:5]
	s_wait_kmcnt 0x0
	v_add_co_u32 v5, vcc_lo, s0, v5
	s_wait_alu 0xfffd
	s_delay_alu instid0(VALU_DEP_2)
	v_add_co_ci_u32_e64 v6, null, s1, v6, vcc_lo
	global_store_b128 v[5:6], v[0:3], off
.LBB11_21:
	s_wait_alu 0xfffe
	s_and_not1_b32 vcc_lo, exec_lo, s2
	s_wait_alu 0xfffe
	s_cbranch_vccnz .LBB11_23
; %bb.22:
	v_ashrrev_i32_e32 v5, 31, v4
	s_delay_alu instid0(VALU_DEP_1) | instskip(SKIP_1) | instid1(VALU_DEP_1)
	v_lshlrev_b64_e32 v[4:5], 2, v[4:5]
	s_wait_kmcnt 0x0
	v_add_co_u32 v8, vcc_lo, s0, v4
	s_wait_alu 0xfffd
	s_delay_alu instid0(VALU_DEP_2)
	v_add_co_ci_u32_e64 v9, null, s1, v5, vcc_lo
	global_load_b128 v[4:7], v[8:9], off
	s_wait_loadcnt 0x0
	v_dual_fmac_f32 v0, s12, v4 :: v_dual_fmac_f32 v1, s12, v5
	v_dual_fmac_f32 v2, s12, v6 :: v_dual_fmac_f32 v3, s12, v7
	global_store_b128 v[8:9], v[0:3], off
.LBB11_23:
	s_endpgm
	.section	.rodata,"a",@progbits
	.p2align	6, 0x0
	.amdhsa_kernel _ZN9rocsparseL19gebsrmvn_4xn_kernelILj128ELj3ELj8EfEEvi20rocsparse_direction_NS_24const_host_device_scalarIT2_EEPKiS6_PKS3_S8_S4_PS3_21rocsparse_index_base_b
		.amdhsa_group_segment_fixed_size 0
		.amdhsa_private_segment_fixed_size 0
		.amdhsa_kernarg_size 72
		.amdhsa_user_sgpr_count 2
		.amdhsa_user_sgpr_dispatch_ptr 0
		.amdhsa_user_sgpr_queue_ptr 0
		.amdhsa_user_sgpr_kernarg_segment_ptr 1
		.amdhsa_user_sgpr_dispatch_id 0
		.amdhsa_user_sgpr_private_segment_size 0
		.amdhsa_wavefront_size32 1
		.amdhsa_uses_dynamic_stack 0
		.amdhsa_enable_private_segment 0
		.amdhsa_system_sgpr_workgroup_id_x 1
		.amdhsa_system_sgpr_workgroup_id_y 0
		.amdhsa_system_sgpr_workgroup_id_z 0
		.amdhsa_system_sgpr_workgroup_info 0
		.amdhsa_system_vgpr_workitem_id 0
		.amdhsa_next_free_vgpr 32
		.amdhsa_next_free_sgpr 18
		.amdhsa_reserve_vcc 1
		.amdhsa_float_round_mode_32 0
		.amdhsa_float_round_mode_16_64 0
		.amdhsa_float_denorm_mode_32 3
		.amdhsa_float_denorm_mode_16_64 3
		.amdhsa_fp16_overflow 0
		.amdhsa_workgroup_processor_mode 1
		.amdhsa_memory_ordered 1
		.amdhsa_forward_progress 1
		.amdhsa_inst_pref_size 16
		.amdhsa_round_robin_scheduling 0
		.amdhsa_exception_fp_ieee_invalid_op 0
		.amdhsa_exception_fp_denorm_src 0
		.amdhsa_exception_fp_ieee_div_zero 0
		.amdhsa_exception_fp_ieee_overflow 0
		.amdhsa_exception_fp_ieee_underflow 0
		.amdhsa_exception_fp_ieee_inexact 0
		.amdhsa_exception_int_div_zero 0
	.end_amdhsa_kernel
	.section	.text._ZN9rocsparseL19gebsrmvn_4xn_kernelILj128ELj3ELj8EfEEvi20rocsparse_direction_NS_24const_host_device_scalarIT2_EEPKiS6_PKS3_S8_S4_PS3_21rocsparse_index_base_b,"axG",@progbits,_ZN9rocsparseL19gebsrmvn_4xn_kernelILj128ELj3ELj8EfEEvi20rocsparse_direction_NS_24const_host_device_scalarIT2_EEPKiS6_PKS3_S8_S4_PS3_21rocsparse_index_base_b,comdat
.Lfunc_end11:
	.size	_ZN9rocsparseL19gebsrmvn_4xn_kernelILj128ELj3ELj8EfEEvi20rocsparse_direction_NS_24const_host_device_scalarIT2_EEPKiS6_PKS3_S8_S4_PS3_21rocsparse_index_base_b, .Lfunc_end11-_ZN9rocsparseL19gebsrmvn_4xn_kernelILj128ELj3ELj8EfEEvi20rocsparse_direction_NS_24const_host_device_scalarIT2_EEPKiS6_PKS3_S8_S4_PS3_21rocsparse_index_base_b
                                        ; -- End function
	.set _ZN9rocsparseL19gebsrmvn_4xn_kernelILj128ELj3ELj8EfEEvi20rocsparse_direction_NS_24const_host_device_scalarIT2_EEPKiS6_PKS3_S8_S4_PS3_21rocsparse_index_base_b.num_vgpr, 32
	.set _ZN9rocsparseL19gebsrmvn_4xn_kernelILj128ELj3ELj8EfEEvi20rocsparse_direction_NS_24const_host_device_scalarIT2_EEPKiS6_PKS3_S8_S4_PS3_21rocsparse_index_base_b.num_agpr, 0
	.set _ZN9rocsparseL19gebsrmvn_4xn_kernelILj128ELj3ELj8EfEEvi20rocsparse_direction_NS_24const_host_device_scalarIT2_EEPKiS6_PKS3_S8_S4_PS3_21rocsparse_index_base_b.numbered_sgpr, 18
	.set _ZN9rocsparseL19gebsrmvn_4xn_kernelILj128ELj3ELj8EfEEvi20rocsparse_direction_NS_24const_host_device_scalarIT2_EEPKiS6_PKS3_S8_S4_PS3_21rocsparse_index_base_b.num_named_barrier, 0
	.set _ZN9rocsparseL19gebsrmvn_4xn_kernelILj128ELj3ELj8EfEEvi20rocsparse_direction_NS_24const_host_device_scalarIT2_EEPKiS6_PKS3_S8_S4_PS3_21rocsparse_index_base_b.private_seg_size, 0
	.set _ZN9rocsparseL19gebsrmvn_4xn_kernelILj128ELj3ELj8EfEEvi20rocsparse_direction_NS_24const_host_device_scalarIT2_EEPKiS6_PKS3_S8_S4_PS3_21rocsparse_index_base_b.uses_vcc, 1
	.set _ZN9rocsparseL19gebsrmvn_4xn_kernelILj128ELj3ELj8EfEEvi20rocsparse_direction_NS_24const_host_device_scalarIT2_EEPKiS6_PKS3_S8_S4_PS3_21rocsparse_index_base_b.uses_flat_scratch, 0
	.set _ZN9rocsparseL19gebsrmvn_4xn_kernelILj128ELj3ELj8EfEEvi20rocsparse_direction_NS_24const_host_device_scalarIT2_EEPKiS6_PKS3_S8_S4_PS3_21rocsparse_index_base_b.has_dyn_sized_stack, 0
	.set _ZN9rocsparseL19gebsrmvn_4xn_kernelILj128ELj3ELj8EfEEvi20rocsparse_direction_NS_24const_host_device_scalarIT2_EEPKiS6_PKS3_S8_S4_PS3_21rocsparse_index_base_b.has_recursion, 0
	.set _ZN9rocsparseL19gebsrmvn_4xn_kernelILj128ELj3ELj8EfEEvi20rocsparse_direction_NS_24const_host_device_scalarIT2_EEPKiS6_PKS3_S8_S4_PS3_21rocsparse_index_base_b.has_indirect_call, 0
	.section	.AMDGPU.csdata,"",@progbits
; Kernel info:
; codeLenInByte = 2044
; TotalNumSgprs: 20
; NumVgprs: 32
; ScratchSize: 0
; MemoryBound: 0
; FloatMode: 240
; IeeeMode: 1
; LDSByteSize: 0 bytes/workgroup (compile time only)
; SGPRBlocks: 0
; VGPRBlocks: 3
; NumSGPRsForWavesPerEU: 20
; NumVGPRsForWavesPerEU: 32
; Occupancy: 16
; WaveLimiterHint : 1
; COMPUTE_PGM_RSRC2:SCRATCH_EN: 0
; COMPUTE_PGM_RSRC2:USER_SGPR: 2
; COMPUTE_PGM_RSRC2:TRAP_HANDLER: 0
; COMPUTE_PGM_RSRC2:TGID_X_EN: 1
; COMPUTE_PGM_RSRC2:TGID_Y_EN: 0
; COMPUTE_PGM_RSRC2:TGID_Z_EN: 0
; COMPUTE_PGM_RSRC2:TIDIG_COMP_CNT: 0
	.section	.text._ZN9rocsparseL19gebsrmvn_4xn_kernelILj128ELj3ELj16EfEEvi20rocsparse_direction_NS_24const_host_device_scalarIT2_EEPKiS6_PKS3_S8_S4_PS3_21rocsparse_index_base_b,"axG",@progbits,_ZN9rocsparseL19gebsrmvn_4xn_kernelILj128ELj3ELj16EfEEvi20rocsparse_direction_NS_24const_host_device_scalarIT2_EEPKiS6_PKS3_S8_S4_PS3_21rocsparse_index_base_b,comdat
	.globl	_ZN9rocsparseL19gebsrmvn_4xn_kernelILj128ELj3ELj16EfEEvi20rocsparse_direction_NS_24const_host_device_scalarIT2_EEPKiS6_PKS3_S8_S4_PS3_21rocsparse_index_base_b ; -- Begin function _ZN9rocsparseL19gebsrmvn_4xn_kernelILj128ELj3ELj16EfEEvi20rocsparse_direction_NS_24const_host_device_scalarIT2_EEPKiS6_PKS3_S8_S4_PS3_21rocsparse_index_base_b
	.p2align	8
	.type	_ZN9rocsparseL19gebsrmvn_4xn_kernelILj128ELj3ELj16EfEEvi20rocsparse_direction_NS_24const_host_device_scalarIT2_EEPKiS6_PKS3_S8_S4_PS3_21rocsparse_index_base_b,@function
_ZN9rocsparseL19gebsrmvn_4xn_kernelILj128ELj3ELj16EfEEvi20rocsparse_direction_NS_24const_host_device_scalarIT2_EEPKiS6_PKS3_S8_S4_PS3_21rocsparse_index_base_b: ; @_ZN9rocsparseL19gebsrmvn_4xn_kernelILj128ELj3ELj16EfEEvi20rocsparse_direction_NS_24const_host_device_scalarIT2_EEPKiS6_PKS3_S8_S4_PS3_21rocsparse_index_base_b
; %bb.0:
	s_clause 0x2
	s_load_b64 s[16:17], s[0:1], 0x40
	s_load_b64 s[14:15], s[0:1], 0x8
	s_load_b64 s[12:13], s[0:1], 0x30
	s_wait_kmcnt 0x0
	s_bitcmp1_b32 s17, 0
	s_cselect_b32 s2, -1, 0
	s_delay_alu instid0(SALU_CYCLE_1)
	s_and_b32 vcc_lo, exec_lo, s2
	s_xor_b32 s2, s2, -1
	s_cbranch_vccnz .LBB12_2
; %bb.1:
	s_load_b32 s14, s[14:15], 0x0
.LBB12_2:
	s_and_not1_b32 vcc_lo, exec_lo, s2
	s_cbranch_vccnz .LBB12_4
; %bb.3:
	s_load_b32 s12, s[12:13], 0x0
.LBB12_4:
	s_wait_kmcnt 0x0
	s_cmp_eq_f32 s14, 0
	s_cselect_b32 s2, -1, 0
	s_cmp_eq_f32 s12, 1.0
	s_cselect_b32 s3, -1, 0
	s_delay_alu instid0(SALU_CYCLE_1) | instskip(NEXT) | instid1(SALU_CYCLE_1)
	s_and_b32 s2, s2, s3
	s_and_b32 vcc_lo, exec_lo, s2
	s_cbranch_vccnz .LBB12_23
; %bb.5:
	s_load_b64 s[2:3], s[0:1], 0x0
	v_lshrrev_b32_e32 v1, 4, v0
	s_delay_alu instid0(VALU_DEP_1) | instskip(SKIP_1) | instid1(VALU_DEP_1)
	v_lshl_or_b32 v4, ttmp9, 3, v1
	s_wait_kmcnt 0x0
	v_cmp_gt_i32_e32 vcc_lo, s2, v4
	s_and_saveexec_b32 s2, vcc_lo
	s_cbranch_execz .LBB12_23
; %bb.6:
	s_load_b256 s[4:11], s[0:1], 0x10
	v_ashrrev_i32_e32 v5, 31, v4
	v_and_b32_e32 v7, 15, v0
	s_cmp_lg_u32 s3, 0
	s_delay_alu instid0(VALU_DEP_2) | instskip(SKIP_1) | instid1(VALU_DEP_1)
	v_lshlrev_b64_e32 v[1:2], 2, v[4:5]
	s_wait_kmcnt 0x0
	v_add_co_u32 v1, vcc_lo, s4, v1
	s_delay_alu instid0(VALU_DEP_1) | instskip(SKIP_4) | instid1(VALU_DEP_2)
	v_add_co_ci_u32_e64 v2, null, s5, v2, vcc_lo
	global_load_b64 v[1:2], v[1:2], off
	s_wait_loadcnt 0x0
	v_subrev_nc_u32_e32 v0, s16, v1
	v_subrev_nc_u32_e32 v12, s16, v2
	v_add_nc_u32_e32 v0, v0, v7
	s_delay_alu instid0(VALU_DEP_1)
	v_cmp_lt_i32_e64 s2, v0, v12
	s_cbranch_scc0 .LBB12_12
; %bb.7:
	v_dual_mov_b32 v8, 0 :: v_dual_mov_b32 v9, 0
	v_dual_mov_b32 v10, 0 :: v_dual_mov_b32 v11, 0
	s_and_saveexec_b32 s3, s2
	s_cbranch_execz .LBB12_11
; %bb.8:
	v_dual_mov_b32 v2, 0 :: v_dual_mov_b32 v5, v0
	v_mul_lo_u32 v1, v0, 12
	s_mov_b32 s4, 0
	s_delay_alu instid0(VALU_DEP_2)
	v_dual_mov_b32 v8, v2 :: v_dual_mov_b32 v9, v2
	v_dual_mov_b32 v10, v2 :: v_dual_mov_b32 v11, v2
.LBB12_9:                               ; =>This Inner Loop Header: Depth=1
	v_ashrrev_i32_e32 v6, 31, v5
	s_delay_alu instid0(VALU_DEP_4) | instskip(SKIP_1) | instid1(VALU_DEP_3)
	v_dual_mov_b32 v16, v2 :: v_dual_add_nc_u32 v15, 4, v1
	v_dual_mov_b32 v18, v2 :: v_dual_add_nc_u32 v17, 8, v1
	v_lshlrev_b64_e32 v[13:14], 2, v[5:6]
	v_mov_b32_e32 v26, v2
	s_delay_alu instid0(VALU_DEP_4)
	v_lshlrev_b64_e32 v[19:20], 2, v[15:16]
	v_add_nc_u32_e32 v5, 16, v5
	v_lshlrev_b64_e32 v[17:18], 2, v[17:18]
	v_add_co_u32 v13, vcc_lo, s6, v13
	s_wait_alu 0xfffd
	v_add_co_ci_u32_e64 v14, null, s7, v14, vcc_lo
	global_load_b32 v3, v[13:14], off
	v_lshlrev_b64_e32 v[13:14], 2, v[1:2]
	v_add_nc_u32_e32 v1, 0xc0, v1
	s_delay_alu instid0(VALU_DEP_2) | instskip(SKIP_1) | instid1(VALU_DEP_3)
	v_add_co_u32 v13, vcc_lo, s8, v13
	s_wait_alu 0xfffd
	v_add_co_ci_u32_e64 v14, null, s9, v14, vcc_lo
	v_add_co_u32 v19, vcc_lo, s8, v19
	s_wait_alu 0xfffd
	v_add_co_ci_u32_e64 v20, null, s9, v20, vcc_lo
	;; [unrolled: 3-line block ×3, first 2 shown]
	s_clause 0x1
	global_load_b128 v[13:16], v[13:14], off
	global_load_b128 v[17:20], v[19:20], off
	s_wait_loadcnt 0x2
	v_subrev_nc_u32_e32 v3, s16, v3
	s_delay_alu instid0(VALU_DEP_1) | instskip(SKIP_1) | instid1(VALU_DEP_2)
	v_lshl_add_u32 v21, v3, 1, v3
	v_mov_b32_e32 v22, v2
	v_dual_mov_b32 v24, v2 :: v_dual_add_nc_u32 v25, 2, v21
	v_add_nc_u32_e32 v23, 1, v21
	s_delay_alu instid0(VALU_DEP_3) | instskip(NEXT) | instid1(VALU_DEP_3)
	v_lshlrev_b64_e32 v[21:22], 2, v[21:22]
	v_lshlrev_b64_e32 v[25:26], 2, v[25:26]
	s_delay_alu instid0(VALU_DEP_3) | instskip(NEXT) | instid1(VALU_DEP_3)
	v_lshlrev_b64_e32 v[23:24], 2, v[23:24]
	v_add_co_u32 v21, vcc_lo, s10, v21
	s_wait_alu 0xfffd
	s_delay_alu instid0(VALU_DEP_4)
	v_add_co_ci_u32_e64 v22, null, s11, v22, vcc_lo
	global_load_b32 v3, v[21:22], off
	v_add_co_u32 v21, vcc_lo, s10, v23
	s_wait_alu 0xfffd
	v_add_co_ci_u32_e64 v22, null, s11, v24, vcc_lo
	v_add_co_u32 v25, vcc_lo, s10, v25
	s_wait_alu 0xfffd
	v_add_co_ci_u32_e64 v26, null, s11, v26, vcc_lo
	global_load_b32 v6, v[21:22], off
	global_load_b128 v[21:24], v[27:28], off
	global_load_b32 v25, v[25:26], off
	v_cmp_ge_i32_e32 vcc_lo, v5, v12
	s_wait_alu 0xfffe
	s_or_b32 s4, vcc_lo, s4
	s_wait_loadcnt 0x3
	v_fmac_f32_e32 v8, v13, v3
	s_wait_loadcnt 0x2
	s_delay_alu instid0(VALU_DEP_1) | instskip(NEXT) | instid1(VALU_DEP_1)
	v_dual_fmac_f32 v11, v14, v3 :: v_dual_fmac_f32 v8, v17, v6
	v_dual_fmac_f32 v10, v15, v3 :: v_dual_fmac_f32 v11, v18, v6
	s_wait_loadcnt 0x0
	s_delay_alu instid0(VALU_DEP_2) | instskip(NEXT) | instid1(VALU_DEP_2)
	v_dual_fmac_f32 v9, v16, v3 :: v_dual_fmac_f32 v8, v21, v25
	v_dual_fmac_f32 v10, v19, v6 :: v_dual_fmac_f32 v11, v22, v25
	s_delay_alu instid0(VALU_DEP_1) | instskip(NEXT) | instid1(VALU_DEP_1)
	v_dual_fmac_f32 v9, v20, v6 :: v_dual_fmac_f32 v10, v23, v25
	v_fmac_f32_e32 v9, v24, v25
	s_wait_alu 0xfffe
	s_and_not1_b32 exec_lo, exec_lo, s4
	s_cbranch_execnz .LBB12_9
; %bb.10:
	s_or_b32 exec_lo, exec_lo, s4
.LBB12_11:
	s_wait_alu 0xfffe
	s_or_b32 exec_lo, exec_lo, s3
	s_cbranch_execz .LBB12_13
	s_branch .LBB12_18
.LBB12_12:
                                        ; implicit-def: $vgpr8
                                        ; implicit-def: $vgpr9
                                        ; implicit-def: $vgpr10
                                        ; implicit-def: $vgpr11
.LBB12_13:
	v_dual_mov_b32 v8, 0 :: v_dual_mov_b32 v9, 0
	v_dual_mov_b32 v10, 0 :: v_dual_mov_b32 v11, 0
	s_and_saveexec_b32 s3, s2
	s_cbranch_execz .LBB12_17
; %bb.14:
	v_mad_co_u64_u32 v[2:3], null, v0, 12, 11
	v_dual_mov_b32 v6, 0 :: v_dual_mov_b32 v9, 0
	v_dual_mov_b32 v8, 0 :: v_dual_mov_b32 v11, 0
	v_mov_b32_e32 v10, 0
	s_mov_b32 s2, 0
.LBB12_15:                              ; =>This Inner Loop Header: Depth=1
	v_ashrrev_i32_e32 v1, 31, v0
	v_dual_mov_b32 v18, v6 :: v_dual_add_nc_u32 v5, -11, v2
	v_dual_mov_b32 v16, v6 :: v_dual_add_nc_u32 v15, -2, v2
	s_delay_alu instid0(VALU_DEP_3) | instskip(NEXT) | instid1(VALU_DEP_3)
	v_lshlrev_b64_e32 v[13:14], 2, v[0:1]
	v_lshlrev_b64_e32 v[19:20], 2, v[5:6]
	v_dual_mov_b32 v3, v6 :: v_dual_add_nc_u32 v0, 16, v0
	s_delay_alu instid0(VALU_DEP_4) | instskip(NEXT) | instid1(VALU_DEP_4)
	v_lshlrev_b64_e32 v[15:16], 2, v[15:16]
	v_add_co_u32 v13, vcc_lo, s6, v13
	s_wait_alu 0xfffd
	v_add_co_ci_u32_e64 v14, null, s7, v14, vcc_lo
	v_add_co_u32 v19, vcc_lo, s8, v19
	s_wait_alu 0xfffd
	v_add_co_ci_u32_e64 v20, null, s9, v20, vcc_lo
	global_load_b32 v1, v[13:14], off
	v_dual_mov_b32 v14, v6 :: v_dual_add_nc_u32 v13, -5, v2
	v_lshlrev_b64_e32 v[21:22], 2, v[2:3]
	s_delay_alu instid0(VALU_DEP_2) | instskip(NEXT) | instid1(VALU_DEP_1)
	v_lshlrev_b64_e32 v[13:14], 2, v[13:14]
	v_add_co_u32 v23, vcc_lo, s8, v13
	s_wait_alu 0xfffd
	s_delay_alu instid0(VALU_DEP_2)
	v_add_co_ci_u32_e64 v24, null, s9, v14, vcc_lo
	v_add_co_u32 v25, vcc_lo, s8, v15
	s_wait_alu 0xfffd
	v_add_co_ci_u32_e64 v26, null, s9, v16, vcc_lo
	s_clause 0x2
	global_load_b128 v[13:16], v[19:20], off
	global_load_b32 v3, v[23:24], off
	global_load_b32 v27, v[25:26], off
	v_add_co_u32 v21, vcc_lo, s8, v21
	s_wait_alu 0xfffd
	v_add_co_ci_u32_e64 v22, null, s9, v22, vcc_lo
	s_wait_loadcnt 0x3
	v_subrev_nc_u32_e32 v1, s16, v1
	s_delay_alu instid0(VALU_DEP_1) | instskip(NEXT) | instid1(VALU_DEP_1)
	v_lshl_add_u32 v17, v1, 1, v1
	v_lshlrev_b64_e32 v[18:19], 2, v[17:18]
	s_delay_alu instid0(VALU_DEP_1) | instskip(SKIP_1) | instid1(VALU_DEP_2)
	v_add_co_u32 v18, vcc_lo, s10, v18
	s_wait_alu 0xfffd
	v_add_co_ci_u32_e64 v19, null, s11, v19, vcc_lo
	global_load_b32 v1, v[18:19], off
	s_wait_loadcnt 0x0
	v_fmac_f32_e32 v9, v27, v1
	v_fmac_f32_e32 v8, v13, v1
	v_add_nc_u32_e32 v5, 1, v17
	v_fmac_f32_e32 v11, v16, v1
	v_fmac_f32_e32 v10, v3, v1
	s_delay_alu instid0(VALU_DEP_3) | instskip(SKIP_1) | instid1(VALU_DEP_1)
	v_lshlrev_b64_e32 v[23:24], 2, v[5:6]
	v_add_nc_u32_e32 v5, -7, v2
	v_lshlrev_b64_e32 v[25:26], 2, v[5:6]
	s_delay_alu instid0(VALU_DEP_3) | instskip(SKIP_1) | instid1(VALU_DEP_4)
	v_add_co_u32 v18, vcc_lo, s10, v23
	s_wait_alu 0xfffd
	v_add_co_ci_u32_e64 v19, null, s11, v24, vcc_lo
	s_delay_alu instid0(VALU_DEP_3) | instskip(SKIP_4) | instid1(VALU_DEP_2)
	v_add_co_u32 v25, vcc_lo, s8, v25
	global_load_b32 v28, v[18:19], off
	v_add_nc_u32_e32 v5, -4, v2
	s_wait_alu 0xfffd
	v_add_co_ci_u32_e64 v26, null, s9, v26, vcc_lo
	v_lshlrev_b64_e32 v[23:24], 2, v[5:6]
	v_add_nc_u32_e32 v5, -1, v2
	global_load_b32 v29, v[25:26], off
	v_add_co_u32 v23, vcc_lo, s8, v23
	v_lshlrev_b64_e32 v[18:19], 2, v[5:6]
	v_add_nc_u32_e32 v5, 2, v17
	s_wait_alu 0xfffd
	v_add_co_ci_u32_e64 v24, null, s9, v24, vcc_lo
	s_delay_alu instid0(VALU_DEP_3)
	v_add_co_u32 v17, vcc_lo, s8, v18
	global_load_b32 v30, v[23:24], off
	v_lshlrev_b64_e32 v[25:26], 2, v[5:6]
	v_add_nc_u32_e32 v5, -6, v2
	s_wait_alu 0xfffd
	v_add_co_ci_u32_e64 v18, null, s9, v19, vcc_lo
	s_delay_alu instid0(VALU_DEP_2)
	v_lshlrev_b64_e32 v[19:20], 2, v[5:6]
	v_add_nc_u32_e32 v5, -3, v2
	global_load_b32 v31, v[17:18], off
	v_add_co_u32 v17, vcc_lo, s10, v25
	s_wait_alu 0xfffd
	v_add_co_ci_u32_e64 v18, null, s11, v26, vcc_lo
	v_lshlrev_b64_e32 v[23:24], 2, v[5:6]
	v_add_co_u32 v19, vcc_lo, s8, v19
	s_wait_alu 0xfffd
	v_add_co_ci_u32_e64 v20, null, s9, v20, vcc_lo
	v_add_nc_u32_e32 v2, 0xc0, v2
	s_delay_alu instid0(VALU_DEP_4)
	v_add_co_u32 v23, vcc_lo, s8, v23
	s_wait_alu 0xfffd
	v_add_co_ci_u32_e64 v24, null, s9, v24, vcc_lo
	global_load_b32 v5, v[17:18], off
	s_clause 0x2
	global_load_b32 v17, v[19:20], off
	global_load_b32 v18, v[23:24], off
	;; [unrolled: 1-line block ×3, first 2 shown]
	v_cmp_ge_i32_e32 vcc_lo, v0, v12
	s_wait_alu 0xfffe
	s_or_b32 s2, vcc_lo, s2
	s_wait_loadcnt 0x5
	v_fmac_f32_e32 v10, v30, v28
	s_wait_loadcnt 0x4
	v_fmac_f32_e32 v9, v31, v28
	v_fmac_f32_e32 v8, v14, v28
	s_wait_loadcnt 0x3
	s_delay_alu instid0(VALU_DEP_1) | instskip(SKIP_1) | instid1(VALU_DEP_1)
	v_dual_fmac_f32 v11, v29, v28 :: v_dual_fmac_f32 v8, v15, v5
	s_wait_loadcnt 0x2
	v_fmac_f32_e32 v11, v17, v5
	s_wait_loadcnt 0x1
	v_fmac_f32_e32 v10, v18, v5
	;; [unrolled: 2-line block ×3, first 2 shown]
	s_wait_alu 0xfffe
	s_and_not1_b32 exec_lo, exec_lo, s2
	s_cbranch_execnz .LBB12_15
; %bb.16:
	s_or_b32 exec_lo, exec_lo, s2
.LBB12_17:
	s_wait_alu 0xfffe
	s_or_b32 exec_lo, exec_lo, s3
.LBB12_18:
	v_mbcnt_lo_u32_b32 v0, -1, 0
	s_mov_b32 s2, -1
	s_delay_alu instid0(VALU_DEP_1) | instskip(SKIP_1) | instid1(VALU_DEP_2)
	v_xor_b32_e32 v1, 8, v0
	v_xor_b32_e32 v6, 4, v0
	v_cmp_gt_i32_e32 vcc_lo, 32, v1
	s_wait_alu 0xfffd
	v_cndmask_b32_e32 v1, v0, v1, vcc_lo
	s_delay_alu instid0(VALU_DEP_3) | instskip(SKIP_2) | instid1(VALU_DEP_1)
	v_cmp_gt_i32_e32 vcc_lo, 32, v6
	s_wait_alu 0xfffd
	v_cndmask_b32_e32 v6, v0, v6, vcc_lo
	v_lshlrev_b32_e32 v6, 2, v6
	v_lshlrev_b32_e32 v1, 2, v1
	ds_bpermute_b32 v2, v1, v8
	s_wait_dscnt 0x0
	v_add_f32_e32 v2, v8, v2
	ds_bpermute_b32 v3, v1, v11
	ds_bpermute_b32 v5, v1, v10
	;; [unrolled: 1-line block ×4, first 2 shown]
	s_wait_dscnt 0x3
	v_add_f32_e32 v3, v11, v3
	v_xor_b32_e32 v11, 2, v0
	s_wait_dscnt 0x0
	v_dual_add_f32 v1, v9, v1 :: v_dual_add_f32 v2, v2, v8
	v_add_f32_e32 v5, v10, v5
	ds_bpermute_b32 v9, v6, v3
	v_cmp_gt_i32_e32 vcc_lo, 32, v11
	ds_bpermute_b32 v10, v6, v5
	ds_bpermute_b32 v6, v6, v1
	s_wait_alu 0xfffd
	v_cndmask_b32_e32 v11, v0, v11, vcc_lo
	s_wait_dscnt 0x0
	v_dual_add_f32 v3, v3, v9 :: v_dual_add_f32 v6, v1, v6
	v_add_f32_e32 v5, v5, v10
	s_delay_alu instid0(VALU_DEP_3)
	v_lshlrev_b32_e32 v11, 2, v11
	ds_bpermute_b32 v1, v11, v2
	ds_bpermute_b32 v8, v11, v3
	ds_bpermute_b32 v9, v11, v5
	ds_bpermute_b32 v10, v11, v6
	v_xor_b32_e32 v11, 1, v0
	s_delay_alu instid0(VALU_DEP_1) | instskip(SKIP_4) | instid1(VALU_DEP_2)
	v_cmp_gt_i32_e32 vcc_lo, 32, v11
	s_wait_alu 0xfffd
	v_cndmask_b32_e32 v0, v0, v11, vcc_lo
	v_cmp_eq_u32_e32 vcc_lo, 15, v7
	s_wait_dscnt 0x3
	v_dual_add_f32 v0, v2, v1 :: v_dual_lshlrev_b32 v11, 2, v0
	s_wait_dscnt 0x1
	v_dual_add_f32 v1, v3, v8 :: v_dual_add_f32 v2, v5, v9
	s_wait_dscnt 0x0
	v_add_f32_e32 v3, v6, v10
	ds_bpermute_b32 v5, v11, v0
	ds_bpermute_b32 v6, v11, v1
	;; [unrolled: 1-line block ×4, first 2 shown]
	s_and_b32 exec_lo, exec_lo, vcc_lo
	s_cbranch_execz .LBB12_23
; %bb.19:
	s_load_b64 s[0:1], s[0:1], 0x38
	s_wait_dscnt 0x2
	v_dual_add_f32 v0, v0, v5 :: v_dual_add_f32 v1, v1, v6
	s_wait_dscnt 0x0
	v_dual_add_f32 v2, v2, v8 :: v_dual_add_f32 v3, v3, v9
	v_lshlrev_b32_e32 v4, 2, v4
	s_delay_alu instid0(VALU_DEP_3) | instskip(NEXT) | instid1(VALU_DEP_3)
	v_dual_mul_f32 v0, s14, v0 :: v_dual_mul_f32 v1, s14, v1
	v_dual_mul_f32 v2, s14, v2 :: v_dual_mul_f32 v3, s14, v3
	s_cmp_eq_f32 s12, 0
	s_cbranch_scc0 .LBB12_21
; %bb.20:
	v_ashrrev_i32_e32 v5, 31, v4
	s_mov_b32 s2, 0
	s_delay_alu instid0(VALU_DEP_1) | instskip(SKIP_1) | instid1(VALU_DEP_1)
	v_lshlrev_b64_e32 v[5:6], 2, v[4:5]
	s_wait_kmcnt 0x0
	v_add_co_u32 v5, vcc_lo, s0, v5
	s_wait_alu 0xfffd
	s_delay_alu instid0(VALU_DEP_2)
	v_add_co_ci_u32_e64 v6, null, s1, v6, vcc_lo
	global_store_b128 v[5:6], v[0:3], off
.LBB12_21:
	s_wait_alu 0xfffe
	s_and_not1_b32 vcc_lo, exec_lo, s2
	s_wait_alu 0xfffe
	s_cbranch_vccnz .LBB12_23
; %bb.22:
	v_ashrrev_i32_e32 v5, 31, v4
	s_delay_alu instid0(VALU_DEP_1) | instskip(SKIP_1) | instid1(VALU_DEP_1)
	v_lshlrev_b64_e32 v[4:5], 2, v[4:5]
	s_wait_kmcnt 0x0
	v_add_co_u32 v8, vcc_lo, s0, v4
	s_wait_alu 0xfffd
	s_delay_alu instid0(VALU_DEP_2)
	v_add_co_ci_u32_e64 v9, null, s1, v5, vcc_lo
	global_load_b128 v[4:7], v[8:9], off
	s_wait_loadcnt 0x0
	v_dual_fmac_f32 v0, s12, v4 :: v_dual_fmac_f32 v1, s12, v5
	v_dual_fmac_f32 v2, s12, v6 :: v_dual_fmac_f32 v3, s12, v7
	global_store_b128 v[8:9], v[0:3], off
.LBB12_23:
	s_endpgm
	.section	.rodata,"a",@progbits
	.p2align	6, 0x0
	.amdhsa_kernel _ZN9rocsparseL19gebsrmvn_4xn_kernelILj128ELj3ELj16EfEEvi20rocsparse_direction_NS_24const_host_device_scalarIT2_EEPKiS6_PKS3_S8_S4_PS3_21rocsparse_index_base_b
		.amdhsa_group_segment_fixed_size 0
		.amdhsa_private_segment_fixed_size 0
		.amdhsa_kernarg_size 72
		.amdhsa_user_sgpr_count 2
		.amdhsa_user_sgpr_dispatch_ptr 0
		.amdhsa_user_sgpr_queue_ptr 0
		.amdhsa_user_sgpr_kernarg_segment_ptr 1
		.amdhsa_user_sgpr_dispatch_id 0
		.amdhsa_user_sgpr_private_segment_size 0
		.amdhsa_wavefront_size32 1
		.amdhsa_uses_dynamic_stack 0
		.amdhsa_enable_private_segment 0
		.amdhsa_system_sgpr_workgroup_id_x 1
		.amdhsa_system_sgpr_workgroup_id_y 0
		.amdhsa_system_sgpr_workgroup_id_z 0
		.amdhsa_system_sgpr_workgroup_info 0
		.amdhsa_system_vgpr_workitem_id 0
		.amdhsa_next_free_vgpr 32
		.amdhsa_next_free_sgpr 18
		.amdhsa_reserve_vcc 1
		.amdhsa_float_round_mode_32 0
		.amdhsa_float_round_mode_16_64 0
		.amdhsa_float_denorm_mode_32 3
		.amdhsa_float_denorm_mode_16_64 3
		.amdhsa_fp16_overflow 0
		.amdhsa_workgroup_processor_mode 1
		.amdhsa_memory_ordered 1
		.amdhsa_forward_progress 1
		.amdhsa_inst_pref_size 17
		.amdhsa_round_robin_scheduling 0
		.amdhsa_exception_fp_ieee_invalid_op 0
		.amdhsa_exception_fp_denorm_src 0
		.amdhsa_exception_fp_ieee_div_zero 0
		.amdhsa_exception_fp_ieee_overflow 0
		.amdhsa_exception_fp_ieee_underflow 0
		.amdhsa_exception_fp_ieee_inexact 0
		.amdhsa_exception_int_div_zero 0
	.end_amdhsa_kernel
	.section	.text._ZN9rocsparseL19gebsrmvn_4xn_kernelILj128ELj3ELj16EfEEvi20rocsparse_direction_NS_24const_host_device_scalarIT2_EEPKiS6_PKS3_S8_S4_PS3_21rocsparse_index_base_b,"axG",@progbits,_ZN9rocsparseL19gebsrmvn_4xn_kernelILj128ELj3ELj16EfEEvi20rocsparse_direction_NS_24const_host_device_scalarIT2_EEPKiS6_PKS3_S8_S4_PS3_21rocsparse_index_base_b,comdat
.Lfunc_end12:
	.size	_ZN9rocsparseL19gebsrmvn_4xn_kernelILj128ELj3ELj16EfEEvi20rocsparse_direction_NS_24const_host_device_scalarIT2_EEPKiS6_PKS3_S8_S4_PS3_21rocsparse_index_base_b, .Lfunc_end12-_ZN9rocsparseL19gebsrmvn_4xn_kernelILj128ELj3ELj16EfEEvi20rocsparse_direction_NS_24const_host_device_scalarIT2_EEPKiS6_PKS3_S8_S4_PS3_21rocsparse_index_base_b
                                        ; -- End function
	.set _ZN9rocsparseL19gebsrmvn_4xn_kernelILj128ELj3ELj16EfEEvi20rocsparse_direction_NS_24const_host_device_scalarIT2_EEPKiS6_PKS3_S8_S4_PS3_21rocsparse_index_base_b.num_vgpr, 32
	.set _ZN9rocsparseL19gebsrmvn_4xn_kernelILj128ELj3ELj16EfEEvi20rocsparse_direction_NS_24const_host_device_scalarIT2_EEPKiS6_PKS3_S8_S4_PS3_21rocsparse_index_base_b.num_agpr, 0
	.set _ZN9rocsparseL19gebsrmvn_4xn_kernelILj128ELj3ELj16EfEEvi20rocsparse_direction_NS_24const_host_device_scalarIT2_EEPKiS6_PKS3_S8_S4_PS3_21rocsparse_index_base_b.numbered_sgpr, 18
	.set _ZN9rocsparseL19gebsrmvn_4xn_kernelILj128ELj3ELj16EfEEvi20rocsparse_direction_NS_24const_host_device_scalarIT2_EEPKiS6_PKS3_S8_S4_PS3_21rocsparse_index_base_b.num_named_barrier, 0
	.set _ZN9rocsparseL19gebsrmvn_4xn_kernelILj128ELj3ELj16EfEEvi20rocsparse_direction_NS_24const_host_device_scalarIT2_EEPKiS6_PKS3_S8_S4_PS3_21rocsparse_index_base_b.private_seg_size, 0
	.set _ZN9rocsparseL19gebsrmvn_4xn_kernelILj128ELj3ELj16EfEEvi20rocsparse_direction_NS_24const_host_device_scalarIT2_EEPKiS6_PKS3_S8_S4_PS3_21rocsparse_index_base_b.uses_vcc, 1
	.set _ZN9rocsparseL19gebsrmvn_4xn_kernelILj128ELj3ELj16EfEEvi20rocsparse_direction_NS_24const_host_device_scalarIT2_EEPKiS6_PKS3_S8_S4_PS3_21rocsparse_index_base_b.uses_flat_scratch, 0
	.set _ZN9rocsparseL19gebsrmvn_4xn_kernelILj128ELj3ELj16EfEEvi20rocsparse_direction_NS_24const_host_device_scalarIT2_EEPKiS6_PKS3_S8_S4_PS3_21rocsparse_index_base_b.has_dyn_sized_stack, 0
	.set _ZN9rocsparseL19gebsrmvn_4xn_kernelILj128ELj3ELj16EfEEvi20rocsparse_direction_NS_24const_host_device_scalarIT2_EEPKiS6_PKS3_S8_S4_PS3_21rocsparse_index_base_b.has_recursion, 0
	.set _ZN9rocsparseL19gebsrmvn_4xn_kernelILj128ELj3ELj16EfEEvi20rocsparse_direction_NS_24const_host_device_scalarIT2_EEPKiS6_PKS3_S8_S4_PS3_21rocsparse_index_base_b.has_indirect_call, 0
	.section	.AMDGPU.csdata,"",@progbits
; Kernel info:
; codeLenInByte = 2116
; TotalNumSgprs: 20
; NumVgprs: 32
; ScratchSize: 0
; MemoryBound: 0
; FloatMode: 240
; IeeeMode: 1
; LDSByteSize: 0 bytes/workgroup (compile time only)
; SGPRBlocks: 0
; VGPRBlocks: 3
; NumSGPRsForWavesPerEU: 20
; NumVGPRsForWavesPerEU: 32
; Occupancy: 16
; WaveLimiterHint : 1
; COMPUTE_PGM_RSRC2:SCRATCH_EN: 0
; COMPUTE_PGM_RSRC2:USER_SGPR: 2
; COMPUTE_PGM_RSRC2:TRAP_HANDLER: 0
; COMPUTE_PGM_RSRC2:TGID_X_EN: 1
; COMPUTE_PGM_RSRC2:TGID_Y_EN: 0
; COMPUTE_PGM_RSRC2:TGID_Z_EN: 0
; COMPUTE_PGM_RSRC2:TIDIG_COMP_CNT: 0
	.section	.text._ZN9rocsparseL19gebsrmvn_4xn_kernelILj128ELj3ELj32EfEEvi20rocsparse_direction_NS_24const_host_device_scalarIT2_EEPKiS6_PKS3_S8_S4_PS3_21rocsparse_index_base_b,"axG",@progbits,_ZN9rocsparseL19gebsrmvn_4xn_kernelILj128ELj3ELj32EfEEvi20rocsparse_direction_NS_24const_host_device_scalarIT2_EEPKiS6_PKS3_S8_S4_PS3_21rocsparse_index_base_b,comdat
	.globl	_ZN9rocsparseL19gebsrmvn_4xn_kernelILj128ELj3ELj32EfEEvi20rocsparse_direction_NS_24const_host_device_scalarIT2_EEPKiS6_PKS3_S8_S4_PS3_21rocsparse_index_base_b ; -- Begin function _ZN9rocsparseL19gebsrmvn_4xn_kernelILj128ELj3ELj32EfEEvi20rocsparse_direction_NS_24const_host_device_scalarIT2_EEPKiS6_PKS3_S8_S4_PS3_21rocsparse_index_base_b
	.p2align	8
	.type	_ZN9rocsparseL19gebsrmvn_4xn_kernelILj128ELj3ELj32EfEEvi20rocsparse_direction_NS_24const_host_device_scalarIT2_EEPKiS6_PKS3_S8_S4_PS3_21rocsparse_index_base_b,@function
_ZN9rocsparseL19gebsrmvn_4xn_kernelILj128ELj3ELj32EfEEvi20rocsparse_direction_NS_24const_host_device_scalarIT2_EEPKiS6_PKS3_S8_S4_PS3_21rocsparse_index_base_b: ; @_ZN9rocsparseL19gebsrmvn_4xn_kernelILj128ELj3ELj32EfEEvi20rocsparse_direction_NS_24const_host_device_scalarIT2_EEPKiS6_PKS3_S8_S4_PS3_21rocsparse_index_base_b
; %bb.0:
	s_clause 0x2
	s_load_b64 s[16:17], s[0:1], 0x40
	s_load_b64 s[14:15], s[0:1], 0x8
	;; [unrolled: 1-line block ×3, first 2 shown]
	s_wait_kmcnt 0x0
	s_bitcmp1_b32 s17, 0
	s_cselect_b32 s2, -1, 0
	s_delay_alu instid0(SALU_CYCLE_1)
	s_and_b32 vcc_lo, exec_lo, s2
	s_xor_b32 s2, s2, -1
	s_cbranch_vccnz .LBB13_2
; %bb.1:
	s_load_b32 s14, s[14:15], 0x0
.LBB13_2:
	s_and_not1_b32 vcc_lo, exec_lo, s2
	s_cbranch_vccnz .LBB13_4
; %bb.3:
	s_load_b32 s12, s[12:13], 0x0
.LBB13_4:
	s_wait_kmcnt 0x0
	s_cmp_eq_f32 s14, 0
	s_cselect_b32 s2, -1, 0
	s_cmp_eq_f32 s12, 1.0
	s_cselect_b32 s3, -1, 0
	s_delay_alu instid0(SALU_CYCLE_1) | instskip(NEXT) | instid1(SALU_CYCLE_1)
	s_and_b32 s2, s2, s3
	s_and_b32 vcc_lo, exec_lo, s2
	s_cbranch_vccnz .LBB13_23
; %bb.5:
	s_load_b64 s[2:3], s[0:1], 0x0
	v_lshrrev_b32_e32 v1, 5, v0
	s_delay_alu instid0(VALU_DEP_1) | instskip(SKIP_1) | instid1(VALU_DEP_1)
	v_lshl_or_b32 v4, ttmp9, 2, v1
	s_wait_kmcnt 0x0
	v_cmp_gt_i32_e32 vcc_lo, s2, v4
	s_and_saveexec_b32 s2, vcc_lo
	s_cbranch_execz .LBB13_23
; %bb.6:
	s_load_b256 s[4:11], s[0:1], 0x10
	v_ashrrev_i32_e32 v5, 31, v4
	v_and_b32_e32 v7, 31, v0
	s_cmp_lg_u32 s3, 0
	s_delay_alu instid0(VALU_DEP_2) | instskip(SKIP_1) | instid1(VALU_DEP_1)
	v_lshlrev_b64_e32 v[1:2], 2, v[4:5]
	s_wait_kmcnt 0x0
	v_add_co_u32 v1, vcc_lo, s4, v1
	s_delay_alu instid0(VALU_DEP_1) | instskip(SKIP_4) | instid1(VALU_DEP_2)
	v_add_co_ci_u32_e64 v2, null, s5, v2, vcc_lo
	global_load_b64 v[1:2], v[1:2], off
	s_wait_loadcnt 0x0
	v_subrev_nc_u32_e32 v0, s16, v1
	v_subrev_nc_u32_e32 v12, s16, v2
	v_add_nc_u32_e32 v0, v0, v7
	s_delay_alu instid0(VALU_DEP_1)
	v_cmp_lt_i32_e64 s2, v0, v12
	s_cbranch_scc0 .LBB13_12
; %bb.7:
	v_dual_mov_b32 v8, 0 :: v_dual_mov_b32 v9, 0
	v_dual_mov_b32 v10, 0 :: v_dual_mov_b32 v11, 0
	s_and_saveexec_b32 s3, s2
	s_cbranch_execz .LBB13_11
; %bb.8:
	v_dual_mov_b32 v2, 0 :: v_dual_mov_b32 v5, v0
	v_mul_lo_u32 v1, v0, 12
	s_mov_b32 s4, 0
	s_delay_alu instid0(VALU_DEP_2)
	v_dual_mov_b32 v8, v2 :: v_dual_mov_b32 v9, v2
	v_dual_mov_b32 v10, v2 :: v_dual_mov_b32 v11, v2
.LBB13_9:                               ; =>This Inner Loop Header: Depth=1
	v_ashrrev_i32_e32 v6, 31, v5
	s_delay_alu instid0(VALU_DEP_4) | instskip(SKIP_1) | instid1(VALU_DEP_3)
	v_dual_mov_b32 v16, v2 :: v_dual_add_nc_u32 v15, 4, v1
	v_dual_mov_b32 v18, v2 :: v_dual_add_nc_u32 v17, 8, v1
	v_lshlrev_b64_e32 v[13:14], 2, v[5:6]
	v_mov_b32_e32 v26, v2
	s_delay_alu instid0(VALU_DEP_4)
	v_lshlrev_b64_e32 v[19:20], 2, v[15:16]
	v_add_nc_u32_e32 v5, 32, v5
	v_lshlrev_b64_e32 v[17:18], 2, v[17:18]
	v_add_co_u32 v13, vcc_lo, s6, v13
	s_wait_alu 0xfffd
	v_add_co_ci_u32_e64 v14, null, s7, v14, vcc_lo
	global_load_b32 v3, v[13:14], off
	v_lshlrev_b64_e32 v[13:14], 2, v[1:2]
	v_add_nc_u32_e32 v1, 0x180, v1
	s_delay_alu instid0(VALU_DEP_2) | instskip(SKIP_1) | instid1(VALU_DEP_3)
	v_add_co_u32 v13, vcc_lo, s8, v13
	s_wait_alu 0xfffd
	v_add_co_ci_u32_e64 v14, null, s9, v14, vcc_lo
	v_add_co_u32 v19, vcc_lo, s8, v19
	s_wait_alu 0xfffd
	v_add_co_ci_u32_e64 v20, null, s9, v20, vcc_lo
	;; [unrolled: 3-line block ×3, first 2 shown]
	s_clause 0x1
	global_load_b128 v[13:16], v[13:14], off
	global_load_b128 v[17:20], v[19:20], off
	s_wait_loadcnt 0x2
	v_subrev_nc_u32_e32 v3, s16, v3
	s_delay_alu instid0(VALU_DEP_1) | instskip(SKIP_1) | instid1(VALU_DEP_2)
	v_lshl_add_u32 v21, v3, 1, v3
	v_mov_b32_e32 v22, v2
	v_dual_mov_b32 v24, v2 :: v_dual_add_nc_u32 v25, 2, v21
	v_add_nc_u32_e32 v23, 1, v21
	s_delay_alu instid0(VALU_DEP_3) | instskip(NEXT) | instid1(VALU_DEP_3)
	v_lshlrev_b64_e32 v[21:22], 2, v[21:22]
	v_lshlrev_b64_e32 v[25:26], 2, v[25:26]
	s_delay_alu instid0(VALU_DEP_3) | instskip(NEXT) | instid1(VALU_DEP_3)
	v_lshlrev_b64_e32 v[23:24], 2, v[23:24]
	v_add_co_u32 v21, vcc_lo, s10, v21
	s_wait_alu 0xfffd
	s_delay_alu instid0(VALU_DEP_4)
	v_add_co_ci_u32_e64 v22, null, s11, v22, vcc_lo
	global_load_b32 v3, v[21:22], off
	v_add_co_u32 v21, vcc_lo, s10, v23
	s_wait_alu 0xfffd
	v_add_co_ci_u32_e64 v22, null, s11, v24, vcc_lo
	v_add_co_u32 v25, vcc_lo, s10, v25
	s_wait_alu 0xfffd
	v_add_co_ci_u32_e64 v26, null, s11, v26, vcc_lo
	global_load_b32 v6, v[21:22], off
	global_load_b128 v[21:24], v[27:28], off
	global_load_b32 v25, v[25:26], off
	v_cmp_ge_i32_e32 vcc_lo, v5, v12
	s_wait_alu 0xfffe
	s_or_b32 s4, vcc_lo, s4
	s_wait_loadcnt 0x3
	v_fmac_f32_e32 v8, v13, v3
	s_wait_loadcnt 0x2
	s_delay_alu instid0(VALU_DEP_1) | instskip(NEXT) | instid1(VALU_DEP_1)
	v_dual_fmac_f32 v11, v14, v3 :: v_dual_fmac_f32 v8, v17, v6
	v_dual_fmac_f32 v10, v15, v3 :: v_dual_fmac_f32 v11, v18, v6
	s_wait_loadcnt 0x0
	s_delay_alu instid0(VALU_DEP_2) | instskip(NEXT) | instid1(VALU_DEP_2)
	v_dual_fmac_f32 v9, v16, v3 :: v_dual_fmac_f32 v8, v21, v25
	v_dual_fmac_f32 v10, v19, v6 :: v_dual_fmac_f32 v11, v22, v25
	s_delay_alu instid0(VALU_DEP_1) | instskip(NEXT) | instid1(VALU_DEP_1)
	v_dual_fmac_f32 v9, v20, v6 :: v_dual_fmac_f32 v10, v23, v25
	v_fmac_f32_e32 v9, v24, v25
	s_wait_alu 0xfffe
	s_and_not1_b32 exec_lo, exec_lo, s4
	s_cbranch_execnz .LBB13_9
; %bb.10:
	s_or_b32 exec_lo, exec_lo, s4
.LBB13_11:
	s_wait_alu 0xfffe
	s_or_b32 exec_lo, exec_lo, s3
	s_cbranch_execz .LBB13_13
	s_branch .LBB13_18
.LBB13_12:
                                        ; implicit-def: $vgpr8
                                        ; implicit-def: $vgpr9
                                        ; implicit-def: $vgpr10
                                        ; implicit-def: $vgpr11
.LBB13_13:
	v_dual_mov_b32 v8, 0 :: v_dual_mov_b32 v9, 0
	v_dual_mov_b32 v10, 0 :: v_dual_mov_b32 v11, 0
	s_and_saveexec_b32 s3, s2
	s_cbranch_execz .LBB13_17
; %bb.14:
	v_mad_co_u64_u32 v[2:3], null, v0, 12, 11
	v_dual_mov_b32 v6, 0 :: v_dual_mov_b32 v9, 0
	v_dual_mov_b32 v8, 0 :: v_dual_mov_b32 v11, 0
	v_mov_b32_e32 v10, 0
	s_mov_b32 s2, 0
.LBB13_15:                              ; =>This Inner Loop Header: Depth=1
	v_ashrrev_i32_e32 v1, 31, v0
	v_dual_mov_b32 v18, v6 :: v_dual_add_nc_u32 v5, -11, v2
	v_dual_mov_b32 v16, v6 :: v_dual_add_nc_u32 v15, -2, v2
	s_delay_alu instid0(VALU_DEP_3) | instskip(NEXT) | instid1(VALU_DEP_3)
	v_lshlrev_b64_e32 v[13:14], 2, v[0:1]
	v_lshlrev_b64_e32 v[19:20], 2, v[5:6]
	v_dual_mov_b32 v3, v6 :: v_dual_add_nc_u32 v0, 32, v0
	s_delay_alu instid0(VALU_DEP_4) | instskip(NEXT) | instid1(VALU_DEP_4)
	v_lshlrev_b64_e32 v[15:16], 2, v[15:16]
	v_add_co_u32 v13, vcc_lo, s6, v13
	s_wait_alu 0xfffd
	v_add_co_ci_u32_e64 v14, null, s7, v14, vcc_lo
	v_add_co_u32 v19, vcc_lo, s8, v19
	s_wait_alu 0xfffd
	v_add_co_ci_u32_e64 v20, null, s9, v20, vcc_lo
	global_load_b32 v1, v[13:14], off
	v_dual_mov_b32 v14, v6 :: v_dual_add_nc_u32 v13, -5, v2
	v_lshlrev_b64_e32 v[21:22], 2, v[2:3]
	s_delay_alu instid0(VALU_DEP_2) | instskip(NEXT) | instid1(VALU_DEP_1)
	v_lshlrev_b64_e32 v[13:14], 2, v[13:14]
	v_add_co_u32 v23, vcc_lo, s8, v13
	s_wait_alu 0xfffd
	s_delay_alu instid0(VALU_DEP_2)
	v_add_co_ci_u32_e64 v24, null, s9, v14, vcc_lo
	v_add_co_u32 v25, vcc_lo, s8, v15
	s_wait_alu 0xfffd
	v_add_co_ci_u32_e64 v26, null, s9, v16, vcc_lo
	s_clause 0x2
	global_load_b128 v[13:16], v[19:20], off
	global_load_b32 v3, v[23:24], off
	global_load_b32 v27, v[25:26], off
	v_add_co_u32 v21, vcc_lo, s8, v21
	s_wait_alu 0xfffd
	v_add_co_ci_u32_e64 v22, null, s9, v22, vcc_lo
	s_wait_loadcnt 0x3
	v_subrev_nc_u32_e32 v1, s16, v1
	s_delay_alu instid0(VALU_DEP_1) | instskip(NEXT) | instid1(VALU_DEP_1)
	v_lshl_add_u32 v17, v1, 1, v1
	v_lshlrev_b64_e32 v[18:19], 2, v[17:18]
	s_delay_alu instid0(VALU_DEP_1) | instskip(SKIP_1) | instid1(VALU_DEP_2)
	v_add_co_u32 v18, vcc_lo, s10, v18
	s_wait_alu 0xfffd
	v_add_co_ci_u32_e64 v19, null, s11, v19, vcc_lo
	global_load_b32 v1, v[18:19], off
	s_wait_loadcnt 0x0
	v_fmac_f32_e32 v9, v27, v1
	v_fmac_f32_e32 v8, v13, v1
	v_add_nc_u32_e32 v5, 1, v17
	v_fmac_f32_e32 v11, v16, v1
	v_fmac_f32_e32 v10, v3, v1
	s_delay_alu instid0(VALU_DEP_3) | instskip(SKIP_1) | instid1(VALU_DEP_1)
	v_lshlrev_b64_e32 v[23:24], 2, v[5:6]
	v_add_nc_u32_e32 v5, -7, v2
	v_lshlrev_b64_e32 v[25:26], 2, v[5:6]
	s_delay_alu instid0(VALU_DEP_3) | instskip(SKIP_1) | instid1(VALU_DEP_4)
	v_add_co_u32 v18, vcc_lo, s10, v23
	s_wait_alu 0xfffd
	v_add_co_ci_u32_e64 v19, null, s11, v24, vcc_lo
	s_delay_alu instid0(VALU_DEP_3) | instskip(SKIP_4) | instid1(VALU_DEP_2)
	v_add_co_u32 v25, vcc_lo, s8, v25
	global_load_b32 v28, v[18:19], off
	v_add_nc_u32_e32 v5, -4, v2
	s_wait_alu 0xfffd
	v_add_co_ci_u32_e64 v26, null, s9, v26, vcc_lo
	v_lshlrev_b64_e32 v[23:24], 2, v[5:6]
	v_add_nc_u32_e32 v5, -1, v2
	global_load_b32 v29, v[25:26], off
	v_add_co_u32 v23, vcc_lo, s8, v23
	v_lshlrev_b64_e32 v[18:19], 2, v[5:6]
	v_add_nc_u32_e32 v5, 2, v17
	s_wait_alu 0xfffd
	v_add_co_ci_u32_e64 v24, null, s9, v24, vcc_lo
	s_delay_alu instid0(VALU_DEP_3)
	v_add_co_u32 v17, vcc_lo, s8, v18
	global_load_b32 v30, v[23:24], off
	v_lshlrev_b64_e32 v[25:26], 2, v[5:6]
	v_add_nc_u32_e32 v5, -6, v2
	s_wait_alu 0xfffd
	v_add_co_ci_u32_e64 v18, null, s9, v19, vcc_lo
	s_delay_alu instid0(VALU_DEP_2)
	v_lshlrev_b64_e32 v[19:20], 2, v[5:6]
	v_add_nc_u32_e32 v5, -3, v2
	global_load_b32 v31, v[17:18], off
	v_add_co_u32 v17, vcc_lo, s10, v25
	s_wait_alu 0xfffd
	v_add_co_ci_u32_e64 v18, null, s11, v26, vcc_lo
	v_lshlrev_b64_e32 v[23:24], 2, v[5:6]
	v_add_co_u32 v19, vcc_lo, s8, v19
	s_wait_alu 0xfffd
	v_add_co_ci_u32_e64 v20, null, s9, v20, vcc_lo
	v_add_nc_u32_e32 v2, 0x180, v2
	s_delay_alu instid0(VALU_DEP_4)
	v_add_co_u32 v23, vcc_lo, s8, v23
	s_wait_alu 0xfffd
	v_add_co_ci_u32_e64 v24, null, s9, v24, vcc_lo
	global_load_b32 v5, v[17:18], off
	s_clause 0x2
	global_load_b32 v17, v[19:20], off
	global_load_b32 v18, v[23:24], off
	global_load_b32 v19, v[21:22], off
	v_cmp_ge_i32_e32 vcc_lo, v0, v12
	s_wait_alu 0xfffe
	s_or_b32 s2, vcc_lo, s2
	s_wait_loadcnt 0x5
	v_fmac_f32_e32 v10, v30, v28
	s_wait_loadcnt 0x4
	v_fmac_f32_e32 v9, v31, v28
	v_fmac_f32_e32 v8, v14, v28
	s_wait_loadcnt 0x3
	s_delay_alu instid0(VALU_DEP_1) | instskip(SKIP_1) | instid1(VALU_DEP_1)
	v_dual_fmac_f32 v11, v29, v28 :: v_dual_fmac_f32 v8, v15, v5
	s_wait_loadcnt 0x2
	v_fmac_f32_e32 v11, v17, v5
	s_wait_loadcnt 0x1
	v_fmac_f32_e32 v10, v18, v5
	;; [unrolled: 2-line block ×3, first 2 shown]
	s_wait_alu 0xfffe
	s_and_not1_b32 exec_lo, exec_lo, s2
	s_cbranch_execnz .LBB13_15
; %bb.16:
	s_or_b32 exec_lo, exec_lo, s2
.LBB13_17:
	s_wait_alu 0xfffe
	s_or_b32 exec_lo, exec_lo, s3
.LBB13_18:
	v_mbcnt_lo_u32_b32 v0, -1, 0
	s_mov_b32 s2, -1
	s_delay_alu instid0(VALU_DEP_1) | instskip(SKIP_1) | instid1(VALU_DEP_2)
	v_xor_b32_e32 v1, 16, v0
	v_xor_b32_e32 v6, 8, v0
	v_cmp_gt_i32_e32 vcc_lo, 32, v1
	s_wait_alu 0xfffd
	v_cndmask_b32_e32 v1, v0, v1, vcc_lo
	s_delay_alu instid0(VALU_DEP_3) | instskip(SKIP_2) | instid1(VALU_DEP_1)
	v_cmp_gt_i32_e32 vcc_lo, 32, v6
	s_wait_alu 0xfffd
	v_cndmask_b32_e32 v6, v0, v6, vcc_lo
	v_lshlrev_b32_e32 v6, 2, v6
	v_lshlrev_b32_e32 v1, 2, v1
	ds_bpermute_b32 v2, v1, v8
	s_wait_dscnt 0x0
	v_add_f32_e32 v2, v8, v2
	ds_bpermute_b32 v5, v1, v10
	ds_bpermute_b32 v3, v1, v11
	;; [unrolled: 1-line block ×4, first 2 shown]
	s_wait_dscnt 0x3
	v_add_f32_e32 v5, v10, v5
	s_wait_dscnt 0x2
	v_add_f32_e32 v3, v11, v3
	;; [unrolled: 2-line block ×3, first 2 shown]
	v_xor_b32_e32 v11, 4, v0
	s_wait_dscnt 0x0
	v_add_f32_e32 v2, v2, v8
	ds_bpermute_b32 v10, v6, v5
	ds_bpermute_b32 v9, v6, v3
	;; [unrolled: 1-line block ×3, first 2 shown]
	v_cmp_gt_i32_e32 vcc_lo, 32, v11
	s_wait_alu 0xfffd
	v_cndmask_b32_e32 v11, v0, v11, vcc_lo
	s_delay_alu instid0(VALU_DEP_1)
	v_lshlrev_b32_e32 v11, 2, v11
	s_wait_dscnt 0x2
	v_add_f32_e32 v5, v5, v10
	s_wait_dscnt 0x1
	v_add_f32_e32 v3, v3, v9
	;; [unrolled: 2-line block ×3, first 2 shown]
	ds_bpermute_b32 v6, v11, v2
	ds_bpermute_b32 v9, v11, v5
	;; [unrolled: 1-line block ×4, first 2 shown]
	v_xor_b32_e32 v11, 2, v0
	s_delay_alu instid0(VALU_DEP_1)
	v_cmp_gt_i32_e32 vcc_lo, 32, v11
	s_wait_dscnt 0x2
	v_dual_add_f32 v2, v2, v6 :: v_dual_add_f32 v5, v5, v9
	s_wait_alu 0xfffd
	v_cndmask_b32_e32 v11, v0, v11, vcc_lo
	s_wait_dscnt 0x0
	v_dual_add_f32 v3, v3, v8 :: v_dual_add_f32 v6, v1, v10
	s_delay_alu instid0(VALU_DEP_2)
	v_lshlrev_b32_e32 v11, 2, v11
	ds_bpermute_b32 v1, v11, v2
	ds_bpermute_b32 v8, v11, v3
	;; [unrolled: 1-line block ×4, first 2 shown]
	v_xor_b32_e32 v11, 1, v0
	s_delay_alu instid0(VALU_DEP_1) | instskip(SKIP_4) | instid1(VALU_DEP_2)
	v_cmp_gt_i32_e32 vcc_lo, 32, v11
	s_wait_alu 0xfffd
	v_cndmask_b32_e32 v0, v0, v11, vcc_lo
	v_cmp_eq_u32_e32 vcc_lo, 31, v7
	s_wait_dscnt 0x3
	v_dual_add_f32 v0, v2, v1 :: v_dual_lshlrev_b32 v11, 2, v0
	s_wait_dscnt 0x1
	v_dual_add_f32 v1, v3, v8 :: v_dual_add_f32 v2, v5, v9
	s_wait_dscnt 0x0
	v_add_f32_e32 v3, v6, v10
	ds_bpermute_b32 v5, v11, v0
	ds_bpermute_b32 v6, v11, v1
	;; [unrolled: 1-line block ×4, first 2 shown]
	s_and_b32 exec_lo, exec_lo, vcc_lo
	s_cbranch_execz .LBB13_23
; %bb.19:
	s_load_b64 s[0:1], s[0:1], 0x38
	s_wait_dscnt 0x2
	v_dual_add_f32 v0, v0, v5 :: v_dual_add_f32 v1, v1, v6
	s_wait_dscnt 0x0
	v_dual_add_f32 v2, v2, v8 :: v_dual_add_f32 v3, v3, v9
	v_lshlrev_b32_e32 v4, 2, v4
	s_delay_alu instid0(VALU_DEP_3) | instskip(NEXT) | instid1(VALU_DEP_3)
	v_dual_mul_f32 v0, s14, v0 :: v_dual_mul_f32 v1, s14, v1
	v_dual_mul_f32 v2, s14, v2 :: v_dual_mul_f32 v3, s14, v3
	s_cmp_eq_f32 s12, 0
	s_cbranch_scc0 .LBB13_21
; %bb.20:
	v_ashrrev_i32_e32 v5, 31, v4
	s_mov_b32 s2, 0
	s_delay_alu instid0(VALU_DEP_1) | instskip(SKIP_1) | instid1(VALU_DEP_1)
	v_lshlrev_b64_e32 v[5:6], 2, v[4:5]
	s_wait_kmcnt 0x0
	v_add_co_u32 v5, vcc_lo, s0, v5
	s_wait_alu 0xfffd
	s_delay_alu instid0(VALU_DEP_2)
	v_add_co_ci_u32_e64 v6, null, s1, v6, vcc_lo
	global_store_b128 v[5:6], v[0:3], off
.LBB13_21:
	s_wait_alu 0xfffe
	s_and_not1_b32 vcc_lo, exec_lo, s2
	s_wait_alu 0xfffe
	s_cbranch_vccnz .LBB13_23
; %bb.22:
	v_ashrrev_i32_e32 v5, 31, v4
	s_delay_alu instid0(VALU_DEP_1) | instskip(SKIP_1) | instid1(VALU_DEP_1)
	v_lshlrev_b64_e32 v[4:5], 2, v[4:5]
	s_wait_kmcnt 0x0
	v_add_co_u32 v8, vcc_lo, s0, v4
	s_wait_alu 0xfffd
	s_delay_alu instid0(VALU_DEP_2)
	v_add_co_ci_u32_e64 v9, null, s1, v5, vcc_lo
	global_load_b128 v[4:7], v[8:9], off
	s_wait_loadcnt 0x0
	v_dual_fmac_f32 v0, s12, v4 :: v_dual_fmac_f32 v1, s12, v5
	v_dual_fmac_f32 v2, s12, v6 :: v_dual_fmac_f32 v3, s12, v7
	global_store_b128 v[8:9], v[0:3], off
.LBB13_23:
	s_endpgm
	.section	.rodata,"a",@progbits
	.p2align	6, 0x0
	.amdhsa_kernel _ZN9rocsparseL19gebsrmvn_4xn_kernelILj128ELj3ELj32EfEEvi20rocsparse_direction_NS_24const_host_device_scalarIT2_EEPKiS6_PKS3_S8_S4_PS3_21rocsparse_index_base_b
		.amdhsa_group_segment_fixed_size 0
		.amdhsa_private_segment_fixed_size 0
		.amdhsa_kernarg_size 72
		.amdhsa_user_sgpr_count 2
		.amdhsa_user_sgpr_dispatch_ptr 0
		.amdhsa_user_sgpr_queue_ptr 0
		.amdhsa_user_sgpr_kernarg_segment_ptr 1
		.amdhsa_user_sgpr_dispatch_id 0
		.amdhsa_user_sgpr_private_segment_size 0
		.amdhsa_wavefront_size32 1
		.amdhsa_uses_dynamic_stack 0
		.amdhsa_enable_private_segment 0
		.amdhsa_system_sgpr_workgroup_id_x 1
		.amdhsa_system_sgpr_workgroup_id_y 0
		.amdhsa_system_sgpr_workgroup_id_z 0
		.amdhsa_system_sgpr_workgroup_info 0
		.amdhsa_system_vgpr_workitem_id 0
		.amdhsa_next_free_vgpr 32
		.amdhsa_next_free_sgpr 18
		.amdhsa_reserve_vcc 1
		.amdhsa_float_round_mode_32 0
		.amdhsa_float_round_mode_16_64 0
		.amdhsa_float_denorm_mode_32 3
		.amdhsa_float_denorm_mode_16_64 3
		.amdhsa_fp16_overflow 0
		.amdhsa_workgroup_processor_mode 1
		.amdhsa_memory_ordered 1
		.amdhsa_forward_progress 1
		.amdhsa_inst_pref_size 18
		.amdhsa_round_robin_scheduling 0
		.amdhsa_exception_fp_ieee_invalid_op 0
		.amdhsa_exception_fp_denorm_src 0
		.amdhsa_exception_fp_ieee_div_zero 0
		.amdhsa_exception_fp_ieee_overflow 0
		.amdhsa_exception_fp_ieee_underflow 0
		.amdhsa_exception_fp_ieee_inexact 0
		.amdhsa_exception_int_div_zero 0
	.end_amdhsa_kernel
	.section	.text._ZN9rocsparseL19gebsrmvn_4xn_kernelILj128ELj3ELj32EfEEvi20rocsparse_direction_NS_24const_host_device_scalarIT2_EEPKiS6_PKS3_S8_S4_PS3_21rocsparse_index_base_b,"axG",@progbits,_ZN9rocsparseL19gebsrmvn_4xn_kernelILj128ELj3ELj32EfEEvi20rocsparse_direction_NS_24const_host_device_scalarIT2_EEPKiS6_PKS3_S8_S4_PS3_21rocsparse_index_base_b,comdat
.Lfunc_end13:
	.size	_ZN9rocsparseL19gebsrmvn_4xn_kernelILj128ELj3ELj32EfEEvi20rocsparse_direction_NS_24const_host_device_scalarIT2_EEPKiS6_PKS3_S8_S4_PS3_21rocsparse_index_base_b, .Lfunc_end13-_ZN9rocsparseL19gebsrmvn_4xn_kernelILj128ELj3ELj32EfEEvi20rocsparse_direction_NS_24const_host_device_scalarIT2_EEPKiS6_PKS3_S8_S4_PS3_21rocsparse_index_base_b
                                        ; -- End function
	.set _ZN9rocsparseL19gebsrmvn_4xn_kernelILj128ELj3ELj32EfEEvi20rocsparse_direction_NS_24const_host_device_scalarIT2_EEPKiS6_PKS3_S8_S4_PS3_21rocsparse_index_base_b.num_vgpr, 32
	.set _ZN9rocsparseL19gebsrmvn_4xn_kernelILj128ELj3ELj32EfEEvi20rocsparse_direction_NS_24const_host_device_scalarIT2_EEPKiS6_PKS3_S8_S4_PS3_21rocsparse_index_base_b.num_agpr, 0
	.set _ZN9rocsparseL19gebsrmvn_4xn_kernelILj128ELj3ELj32EfEEvi20rocsparse_direction_NS_24const_host_device_scalarIT2_EEPKiS6_PKS3_S8_S4_PS3_21rocsparse_index_base_b.numbered_sgpr, 18
	.set _ZN9rocsparseL19gebsrmvn_4xn_kernelILj128ELj3ELj32EfEEvi20rocsparse_direction_NS_24const_host_device_scalarIT2_EEPKiS6_PKS3_S8_S4_PS3_21rocsparse_index_base_b.num_named_barrier, 0
	.set _ZN9rocsparseL19gebsrmvn_4xn_kernelILj128ELj3ELj32EfEEvi20rocsparse_direction_NS_24const_host_device_scalarIT2_EEPKiS6_PKS3_S8_S4_PS3_21rocsparse_index_base_b.private_seg_size, 0
	.set _ZN9rocsparseL19gebsrmvn_4xn_kernelILj128ELj3ELj32EfEEvi20rocsparse_direction_NS_24const_host_device_scalarIT2_EEPKiS6_PKS3_S8_S4_PS3_21rocsparse_index_base_b.uses_vcc, 1
	.set _ZN9rocsparseL19gebsrmvn_4xn_kernelILj128ELj3ELj32EfEEvi20rocsparse_direction_NS_24const_host_device_scalarIT2_EEPKiS6_PKS3_S8_S4_PS3_21rocsparse_index_base_b.uses_flat_scratch, 0
	.set _ZN9rocsparseL19gebsrmvn_4xn_kernelILj128ELj3ELj32EfEEvi20rocsparse_direction_NS_24const_host_device_scalarIT2_EEPKiS6_PKS3_S8_S4_PS3_21rocsparse_index_base_b.has_dyn_sized_stack, 0
	.set _ZN9rocsparseL19gebsrmvn_4xn_kernelILj128ELj3ELj32EfEEvi20rocsparse_direction_NS_24const_host_device_scalarIT2_EEPKiS6_PKS3_S8_S4_PS3_21rocsparse_index_base_b.has_recursion, 0
	.set _ZN9rocsparseL19gebsrmvn_4xn_kernelILj128ELj3ELj32EfEEvi20rocsparse_direction_NS_24const_host_device_scalarIT2_EEPKiS6_PKS3_S8_S4_PS3_21rocsparse_index_base_b.has_indirect_call, 0
	.section	.AMDGPU.csdata,"",@progbits
; Kernel info:
; codeLenInByte = 2216
; TotalNumSgprs: 20
; NumVgprs: 32
; ScratchSize: 0
; MemoryBound: 0
; FloatMode: 240
; IeeeMode: 1
; LDSByteSize: 0 bytes/workgroup (compile time only)
; SGPRBlocks: 0
; VGPRBlocks: 3
; NumSGPRsForWavesPerEU: 20
; NumVGPRsForWavesPerEU: 32
; Occupancy: 16
; WaveLimiterHint : 1
; COMPUTE_PGM_RSRC2:SCRATCH_EN: 0
; COMPUTE_PGM_RSRC2:USER_SGPR: 2
; COMPUTE_PGM_RSRC2:TRAP_HANDLER: 0
; COMPUTE_PGM_RSRC2:TGID_X_EN: 1
; COMPUTE_PGM_RSRC2:TGID_Y_EN: 0
; COMPUTE_PGM_RSRC2:TGID_Z_EN: 0
; COMPUTE_PGM_RSRC2:TIDIG_COMP_CNT: 0
	.section	.text._ZN9rocsparseL19gebsrmvn_4xn_kernelILj128ELj3ELj64EfEEvi20rocsparse_direction_NS_24const_host_device_scalarIT2_EEPKiS6_PKS3_S8_S4_PS3_21rocsparse_index_base_b,"axG",@progbits,_ZN9rocsparseL19gebsrmvn_4xn_kernelILj128ELj3ELj64EfEEvi20rocsparse_direction_NS_24const_host_device_scalarIT2_EEPKiS6_PKS3_S8_S4_PS3_21rocsparse_index_base_b,comdat
	.globl	_ZN9rocsparseL19gebsrmvn_4xn_kernelILj128ELj3ELj64EfEEvi20rocsparse_direction_NS_24const_host_device_scalarIT2_EEPKiS6_PKS3_S8_S4_PS3_21rocsparse_index_base_b ; -- Begin function _ZN9rocsparseL19gebsrmvn_4xn_kernelILj128ELj3ELj64EfEEvi20rocsparse_direction_NS_24const_host_device_scalarIT2_EEPKiS6_PKS3_S8_S4_PS3_21rocsparse_index_base_b
	.p2align	8
	.type	_ZN9rocsparseL19gebsrmvn_4xn_kernelILj128ELj3ELj64EfEEvi20rocsparse_direction_NS_24const_host_device_scalarIT2_EEPKiS6_PKS3_S8_S4_PS3_21rocsparse_index_base_b,@function
_ZN9rocsparseL19gebsrmvn_4xn_kernelILj128ELj3ELj64EfEEvi20rocsparse_direction_NS_24const_host_device_scalarIT2_EEPKiS6_PKS3_S8_S4_PS3_21rocsparse_index_base_b: ; @_ZN9rocsparseL19gebsrmvn_4xn_kernelILj128ELj3ELj64EfEEvi20rocsparse_direction_NS_24const_host_device_scalarIT2_EEPKiS6_PKS3_S8_S4_PS3_21rocsparse_index_base_b
; %bb.0:
	s_clause 0x2
	s_load_b64 s[16:17], s[0:1], 0x40
	s_load_b64 s[14:15], s[0:1], 0x8
	;; [unrolled: 1-line block ×3, first 2 shown]
	s_wait_kmcnt 0x0
	s_bitcmp1_b32 s17, 0
	s_cselect_b32 s2, -1, 0
	s_delay_alu instid0(SALU_CYCLE_1)
	s_and_b32 vcc_lo, exec_lo, s2
	s_xor_b32 s2, s2, -1
	s_cbranch_vccnz .LBB14_2
; %bb.1:
	s_load_b32 s14, s[14:15], 0x0
.LBB14_2:
	s_and_not1_b32 vcc_lo, exec_lo, s2
	s_cbranch_vccnz .LBB14_4
; %bb.3:
	s_load_b32 s12, s[12:13], 0x0
.LBB14_4:
	s_wait_kmcnt 0x0
	s_cmp_eq_f32 s14, 0
	s_cselect_b32 s2, -1, 0
	s_cmp_eq_f32 s12, 1.0
	s_cselect_b32 s3, -1, 0
	s_delay_alu instid0(SALU_CYCLE_1) | instskip(NEXT) | instid1(SALU_CYCLE_1)
	s_and_b32 s2, s2, s3
	s_and_b32 vcc_lo, exec_lo, s2
	s_cbranch_vccnz .LBB14_23
; %bb.5:
	s_load_b64 s[2:3], s[0:1], 0x0
	v_lshrrev_b32_e32 v1, 6, v0
	s_delay_alu instid0(VALU_DEP_1) | instskip(SKIP_1) | instid1(VALU_DEP_1)
	v_lshl_or_b32 v4, ttmp9, 1, v1
	s_wait_kmcnt 0x0
	v_cmp_gt_i32_e32 vcc_lo, s2, v4
	s_and_saveexec_b32 s2, vcc_lo
	s_cbranch_execz .LBB14_23
; %bb.6:
	s_load_b256 s[4:11], s[0:1], 0x10
	v_ashrrev_i32_e32 v5, 31, v4
	v_and_b32_e32 v7, 63, v0
	s_cmp_lg_u32 s3, 0
	s_delay_alu instid0(VALU_DEP_2) | instskip(SKIP_1) | instid1(VALU_DEP_1)
	v_lshlrev_b64_e32 v[1:2], 2, v[4:5]
	s_wait_kmcnt 0x0
	v_add_co_u32 v1, vcc_lo, s4, v1
	s_delay_alu instid0(VALU_DEP_1) | instskip(SKIP_4) | instid1(VALU_DEP_2)
	v_add_co_ci_u32_e64 v2, null, s5, v2, vcc_lo
	global_load_b64 v[1:2], v[1:2], off
	s_wait_loadcnt 0x0
	v_subrev_nc_u32_e32 v0, s16, v1
	v_subrev_nc_u32_e32 v12, s16, v2
	v_add_nc_u32_e32 v0, v0, v7
	s_delay_alu instid0(VALU_DEP_1)
	v_cmp_lt_i32_e64 s2, v0, v12
	s_cbranch_scc0 .LBB14_12
; %bb.7:
	v_dual_mov_b32 v8, 0 :: v_dual_mov_b32 v9, 0
	v_dual_mov_b32 v10, 0 :: v_dual_mov_b32 v11, 0
	s_and_saveexec_b32 s3, s2
	s_cbranch_execz .LBB14_11
; %bb.8:
	v_dual_mov_b32 v2, 0 :: v_dual_mov_b32 v5, v0
	v_mul_lo_u32 v1, v0, 12
	s_mov_b32 s4, 0
	s_delay_alu instid0(VALU_DEP_2)
	v_dual_mov_b32 v8, v2 :: v_dual_mov_b32 v9, v2
	v_dual_mov_b32 v10, v2 :: v_dual_mov_b32 v11, v2
.LBB14_9:                               ; =>This Inner Loop Header: Depth=1
	v_ashrrev_i32_e32 v6, 31, v5
	s_delay_alu instid0(VALU_DEP_4) | instskip(SKIP_1) | instid1(VALU_DEP_3)
	v_dual_mov_b32 v16, v2 :: v_dual_add_nc_u32 v15, 4, v1
	v_dual_mov_b32 v18, v2 :: v_dual_add_nc_u32 v17, 8, v1
	v_lshlrev_b64_e32 v[13:14], 2, v[5:6]
	v_mov_b32_e32 v26, v2
	s_delay_alu instid0(VALU_DEP_4)
	v_lshlrev_b64_e32 v[19:20], 2, v[15:16]
	v_add_nc_u32_e32 v5, 64, v5
	v_lshlrev_b64_e32 v[17:18], 2, v[17:18]
	v_add_co_u32 v13, vcc_lo, s6, v13
	s_wait_alu 0xfffd
	v_add_co_ci_u32_e64 v14, null, s7, v14, vcc_lo
	global_load_b32 v3, v[13:14], off
	v_lshlrev_b64_e32 v[13:14], 2, v[1:2]
	v_add_nc_u32_e32 v1, 0x300, v1
	s_delay_alu instid0(VALU_DEP_2) | instskip(SKIP_1) | instid1(VALU_DEP_3)
	v_add_co_u32 v13, vcc_lo, s8, v13
	s_wait_alu 0xfffd
	v_add_co_ci_u32_e64 v14, null, s9, v14, vcc_lo
	v_add_co_u32 v19, vcc_lo, s8, v19
	s_wait_alu 0xfffd
	v_add_co_ci_u32_e64 v20, null, s9, v20, vcc_lo
	;; [unrolled: 3-line block ×3, first 2 shown]
	s_clause 0x1
	global_load_b128 v[13:16], v[13:14], off
	global_load_b128 v[17:20], v[19:20], off
	s_wait_loadcnt 0x2
	v_subrev_nc_u32_e32 v3, s16, v3
	s_delay_alu instid0(VALU_DEP_1) | instskip(SKIP_1) | instid1(VALU_DEP_2)
	v_lshl_add_u32 v21, v3, 1, v3
	v_mov_b32_e32 v22, v2
	v_dual_mov_b32 v24, v2 :: v_dual_add_nc_u32 v25, 2, v21
	v_add_nc_u32_e32 v23, 1, v21
	s_delay_alu instid0(VALU_DEP_3) | instskip(NEXT) | instid1(VALU_DEP_3)
	v_lshlrev_b64_e32 v[21:22], 2, v[21:22]
	v_lshlrev_b64_e32 v[25:26], 2, v[25:26]
	s_delay_alu instid0(VALU_DEP_3) | instskip(NEXT) | instid1(VALU_DEP_3)
	v_lshlrev_b64_e32 v[23:24], 2, v[23:24]
	v_add_co_u32 v21, vcc_lo, s10, v21
	s_wait_alu 0xfffd
	s_delay_alu instid0(VALU_DEP_4)
	v_add_co_ci_u32_e64 v22, null, s11, v22, vcc_lo
	global_load_b32 v3, v[21:22], off
	v_add_co_u32 v21, vcc_lo, s10, v23
	s_wait_alu 0xfffd
	v_add_co_ci_u32_e64 v22, null, s11, v24, vcc_lo
	v_add_co_u32 v25, vcc_lo, s10, v25
	s_wait_alu 0xfffd
	v_add_co_ci_u32_e64 v26, null, s11, v26, vcc_lo
	global_load_b32 v6, v[21:22], off
	global_load_b128 v[21:24], v[27:28], off
	global_load_b32 v25, v[25:26], off
	v_cmp_ge_i32_e32 vcc_lo, v5, v12
	s_wait_alu 0xfffe
	s_or_b32 s4, vcc_lo, s4
	s_wait_loadcnt 0x3
	v_fmac_f32_e32 v8, v13, v3
	s_wait_loadcnt 0x2
	s_delay_alu instid0(VALU_DEP_1) | instskip(NEXT) | instid1(VALU_DEP_1)
	v_dual_fmac_f32 v11, v14, v3 :: v_dual_fmac_f32 v8, v17, v6
	v_dual_fmac_f32 v10, v15, v3 :: v_dual_fmac_f32 v11, v18, v6
	s_wait_loadcnt 0x0
	s_delay_alu instid0(VALU_DEP_2) | instskip(NEXT) | instid1(VALU_DEP_2)
	v_dual_fmac_f32 v9, v16, v3 :: v_dual_fmac_f32 v8, v21, v25
	v_dual_fmac_f32 v10, v19, v6 :: v_dual_fmac_f32 v11, v22, v25
	s_delay_alu instid0(VALU_DEP_1) | instskip(NEXT) | instid1(VALU_DEP_1)
	v_dual_fmac_f32 v9, v20, v6 :: v_dual_fmac_f32 v10, v23, v25
	v_fmac_f32_e32 v9, v24, v25
	s_wait_alu 0xfffe
	s_and_not1_b32 exec_lo, exec_lo, s4
	s_cbranch_execnz .LBB14_9
; %bb.10:
	s_or_b32 exec_lo, exec_lo, s4
.LBB14_11:
	s_wait_alu 0xfffe
	s_or_b32 exec_lo, exec_lo, s3
	s_cbranch_execz .LBB14_13
	s_branch .LBB14_18
.LBB14_12:
                                        ; implicit-def: $vgpr8
                                        ; implicit-def: $vgpr9
                                        ; implicit-def: $vgpr10
                                        ; implicit-def: $vgpr11
.LBB14_13:
	v_dual_mov_b32 v8, 0 :: v_dual_mov_b32 v9, 0
	v_dual_mov_b32 v10, 0 :: v_dual_mov_b32 v11, 0
	s_and_saveexec_b32 s3, s2
	s_cbranch_execz .LBB14_17
; %bb.14:
	v_mad_co_u64_u32 v[2:3], null, v0, 12, 11
	v_dual_mov_b32 v6, 0 :: v_dual_mov_b32 v9, 0
	v_dual_mov_b32 v8, 0 :: v_dual_mov_b32 v11, 0
	v_mov_b32_e32 v10, 0
	s_mov_b32 s2, 0
.LBB14_15:                              ; =>This Inner Loop Header: Depth=1
	v_ashrrev_i32_e32 v1, 31, v0
	v_dual_mov_b32 v18, v6 :: v_dual_add_nc_u32 v5, -11, v2
	v_dual_mov_b32 v16, v6 :: v_dual_add_nc_u32 v15, -2, v2
	s_delay_alu instid0(VALU_DEP_3) | instskip(NEXT) | instid1(VALU_DEP_3)
	v_lshlrev_b64_e32 v[13:14], 2, v[0:1]
	v_lshlrev_b64_e32 v[19:20], 2, v[5:6]
	v_dual_mov_b32 v3, v6 :: v_dual_add_nc_u32 v0, 64, v0
	s_delay_alu instid0(VALU_DEP_4) | instskip(NEXT) | instid1(VALU_DEP_4)
	v_lshlrev_b64_e32 v[15:16], 2, v[15:16]
	v_add_co_u32 v13, vcc_lo, s6, v13
	s_wait_alu 0xfffd
	v_add_co_ci_u32_e64 v14, null, s7, v14, vcc_lo
	v_add_co_u32 v19, vcc_lo, s8, v19
	s_wait_alu 0xfffd
	v_add_co_ci_u32_e64 v20, null, s9, v20, vcc_lo
	global_load_b32 v1, v[13:14], off
	v_dual_mov_b32 v14, v6 :: v_dual_add_nc_u32 v13, -5, v2
	v_lshlrev_b64_e32 v[21:22], 2, v[2:3]
	s_delay_alu instid0(VALU_DEP_2) | instskip(NEXT) | instid1(VALU_DEP_1)
	v_lshlrev_b64_e32 v[13:14], 2, v[13:14]
	v_add_co_u32 v23, vcc_lo, s8, v13
	s_wait_alu 0xfffd
	s_delay_alu instid0(VALU_DEP_2)
	v_add_co_ci_u32_e64 v24, null, s9, v14, vcc_lo
	v_add_co_u32 v25, vcc_lo, s8, v15
	s_wait_alu 0xfffd
	v_add_co_ci_u32_e64 v26, null, s9, v16, vcc_lo
	s_clause 0x2
	global_load_b128 v[13:16], v[19:20], off
	global_load_b32 v3, v[23:24], off
	global_load_b32 v27, v[25:26], off
	v_add_co_u32 v21, vcc_lo, s8, v21
	s_wait_alu 0xfffd
	v_add_co_ci_u32_e64 v22, null, s9, v22, vcc_lo
	s_wait_loadcnt 0x3
	v_subrev_nc_u32_e32 v1, s16, v1
	s_delay_alu instid0(VALU_DEP_1) | instskip(NEXT) | instid1(VALU_DEP_1)
	v_lshl_add_u32 v17, v1, 1, v1
	v_lshlrev_b64_e32 v[18:19], 2, v[17:18]
	s_delay_alu instid0(VALU_DEP_1) | instskip(SKIP_1) | instid1(VALU_DEP_2)
	v_add_co_u32 v18, vcc_lo, s10, v18
	s_wait_alu 0xfffd
	v_add_co_ci_u32_e64 v19, null, s11, v19, vcc_lo
	global_load_b32 v1, v[18:19], off
	s_wait_loadcnt 0x0
	v_fmac_f32_e32 v9, v27, v1
	v_fmac_f32_e32 v8, v13, v1
	v_add_nc_u32_e32 v5, 1, v17
	v_fmac_f32_e32 v11, v16, v1
	v_fmac_f32_e32 v10, v3, v1
	s_delay_alu instid0(VALU_DEP_3) | instskip(SKIP_1) | instid1(VALU_DEP_1)
	v_lshlrev_b64_e32 v[23:24], 2, v[5:6]
	v_add_nc_u32_e32 v5, -7, v2
	v_lshlrev_b64_e32 v[25:26], 2, v[5:6]
	s_delay_alu instid0(VALU_DEP_3) | instskip(SKIP_1) | instid1(VALU_DEP_4)
	v_add_co_u32 v18, vcc_lo, s10, v23
	s_wait_alu 0xfffd
	v_add_co_ci_u32_e64 v19, null, s11, v24, vcc_lo
	s_delay_alu instid0(VALU_DEP_3) | instskip(SKIP_4) | instid1(VALU_DEP_2)
	v_add_co_u32 v25, vcc_lo, s8, v25
	global_load_b32 v28, v[18:19], off
	v_add_nc_u32_e32 v5, -4, v2
	s_wait_alu 0xfffd
	v_add_co_ci_u32_e64 v26, null, s9, v26, vcc_lo
	v_lshlrev_b64_e32 v[23:24], 2, v[5:6]
	v_add_nc_u32_e32 v5, -1, v2
	global_load_b32 v29, v[25:26], off
	v_add_co_u32 v23, vcc_lo, s8, v23
	v_lshlrev_b64_e32 v[18:19], 2, v[5:6]
	v_add_nc_u32_e32 v5, 2, v17
	s_wait_alu 0xfffd
	v_add_co_ci_u32_e64 v24, null, s9, v24, vcc_lo
	s_delay_alu instid0(VALU_DEP_3)
	v_add_co_u32 v17, vcc_lo, s8, v18
	global_load_b32 v30, v[23:24], off
	v_lshlrev_b64_e32 v[25:26], 2, v[5:6]
	v_add_nc_u32_e32 v5, -6, v2
	s_wait_alu 0xfffd
	v_add_co_ci_u32_e64 v18, null, s9, v19, vcc_lo
	s_delay_alu instid0(VALU_DEP_2)
	v_lshlrev_b64_e32 v[19:20], 2, v[5:6]
	v_add_nc_u32_e32 v5, -3, v2
	global_load_b32 v31, v[17:18], off
	v_add_co_u32 v17, vcc_lo, s10, v25
	s_wait_alu 0xfffd
	v_add_co_ci_u32_e64 v18, null, s11, v26, vcc_lo
	v_lshlrev_b64_e32 v[23:24], 2, v[5:6]
	v_add_co_u32 v19, vcc_lo, s8, v19
	s_wait_alu 0xfffd
	v_add_co_ci_u32_e64 v20, null, s9, v20, vcc_lo
	v_add_nc_u32_e32 v2, 0x300, v2
	s_delay_alu instid0(VALU_DEP_4)
	v_add_co_u32 v23, vcc_lo, s8, v23
	s_wait_alu 0xfffd
	v_add_co_ci_u32_e64 v24, null, s9, v24, vcc_lo
	global_load_b32 v5, v[17:18], off
	s_clause 0x2
	global_load_b32 v17, v[19:20], off
	global_load_b32 v18, v[23:24], off
	;; [unrolled: 1-line block ×3, first 2 shown]
	v_cmp_ge_i32_e32 vcc_lo, v0, v12
	s_wait_alu 0xfffe
	s_or_b32 s2, vcc_lo, s2
	s_wait_loadcnt 0x5
	v_fmac_f32_e32 v10, v30, v28
	s_wait_loadcnt 0x4
	v_fmac_f32_e32 v9, v31, v28
	v_fmac_f32_e32 v8, v14, v28
	s_wait_loadcnt 0x3
	s_delay_alu instid0(VALU_DEP_1) | instskip(SKIP_1) | instid1(VALU_DEP_1)
	v_dual_fmac_f32 v11, v29, v28 :: v_dual_fmac_f32 v8, v15, v5
	s_wait_loadcnt 0x2
	v_fmac_f32_e32 v11, v17, v5
	s_wait_loadcnt 0x1
	v_fmac_f32_e32 v10, v18, v5
	;; [unrolled: 2-line block ×3, first 2 shown]
	s_wait_alu 0xfffe
	s_and_not1_b32 exec_lo, exec_lo, s2
	s_cbranch_execnz .LBB14_15
; %bb.16:
	s_or_b32 exec_lo, exec_lo, s2
.LBB14_17:
	s_wait_alu 0xfffe
	s_or_b32 exec_lo, exec_lo, s3
.LBB14_18:
	v_mbcnt_lo_u32_b32 v0, -1, 0
	s_mov_b32 s2, -1
	s_delay_alu instid0(VALU_DEP_1) | instskip(SKIP_1) | instid1(VALU_DEP_2)
	v_or_b32_e32 v1, 32, v0
	v_xor_b32_e32 v6, 16, v0
	v_cmp_gt_i32_e32 vcc_lo, 32, v1
	s_wait_alu 0xfffd
	v_cndmask_b32_e32 v1, v0, v1, vcc_lo
	s_delay_alu instid0(VALU_DEP_3) | instskip(SKIP_2) | instid1(VALU_DEP_1)
	v_cmp_gt_i32_e32 vcc_lo, 32, v6
	s_wait_alu 0xfffd
	v_cndmask_b32_e32 v6, v0, v6, vcc_lo
	v_lshlrev_b32_e32 v6, 2, v6
	v_lshlrev_b32_e32 v1, 2, v1
	ds_bpermute_b32 v2, v1, v8
	s_wait_dscnt 0x0
	v_add_f32_e32 v2, v8, v2
	ds_bpermute_b32 v3, v1, v11
	ds_bpermute_b32 v5, v1, v10
	;; [unrolled: 1-line block ×4, first 2 shown]
	s_wait_dscnt 0x3
	v_add_f32_e32 v3, v11, v3
	s_wait_dscnt 0x2
	v_add_f32_e32 v5, v10, v5
	;; [unrolled: 2-line block ×3, first 2 shown]
	v_xor_b32_e32 v11, 8, v0
	s_wait_dscnt 0x0
	v_add_f32_e32 v2, v2, v8
	ds_bpermute_b32 v9, v6, v3
	ds_bpermute_b32 v10, v6, v5
	;; [unrolled: 1-line block ×3, first 2 shown]
	v_cmp_gt_i32_e32 vcc_lo, 32, v11
	s_wait_alu 0xfffd
	v_cndmask_b32_e32 v11, v0, v11, vcc_lo
	s_delay_alu instid0(VALU_DEP_1)
	v_lshlrev_b32_e32 v11, 2, v11
	s_wait_dscnt 0x2
	v_add_f32_e32 v3, v3, v9
	s_wait_dscnt 0x1
	v_add_f32_e32 v5, v5, v10
	;; [unrolled: 2-line block ×3, first 2 shown]
	ds_bpermute_b32 v6, v11, v2
	ds_bpermute_b32 v8, v11, v3
	;; [unrolled: 1-line block ×4, first 2 shown]
	v_xor_b32_e32 v11, 4, v0
	s_delay_alu instid0(VALU_DEP_1) | instskip(SKIP_3) | instid1(VALU_DEP_1)
	v_cmp_gt_i32_e32 vcc_lo, 32, v11
	s_wait_alu 0xfffd
	v_cndmask_b32_e32 v11, v0, v11, vcc_lo
	s_wait_dscnt 0x3
	v_dual_add_f32 v2, v2, v6 :: v_dual_lshlrev_b32 v11, 2, v11
	s_wait_dscnt 0x2
	v_add_f32_e32 v3, v3, v8
	s_wait_dscnt 0x1
	v_add_f32_e32 v5, v5, v9
	;; [unrolled: 2-line block ×3, first 2 shown]
	ds_bpermute_b32 v6, v11, v2
	ds_bpermute_b32 v8, v11, v3
	;; [unrolled: 1-line block ×4, first 2 shown]
	v_xor_b32_e32 v11, 2, v0
	s_delay_alu instid0(VALU_DEP_1) | instskip(SKIP_3) | instid1(VALU_DEP_1)
	v_cmp_gt_i32_e32 vcc_lo, 32, v11
	s_wait_alu 0xfffd
	v_cndmask_b32_e32 v11, v0, v11, vcc_lo
	s_wait_dscnt 0x3
	v_dual_add_f32 v2, v2, v6 :: v_dual_lshlrev_b32 v11, 2, v11
	s_wait_dscnt 0x2
	v_add_f32_e32 v3, v3, v8
	s_wait_dscnt 0x1
	v_add_f32_e32 v5, v5, v9
	s_wait_dscnt 0x0
	v_add_f32_e32 v6, v1, v10
	ds_bpermute_b32 v1, v11, v2
	ds_bpermute_b32 v8, v11, v3
	;; [unrolled: 1-line block ×4, first 2 shown]
	v_xor_b32_e32 v11, 1, v0
	s_delay_alu instid0(VALU_DEP_1) | instskip(SKIP_4) | instid1(VALU_DEP_2)
	v_cmp_gt_i32_e32 vcc_lo, 32, v11
	s_wait_alu 0xfffd
	v_cndmask_b32_e32 v0, v0, v11, vcc_lo
	v_cmp_eq_u32_e32 vcc_lo, 63, v7
	s_wait_dscnt 0x3
	v_dual_add_f32 v0, v2, v1 :: v_dual_lshlrev_b32 v11, 2, v0
	s_wait_dscnt 0x1
	v_dual_add_f32 v1, v3, v8 :: v_dual_add_f32 v2, v5, v9
	s_wait_dscnt 0x0
	v_add_f32_e32 v3, v6, v10
	ds_bpermute_b32 v5, v11, v0
	ds_bpermute_b32 v6, v11, v1
	;; [unrolled: 1-line block ×4, first 2 shown]
	s_and_b32 exec_lo, exec_lo, vcc_lo
	s_cbranch_execz .LBB14_23
; %bb.19:
	s_load_b64 s[0:1], s[0:1], 0x38
	s_wait_dscnt 0x2
	v_dual_add_f32 v0, v0, v5 :: v_dual_add_f32 v1, v1, v6
	s_wait_dscnt 0x0
	v_dual_add_f32 v2, v2, v8 :: v_dual_add_f32 v3, v3, v9
	v_lshlrev_b32_e32 v4, 2, v4
	s_delay_alu instid0(VALU_DEP_3) | instskip(NEXT) | instid1(VALU_DEP_3)
	v_dual_mul_f32 v0, s14, v0 :: v_dual_mul_f32 v1, s14, v1
	v_dual_mul_f32 v2, s14, v2 :: v_dual_mul_f32 v3, s14, v3
	s_cmp_eq_f32 s12, 0
	s_cbranch_scc0 .LBB14_21
; %bb.20:
	v_ashrrev_i32_e32 v5, 31, v4
	s_mov_b32 s2, 0
	s_delay_alu instid0(VALU_DEP_1) | instskip(SKIP_1) | instid1(VALU_DEP_1)
	v_lshlrev_b64_e32 v[5:6], 2, v[4:5]
	s_wait_kmcnt 0x0
	v_add_co_u32 v5, vcc_lo, s0, v5
	s_wait_alu 0xfffd
	s_delay_alu instid0(VALU_DEP_2)
	v_add_co_ci_u32_e64 v6, null, s1, v6, vcc_lo
	global_store_b128 v[5:6], v[0:3], off
.LBB14_21:
	s_wait_alu 0xfffe
	s_and_not1_b32 vcc_lo, exec_lo, s2
	s_wait_alu 0xfffe
	s_cbranch_vccnz .LBB14_23
; %bb.22:
	v_ashrrev_i32_e32 v5, 31, v4
	s_delay_alu instid0(VALU_DEP_1) | instskip(SKIP_1) | instid1(VALU_DEP_1)
	v_lshlrev_b64_e32 v[4:5], 2, v[4:5]
	s_wait_kmcnt 0x0
	v_add_co_u32 v8, vcc_lo, s0, v4
	s_wait_alu 0xfffd
	s_delay_alu instid0(VALU_DEP_2)
	v_add_co_ci_u32_e64 v9, null, s1, v5, vcc_lo
	global_load_b128 v[4:7], v[8:9], off
	s_wait_loadcnt 0x0
	v_dual_fmac_f32 v0, s12, v4 :: v_dual_fmac_f32 v1, s12, v5
	v_dual_fmac_f32 v2, s12, v6 :: v_dual_fmac_f32 v3, s12, v7
	global_store_b128 v[8:9], v[0:3], off
.LBB14_23:
	s_endpgm
	.section	.rodata,"a",@progbits
	.p2align	6, 0x0
	.amdhsa_kernel _ZN9rocsparseL19gebsrmvn_4xn_kernelILj128ELj3ELj64EfEEvi20rocsparse_direction_NS_24const_host_device_scalarIT2_EEPKiS6_PKS3_S8_S4_PS3_21rocsparse_index_base_b
		.amdhsa_group_segment_fixed_size 0
		.amdhsa_private_segment_fixed_size 0
		.amdhsa_kernarg_size 72
		.amdhsa_user_sgpr_count 2
		.amdhsa_user_sgpr_dispatch_ptr 0
		.amdhsa_user_sgpr_queue_ptr 0
		.amdhsa_user_sgpr_kernarg_segment_ptr 1
		.amdhsa_user_sgpr_dispatch_id 0
		.amdhsa_user_sgpr_private_segment_size 0
		.amdhsa_wavefront_size32 1
		.amdhsa_uses_dynamic_stack 0
		.amdhsa_enable_private_segment 0
		.amdhsa_system_sgpr_workgroup_id_x 1
		.amdhsa_system_sgpr_workgroup_id_y 0
		.amdhsa_system_sgpr_workgroup_id_z 0
		.amdhsa_system_sgpr_workgroup_info 0
		.amdhsa_system_vgpr_workitem_id 0
		.amdhsa_next_free_vgpr 32
		.amdhsa_next_free_sgpr 18
		.amdhsa_reserve_vcc 1
		.amdhsa_float_round_mode_32 0
		.amdhsa_float_round_mode_16_64 0
		.amdhsa_float_denorm_mode_32 3
		.amdhsa_float_denorm_mode_16_64 3
		.amdhsa_fp16_overflow 0
		.amdhsa_workgroup_processor_mode 1
		.amdhsa_memory_ordered 1
		.amdhsa_forward_progress 1
		.amdhsa_inst_pref_size 19
		.amdhsa_round_robin_scheduling 0
		.amdhsa_exception_fp_ieee_invalid_op 0
		.amdhsa_exception_fp_denorm_src 0
		.amdhsa_exception_fp_ieee_div_zero 0
		.amdhsa_exception_fp_ieee_overflow 0
		.amdhsa_exception_fp_ieee_underflow 0
		.amdhsa_exception_fp_ieee_inexact 0
		.amdhsa_exception_int_div_zero 0
	.end_amdhsa_kernel
	.section	.text._ZN9rocsparseL19gebsrmvn_4xn_kernelILj128ELj3ELj64EfEEvi20rocsparse_direction_NS_24const_host_device_scalarIT2_EEPKiS6_PKS3_S8_S4_PS3_21rocsparse_index_base_b,"axG",@progbits,_ZN9rocsparseL19gebsrmvn_4xn_kernelILj128ELj3ELj64EfEEvi20rocsparse_direction_NS_24const_host_device_scalarIT2_EEPKiS6_PKS3_S8_S4_PS3_21rocsparse_index_base_b,comdat
.Lfunc_end14:
	.size	_ZN9rocsparseL19gebsrmvn_4xn_kernelILj128ELj3ELj64EfEEvi20rocsparse_direction_NS_24const_host_device_scalarIT2_EEPKiS6_PKS3_S8_S4_PS3_21rocsparse_index_base_b, .Lfunc_end14-_ZN9rocsparseL19gebsrmvn_4xn_kernelILj128ELj3ELj64EfEEvi20rocsparse_direction_NS_24const_host_device_scalarIT2_EEPKiS6_PKS3_S8_S4_PS3_21rocsparse_index_base_b
                                        ; -- End function
	.set _ZN9rocsparseL19gebsrmvn_4xn_kernelILj128ELj3ELj64EfEEvi20rocsparse_direction_NS_24const_host_device_scalarIT2_EEPKiS6_PKS3_S8_S4_PS3_21rocsparse_index_base_b.num_vgpr, 32
	.set _ZN9rocsparseL19gebsrmvn_4xn_kernelILj128ELj3ELj64EfEEvi20rocsparse_direction_NS_24const_host_device_scalarIT2_EEPKiS6_PKS3_S8_S4_PS3_21rocsparse_index_base_b.num_agpr, 0
	.set _ZN9rocsparseL19gebsrmvn_4xn_kernelILj128ELj3ELj64EfEEvi20rocsparse_direction_NS_24const_host_device_scalarIT2_EEPKiS6_PKS3_S8_S4_PS3_21rocsparse_index_base_b.numbered_sgpr, 18
	.set _ZN9rocsparseL19gebsrmvn_4xn_kernelILj128ELj3ELj64EfEEvi20rocsparse_direction_NS_24const_host_device_scalarIT2_EEPKiS6_PKS3_S8_S4_PS3_21rocsparse_index_base_b.num_named_barrier, 0
	.set _ZN9rocsparseL19gebsrmvn_4xn_kernelILj128ELj3ELj64EfEEvi20rocsparse_direction_NS_24const_host_device_scalarIT2_EEPKiS6_PKS3_S8_S4_PS3_21rocsparse_index_base_b.private_seg_size, 0
	.set _ZN9rocsparseL19gebsrmvn_4xn_kernelILj128ELj3ELj64EfEEvi20rocsparse_direction_NS_24const_host_device_scalarIT2_EEPKiS6_PKS3_S8_S4_PS3_21rocsparse_index_base_b.uses_vcc, 1
	.set _ZN9rocsparseL19gebsrmvn_4xn_kernelILj128ELj3ELj64EfEEvi20rocsparse_direction_NS_24const_host_device_scalarIT2_EEPKiS6_PKS3_S8_S4_PS3_21rocsparse_index_base_b.uses_flat_scratch, 0
	.set _ZN9rocsparseL19gebsrmvn_4xn_kernelILj128ELj3ELj64EfEEvi20rocsparse_direction_NS_24const_host_device_scalarIT2_EEPKiS6_PKS3_S8_S4_PS3_21rocsparse_index_base_b.has_dyn_sized_stack, 0
	.set _ZN9rocsparseL19gebsrmvn_4xn_kernelILj128ELj3ELj64EfEEvi20rocsparse_direction_NS_24const_host_device_scalarIT2_EEPKiS6_PKS3_S8_S4_PS3_21rocsparse_index_base_b.has_recursion, 0
	.set _ZN9rocsparseL19gebsrmvn_4xn_kernelILj128ELj3ELj64EfEEvi20rocsparse_direction_NS_24const_host_device_scalarIT2_EEPKiS6_PKS3_S8_S4_PS3_21rocsparse_index_base_b.has_indirect_call, 0
	.section	.AMDGPU.csdata,"",@progbits
; Kernel info:
; codeLenInByte = 2308
; TotalNumSgprs: 20
; NumVgprs: 32
; ScratchSize: 0
; MemoryBound: 0
; FloatMode: 240
; IeeeMode: 1
; LDSByteSize: 0 bytes/workgroup (compile time only)
; SGPRBlocks: 0
; VGPRBlocks: 3
; NumSGPRsForWavesPerEU: 20
; NumVGPRsForWavesPerEU: 32
; Occupancy: 16
; WaveLimiterHint : 1
; COMPUTE_PGM_RSRC2:SCRATCH_EN: 0
; COMPUTE_PGM_RSRC2:USER_SGPR: 2
; COMPUTE_PGM_RSRC2:TRAP_HANDLER: 0
; COMPUTE_PGM_RSRC2:TGID_X_EN: 1
; COMPUTE_PGM_RSRC2:TGID_Y_EN: 0
; COMPUTE_PGM_RSRC2:TGID_Z_EN: 0
; COMPUTE_PGM_RSRC2:TIDIG_COMP_CNT: 0
	.section	.text._ZN9rocsparseL19gebsrmvn_4xn_kernelILj128ELj5ELj4EfEEvi20rocsparse_direction_NS_24const_host_device_scalarIT2_EEPKiS6_PKS3_S8_S4_PS3_21rocsparse_index_base_b,"axG",@progbits,_ZN9rocsparseL19gebsrmvn_4xn_kernelILj128ELj5ELj4EfEEvi20rocsparse_direction_NS_24const_host_device_scalarIT2_EEPKiS6_PKS3_S8_S4_PS3_21rocsparse_index_base_b,comdat
	.globl	_ZN9rocsparseL19gebsrmvn_4xn_kernelILj128ELj5ELj4EfEEvi20rocsparse_direction_NS_24const_host_device_scalarIT2_EEPKiS6_PKS3_S8_S4_PS3_21rocsparse_index_base_b ; -- Begin function _ZN9rocsparseL19gebsrmvn_4xn_kernelILj128ELj5ELj4EfEEvi20rocsparse_direction_NS_24const_host_device_scalarIT2_EEPKiS6_PKS3_S8_S4_PS3_21rocsparse_index_base_b
	.p2align	8
	.type	_ZN9rocsparseL19gebsrmvn_4xn_kernelILj128ELj5ELj4EfEEvi20rocsparse_direction_NS_24const_host_device_scalarIT2_EEPKiS6_PKS3_S8_S4_PS3_21rocsparse_index_base_b,@function
_ZN9rocsparseL19gebsrmvn_4xn_kernelILj128ELj5ELj4EfEEvi20rocsparse_direction_NS_24const_host_device_scalarIT2_EEPKiS6_PKS3_S8_S4_PS3_21rocsparse_index_base_b: ; @_ZN9rocsparseL19gebsrmvn_4xn_kernelILj128ELj5ELj4EfEEvi20rocsparse_direction_NS_24const_host_device_scalarIT2_EEPKiS6_PKS3_S8_S4_PS3_21rocsparse_index_base_b
; %bb.0:
	s_clause 0x2
	s_load_b64 s[16:17], s[0:1], 0x40
	s_load_b64 s[14:15], s[0:1], 0x8
	;; [unrolled: 1-line block ×3, first 2 shown]
	s_wait_kmcnt 0x0
	s_bitcmp1_b32 s17, 0
	s_cselect_b32 s2, -1, 0
	s_delay_alu instid0(SALU_CYCLE_1)
	s_and_b32 vcc_lo, exec_lo, s2
	s_xor_b32 s2, s2, -1
	s_cbranch_vccnz .LBB15_2
; %bb.1:
	s_load_b32 s14, s[14:15], 0x0
.LBB15_2:
	s_and_not1_b32 vcc_lo, exec_lo, s2
	s_cbranch_vccnz .LBB15_4
; %bb.3:
	s_load_b32 s12, s[12:13], 0x0
.LBB15_4:
	s_wait_kmcnt 0x0
	s_cmp_eq_f32 s14, 0
	s_cselect_b32 s2, -1, 0
	s_cmp_eq_f32 s12, 1.0
	s_cselect_b32 s3, -1, 0
	s_delay_alu instid0(SALU_CYCLE_1) | instskip(NEXT) | instid1(SALU_CYCLE_1)
	s_and_b32 s2, s2, s3
	s_and_b32 vcc_lo, exec_lo, s2
	s_cbranch_vccnz .LBB15_23
; %bb.5:
	s_load_b64 s[2:3], s[0:1], 0x0
	v_lshrrev_b32_e32 v1, 2, v0
	s_delay_alu instid0(VALU_DEP_1) | instskip(SKIP_1) | instid1(VALU_DEP_1)
	v_lshl_or_b32 v4, ttmp9, 5, v1
	s_wait_kmcnt 0x0
	v_cmp_gt_i32_e32 vcc_lo, s2, v4
	s_and_saveexec_b32 s2, vcc_lo
	s_cbranch_execz .LBB15_23
; %bb.6:
	s_load_b256 s[4:11], s[0:1], 0x10
	v_ashrrev_i32_e32 v5, 31, v4
	v_and_b32_e32 v9, 3, v0
	s_cmp_lg_u32 s3, 0
	s_delay_alu instid0(VALU_DEP_2) | instskip(SKIP_1) | instid1(VALU_DEP_1)
	v_lshlrev_b64_e32 v[1:2], 2, v[4:5]
	s_wait_kmcnt 0x0
	v_add_co_u32 v1, vcc_lo, s4, v1
	s_delay_alu instid0(VALU_DEP_1) | instskip(SKIP_4) | instid1(VALU_DEP_2)
	v_add_co_ci_u32_e64 v2, null, s5, v2, vcc_lo
	global_load_b64 v[1:2], v[1:2], off
	s_wait_loadcnt 0x0
	v_subrev_nc_u32_e32 v0, s16, v1
	v_subrev_nc_u32_e32 v14, s16, v2
	v_add_nc_u32_e32 v0, v0, v9
	s_delay_alu instid0(VALU_DEP_1)
	v_cmp_lt_i32_e64 s2, v0, v14
	s_cbranch_scc0 .LBB15_12
; %bb.7:
	v_dual_mov_b32 v10, 0 :: v_dual_mov_b32 v11, 0
	v_dual_mov_b32 v12, 0 :: v_dual_mov_b32 v13, 0
	s_and_saveexec_b32 s3, s2
	s_cbranch_execz .LBB15_11
; %bb.8:
	v_mad_co_u64_u32 v[1:2], null, v0, 20, 16
	v_dual_mov_b32 v6, 0 :: v_dual_mov_b32 v7, v0
	v_dual_mov_b32 v10, 0 :: v_dual_mov_b32 v11, 0
	;; [unrolled: 1-line block ×3, first 2 shown]
	s_mov_b32 s4, 0
.LBB15_9:                               ; =>This Inner Loop Header: Depth=1
	s_delay_alu instid0(VALU_DEP_3) | instskip(SKIP_1) | instid1(VALU_DEP_2)
	v_ashrrev_i32_e32 v8, 31, v7
	v_add_nc_u32_e32 v5, -16, v1
	v_lshlrev_b64_e32 v[2:3], 2, v[7:8]
	v_add_nc_u32_e32 v7, 4, v7
	s_delay_alu instid0(VALU_DEP_2) | instskip(SKIP_1) | instid1(VALU_DEP_3)
	v_add_co_u32 v2, vcc_lo, s6, v2
	s_wait_alu 0xfffd
	v_add_co_ci_u32_e64 v3, null, s7, v3, vcc_lo
	global_load_b32 v8, v[2:3], off
	v_mov_b32_e32 v2, v6
	v_lshlrev_b64_e32 v[15:16], 2, v[5:6]
	v_add_nc_u32_e32 v5, -12, v1
	s_delay_alu instid0(VALU_DEP_3) | instskip(NEXT) | instid1(VALU_DEP_2)
	v_lshlrev_b64_e32 v[17:18], 2, v[1:2]
	v_lshlrev_b64_e32 v[19:20], 2, v[5:6]
	s_delay_alu instid0(VALU_DEP_4) | instskip(SKIP_2) | instid1(VALU_DEP_4)
	v_add_co_u32 v15, vcc_lo, s8, v15
	s_wait_alu 0xfffd
	v_add_co_ci_u32_e64 v16, null, s9, v16, vcc_lo
	v_add_co_u32 v31, vcc_lo, s8, v17
	s_wait_alu 0xfffd
	v_add_co_ci_u32_e64 v32, null, s9, v18, vcc_lo
	;; [unrolled: 3-line block ×3, first 2 shown]
	s_clause 0x1
	global_load_b128 v[15:18], v[15:16], off
	global_load_b128 v[19:22], v[19:20], off
	v_mov_b32_e32 v3, v6
	s_wait_loadcnt 0x2
	v_subrev_nc_u32_e32 v2, s16, v8
	s_delay_alu instid0(VALU_DEP_1) | instskip(NEXT) | instid1(VALU_DEP_1)
	v_lshl_add_u32 v2, v2, 2, v2
	v_add_nc_u32_e32 v5, 1, v2
	v_lshlrev_b64_e32 v[23:24], 2, v[2:3]
	s_delay_alu instid0(VALU_DEP_2) | instskip(NEXT) | instid1(VALU_DEP_2)
	v_lshlrev_b64_e32 v[25:26], 2, v[5:6]
	v_add_co_u32 v23, vcc_lo, s10, v23
	s_wait_alu 0xfffd
	s_delay_alu instid0(VALU_DEP_3) | instskip(NEXT) | instid1(VALU_DEP_3)
	v_add_co_ci_u32_e64 v24, null, s11, v24, vcc_lo
	v_add_co_u32 v25, vcc_lo, s10, v25
	s_wait_alu 0xfffd
	v_add_co_ci_u32_e64 v26, null, s11, v26, vcc_lo
	s_clause 0x1
	global_load_b32 v8, v[23:24], off
	global_load_b32 v37, v[25:26], off
	s_wait_loadcnt 0x1
	v_fmac_f32_e32 v10, v15, v8
	v_fmac_f32_e32 v12, v17, v8
	s_wait_loadcnt 0x0
	s_delay_alu instid0(VALU_DEP_2) | instskip(SKIP_1) | instid1(VALU_DEP_3)
	v_fmac_f32_e32 v10, v19, v37
	v_add_nc_u32_e32 v5, -8, v1
	v_fmac_f32_e32 v12, v21, v37
	s_delay_alu instid0(VALU_DEP_2) | instskip(SKIP_1) | instid1(VALU_DEP_1)
	v_lshlrev_b64_e32 v[27:28], 2, v[5:6]
	v_add_nc_u32_e32 v5, 2, v2
	v_lshlrev_b64_e32 v[23:24], 2, v[5:6]
	s_delay_alu instid0(VALU_DEP_3) | instskip(SKIP_1) | instid1(VALU_DEP_4)
	v_add_co_u32 v25, vcc_lo, s8, v27
	s_wait_alu 0xfffd
	v_add_co_ci_u32_e64 v26, null, s9, v28, vcc_lo
	s_delay_alu instid0(VALU_DEP_3)
	v_add_co_u32 v29, vcc_lo, s10, v23
	s_wait_alu 0xfffd
	v_add_co_ci_u32_e64 v30, null, s11, v24, vcc_lo
	global_load_b128 v[23:26], v[25:26], off
	global_load_b32 v38, v[29:30], off
	v_add_nc_u32_e32 v5, -4, v1
	s_wait_loadcnt 0x0
	v_dual_fmac_f32 v12, v25, v38 :: v_dual_add_nc_u32 v1, 0x50, v1
	s_delay_alu instid0(VALU_DEP_2) | instskip(SKIP_2) | instid1(VALU_DEP_2)
	v_lshlrev_b64_e32 v[27:28], 2, v[5:6]
	v_add_nc_u32_e32 v5, 3, v2
	v_fmac_f32_e32 v10, v23, v38
	v_lshlrev_b64_e32 v[33:34], 2, v[5:6]
	v_add_nc_u32_e32 v5, 4, v2
	v_add_co_u32 v2, vcc_lo, s8, v27
	s_wait_alu 0xfffd
	v_add_co_ci_u32_e64 v3, null, s9, v28, vcc_lo
	s_delay_alu instid0(VALU_DEP_3)
	v_lshlrev_b64_e32 v[35:36], 2, v[5:6]
	v_add_co_u32 v33, vcc_lo, s10, v33
	s_wait_alu 0xfffd
	v_add_co_ci_u32_e64 v34, null, s11, v34, vcc_lo
	global_load_b128 v[27:30], v[2:3], off
	global_load_b32 v5, v[33:34], off
	v_add_co_u32 v2, vcc_lo, s10, v35
	s_wait_alu 0xfffd
	v_add_co_ci_u32_e64 v3, null, s11, v36, vcc_lo
	global_load_b128 v[31:34], v[31:32], off
	global_load_b32 v2, v[2:3], off
	v_fmac_f32_e32 v13, v16, v8
	v_fmac_f32_e32 v11, v18, v8
	v_cmp_ge_i32_e32 vcc_lo, v7, v14
	s_wait_alu 0xfffe
	s_or_b32 s4, vcc_lo, s4
	s_wait_loadcnt 0x2
	v_fmac_f32_e32 v10, v27, v5
	v_fmac_f32_e32 v13, v20, v37
	;; [unrolled: 1-line block ×3, first 2 shown]
	s_wait_loadcnt 0x0
	s_delay_alu instid0(VALU_DEP_1) | instskip(NEXT) | instid1(VALU_DEP_1)
	v_dual_fmac_f32 v11, v22, v37 :: v_dual_fmac_f32 v12, v33, v2
	v_fmac_f32_e32 v11, v26, v38
	v_fmac_f32_e32 v10, v31, v2
	v_fmac_f32_e32 v13, v24, v38
	s_delay_alu instid0(VALU_DEP_3) | instskip(NEXT) | instid1(VALU_DEP_2)
	v_fmac_f32_e32 v11, v30, v5
	v_fmac_f32_e32 v13, v28, v5
	s_delay_alu instid0(VALU_DEP_2) | instskip(NEXT) | instid1(VALU_DEP_2)
	v_fmac_f32_e32 v11, v34, v2
	v_fmac_f32_e32 v13, v32, v2
	s_wait_alu 0xfffe
	s_and_not1_b32 exec_lo, exec_lo, s4
	s_cbranch_execnz .LBB15_9
; %bb.10:
	s_or_b32 exec_lo, exec_lo, s4
.LBB15_11:
	s_wait_alu 0xfffe
	s_or_b32 exec_lo, exec_lo, s3
	s_cbranch_execz .LBB15_13
	s_branch .LBB15_18
.LBB15_12:
                                        ; implicit-def: $vgpr10
                                        ; implicit-def: $vgpr11
                                        ; implicit-def: $vgpr12
                                        ; implicit-def: $vgpr13
.LBB15_13:
	v_dual_mov_b32 v10, 0 :: v_dual_mov_b32 v11, 0
	v_dual_mov_b32 v12, 0 :: v_dual_mov_b32 v13, 0
	s_and_saveexec_b32 s3, s2
	s_cbranch_execz .LBB15_17
; %bb.14:
	v_mad_co_u64_u32 v[2:3], null, v0, 20, 19
	v_dual_mov_b32 v6, 0 :: v_dual_mov_b32 v11, 0
	v_dual_mov_b32 v10, 0 :: v_dual_mov_b32 v13, 0
	v_mov_b32_e32 v12, 0
	s_mov_b32 s2, 0
.LBB15_15:                              ; =>This Inner Loop Header: Depth=1
	v_ashrrev_i32_e32 v1, 31, v0
	v_subrev_nc_u32_e32 v5, 19, v2
	v_add_nc_u32_e32 v15, -9, v2
	v_dual_mov_b32 v16, v6 :: v_dual_add_nc_u32 v17, -4, v2
	s_delay_alu instid0(VALU_DEP_4) | instskip(NEXT) | instid1(VALU_DEP_4)
	v_lshlrev_b64_e32 v[7:8], 2, v[0:1]
	v_lshlrev_b64_e32 v[21:22], 2, v[5:6]
	v_dual_mov_b32 v18, v6 :: v_dual_mov_b32 v3, v6
	v_mov_b32_e32 v20, v6
	v_add_nc_u32_e32 v0, 4, v0
	v_add_co_u32 v7, vcc_lo, s6, v7
	s_wait_alu 0xfffd
	v_add_co_ci_u32_e64 v8, null, s7, v8, vcc_lo
	v_lshlrev_b64_e32 v[17:18], 2, v[17:18]
	v_add_co_u32 v21, vcc_lo, s8, v21
	global_load_b32 v1, v[7:8], off
	v_dual_mov_b32 v8, v6 :: v_dual_add_nc_u32 v7, -14, v2
	v_lshlrev_b64_e32 v[15:16], 2, v[15:16]
	s_wait_alu 0xfffd
	v_add_co_ci_u32_e64 v22, null, s9, v22, vcc_lo
	v_lshlrev_b64_e32 v[23:24], 2, v[2:3]
	v_lshlrev_b64_e32 v[7:8], 2, v[7:8]
	s_delay_alu instid0(VALU_DEP_1) | instskip(SKIP_1) | instid1(VALU_DEP_2)
	v_add_co_u32 v7, vcc_lo, s8, v7
	s_wait_alu 0xfffd
	v_add_co_ci_u32_e64 v8, null, s9, v8, vcc_lo
	v_add_co_u32 v25, vcc_lo, s8, v15
	s_wait_alu 0xfffd
	v_add_co_ci_u32_e64 v26, null, s9, v16, vcc_lo
	;; [unrolled: 3-line block ×3, first 2 shown]
	s_clause 0x3
	global_load_b128 v[15:18], v[21:22], off
	global_load_b32 v3, v[7:8], off
	global_load_b32 v29, v[25:26], off
	;; [unrolled: 1-line block ×3, first 2 shown]
	v_add_co_u32 v23, vcc_lo, s8, v23
	s_wait_alu 0xfffd
	v_add_co_ci_u32_e64 v24, null, s9, v24, vcc_lo
	s_wait_loadcnt 0x4
	v_subrev_nc_u32_e32 v1, s16, v1
	s_delay_alu instid0(VALU_DEP_1) | instskip(NEXT) | instid1(VALU_DEP_1)
	v_lshl_add_u32 v19, v1, 2, v1
	v_lshlrev_b64_e32 v[7:8], 2, v[19:20]
	s_delay_alu instid0(VALU_DEP_1) | instskip(SKIP_1) | instid1(VALU_DEP_2)
	v_add_co_u32 v7, vcc_lo, s10, v7
	s_wait_alu 0xfffd
	v_add_co_ci_u32_e64 v8, null, s11, v8, vcc_lo
	global_load_b32 v1, v[7:8], off
	s_wait_loadcnt 0x0
	v_dual_fmac_f32 v10, v15, v1 :: v_dual_add_nc_u32 v5, 1, v19
	s_delay_alu instid0(VALU_DEP_1) | instskip(SKIP_3) | instid1(VALU_DEP_4)
	v_lshlrev_b64_e32 v[20:21], 2, v[5:6]
	v_dual_fmac_f32 v12, v29, v1 :: v_dual_add_nc_u32 v5, -13, v2
	v_fmac_f32_e32 v13, v3, v1
	v_fmac_f32_e32 v11, v27, v1
	v_add_co_u32 v7, vcc_lo, s10, v20
	s_wait_alu 0xfffd
	v_add_co_ci_u32_e64 v8, null, s11, v21, vcc_lo
	v_lshlrev_b64_e32 v[25:26], 2, v[5:6]
	global_load_b32 v28, v[7:8], off
	v_add_nc_u32_e32 v5, -8, v2
	v_add_co_u32 v25, vcc_lo, s8, v25
	s_wait_alu 0xfffd
	v_add_co_ci_u32_e64 v26, null, s9, v26, vcc_lo
	global_load_b32 v30, v[25:26], off
	s_wait_loadcnt 0x1
	v_fmac_f32_e32 v10, v16, v28
	v_lshlrev_b64_e32 v[20:21], 2, v[5:6]
	s_delay_alu instid0(VALU_DEP_1) | instskip(SKIP_1) | instid1(VALU_DEP_2)
	v_add_co_u32 v20, vcc_lo, s8, v20
	s_wait_alu 0xfffd
	v_add_co_ci_u32_e64 v21, null, s9, v21, vcc_lo
	global_load_b32 v31, v[20:21], off
	v_add_nc_u32_e32 v5, -3, v2
	s_delay_alu instid0(VALU_DEP_1) | instskip(SKIP_1) | instid1(VALU_DEP_1)
	v_lshlrev_b64_e32 v[7:8], 2, v[5:6]
	v_add_nc_u32_e32 v5, 2, v19
	v_lshlrev_b64_e32 v[25:26], 2, v[5:6]
	s_delay_alu instid0(VALU_DEP_3) | instskip(SKIP_1) | instid1(VALU_DEP_4)
	v_add_co_u32 v7, vcc_lo, s8, v7
	s_wait_alu 0xfffd
	v_add_co_ci_u32_e64 v8, null, s9, v8, vcc_lo
	global_load_b32 v32, v[7:8], off
	v_add_co_u32 v7, vcc_lo, s10, v25
	s_wait_alu 0xfffd
	v_add_co_ci_u32_e64 v8, null, s11, v26, vcc_lo
	global_load_b32 v33, v[7:8], off
	s_wait_loadcnt 0x2
	v_dual_fmac_f32 v12, v31, v28 :: v_dual_add_nc_u32 v5, -12, v2
	s_delay_alu instid0(VALU_DEP_1) | instskip(NEXT) | instid1(VALU_DEP_1)
	v_lshlrev_b64_e32 v[20:21], 2, v[5:6]
	v_add_co_u32 v20, vcc_lo, s8, v20
	s_wait_alu 0xfffd
	s_delay_alu instid0(VALU_DEP_2) | instskip(SKIP_3) | instid1(VALU_DEP_1)
	v_add_co_ci_u32_e64 v21, null, s9, v21, vcc_lo
	global_load_b32 v34, v[20:21], off
	s_wait_loadcnt 0x1
	v_dual_fmac_f32 v10, v17, v33 :: v_dual_add_nc_u32 v5, -7, v2
	v_lshlrev_b64_e32 v[25:26], 2, v[5:6]
	v_add_nc_u32_e32 v5, -2, v2
	s_delay_alu instid0(VALU_DEP_1) | instskip(SKIP_1) | instid1(VALU_DEP_4)
	v_lshlrev_b64_e32 v[7:8], 2, v[5:6]
	v_add_nc_u32_e32 v5, 3, v19
	v_add_co_u32 v20, vcc_lo, s8, v25
	s_wait_alu 0xfffd
	v_add_co_ci_u32_e64 v21, null, s9, v26, vcc_lo
	s_delay_alu instid0(VALU_DEP_4)
	v_add_co_u32 v7, vcc_lo, s8, v7
	v_lshlrev_b64_e32 v[25:26], 2, v[5:6]
	v_add_nc_u32_e32 v5, -11, v2
	s_wait_alu 0xfffd
	v_add_co_ci_u32_e64 v8, null, s9, v8, vcc_lo
	s_clause 0x1
	global_load_b32 v35, v[20:21], off
	global_load_b32 v36, v[7:8], off
	v_lshlrev_b64_e32 v[20:21], 2, v[5:6]
	v_add_nc_u32_e32 v5, -6, v2
	v_add_co_u32 v7, vcc_lo, s10, v25
	s_wait_alu 0xfffd
	v_add_co_ci_u32_e64 v8, null, s11, v26, vcc_lo
	s_delay_alu instid0(VALU_DEP_3)
	v_lshlrev_b64_e32 v[25:26], 2, v[5:6]
	v_add_nc_u32_e32 v5, -1, v2
	v_add_co_u32 v20, vcc_lo, s8, v20
	s_wait_alu 0xfffd
	v_add_co_ci_u32_e64 v21, null, s9, v21, vcc_lo
	global_load_b32 v37, v[7:8], off
	v_lshlrev_b64_e32 v[7:8], 2, v[5:6]
	v_add_nc_u32_e32 v5, -15, v2
	global_load_b32 v38, v[20:21], off
	v_add_co_u32 v20, vcc_lo, s8, v25
	s_wait_alu 0xfffd
	v_add_co_ci_u32_e64 v21, null, s9, v26, vcc_lo
	v_add_co_u32 v7, vcc_lo, s8, v7
	v_lshlrev_b64_e32 v[25:26], 2, v[5:6]
	v_add_nc_u32_e32 v5, 4, v19
	s_wait_alu 0xfffd
	v_add_co_ci_u32_e64 v8, null, s9, v8, vcc_lo
	s_clause 0x1
	global_load_b32 v39, v[20:21], off
	global_load_b32 v40, v[7:8], off
	v_lshlrev_b64_e32 v[19:20], 2, v[5:6]
	v_add_nc_u32_e32 v5, -10, v2
	v_add_co_u32 v7, vcc_lo, s8, v25
	s_wait_alu 0xfffd
	v_add_co_ci_u32_e64 v8, null, s9, v26, vcc_lo
	s_delay_alu instid0(VALU_DEP_3) | instskip(SKIP_4) | instid1(VALU_DEP_3)
	v_lshlrev_b64_e32 v[21:22], 2, v[5:6]
	v_add_nc_u32_e32 v5, -5, v2
	v_add_co_u32 v19, vcc_lo, s10, v19
	s_wait_alu 0xfffd
	v_add_co_ci_u32_e64 v20, null, s11, v20, vcc_lo
	v_lshlrev_b64_e32 v[25:26], 2, v[5:6]
	v_add_co_u32 v21, vcc_lo, s8, v21
	s_wait_alu 0xfffd
	v_add_co_ci_u32_e64 v22, null, s9, v22, vcc_lo
	v_add_nc_u32_e32 v2, 0x50, v2
	s_delay_alu instid0(VALU_DEP_4)
	v_add_co_u32 v25, vcc_lo, s8, v25
	s_wait_alu 0xfffd
	v_add_co_ci_u32_e64 v26, null, s9, v26, vcc_lo
	global_load_b32 v5, v[7:8], off
	global_load_b32 v7, v[19:20], off
	s_clause 0x2
	global_load_b32 v8, v[21:22], off
	global_load_b32 v19, v[25:26], off
	;; [unrolled: 1-line block ×3, first 2 shown]
	v_fmac_f32_e32 v11, v32, v28
	v_cmp_ge_i32_e32 vcc_lo, v0, v14
	s_wait_alu 0xfffe
	s_or_b32 s2, vcc_lo, s2
	s_wait_loadcnt 0xa
	v_fmac_f32_e32 v12, v35, v33
	s_wait_loadcnt 0x9
	v_fmac_f32_e32 v11, v36, v33
	;; [unrolled: 2-line block ×3, first 2 shown]
	s_wait_loadcnt 0x6
	v_dual_fmac_f32 v13, v30, v28 :: v_dual_fmac_f32 v12, v39, v37
	s_wait_loadcnt 0x3
	s_delay_alu instid0(VALU_DEP_2) | instskip(SKIP_1) | instid1(VALU_DEP_2)
	v_dual_fmac_f32 v11, v40, v37 :: v_dual_fmac_f32 v10, v5, v7
	s_wait_loadcnt 0x1
	v_dual_fmac_f32 v13, v34, v33 :: v_dual_fmac_f32 v12, v19, v7
	s_wait_loadcnt 0x0
	s_delay_alu instid0(VALU_DEP_2) | instskip(NEXT) | instid1(VALU_DEP_2)
	v_fmac_f32_e32 v11, v20, v7
	v_fmac_f32_e32 v13, v38, v37
	s_delay_alu instid0(VALU_DEP_1)
	v_fmac_f32_e32 v13, v8, v7
	s_wait_alu 0xfffe
	s_and_not1_b32 exec_lo, exec_lo, s2
	s_cbranch_execnz .LBB15_15
; %bb.16:
	s_or_b32 exec_lo, exec_lo, s2
.LBB15_17:
	s_wait_alu 0xfffe
	s_or_b32 exec_lo, exec_lo, s3
.LBB15_18:
	v_mbcnt_lo_u32_b32 v0, -1, 0
	s_mov_b32 s2, -1
	s_delay_alu instid0(VALU_DEP_1) | instskip(NEXT) | instid1(VALU_DEP_1)
	v_xor_b32_e32 v1, 2, v0
	v_cmp_gt_i32_e32 vcc_lo, 32, v1
	s_wait_alu 0xfffd
	v_cndmask_b32_e32 v1, v0, v1, vcc_lo
	s_delay_alu instid0(VALU_DEP_1)
	v_lshlrev_b32_e32 v1, 2, v1
	ds_bpermute_b32 v2, v1, v10
	ds_bpermute_b32 v3, v1, v13
	;; [unrolled: 1-line block ×4, first 2 shown]
	v_xor_b32_e32 v1, 1, v0
	s_delay_alu instid0(VALU_DEP_1) | instskip(SKIP_4) | instid1(VALU_DEP_2)
	v_cmp_gt_i32_e32 vcc_lo, 32, v1
	s_wait_alu 0xfffd
	v_cndmask_b32_e32 v0, v0, v1, vcc_lo
	v_cmp_eq_u32_e32 vcc_lo, 3, v9
	s_wait_dscnt 0x2
	v_dual_add_f32 v1, v13, v3 :: v_dual_lshlrev_b32 v8, 2, v0
	v_add_f32_e32 v0, v10, v2
	s_wait_dscnt 0x0
	v_dual_add_f32 v2, v12, v5 :: v_dual_add_f32 v3, v11, v6
	ds_bpermute_b32 v6, v8, v1
	ds_bpermute_b32 v5, v8, v0
	;; [unrolled: 1-line block ×4, first 2 shown]
	s_and_b32 exec_lo, exec_lo, vcc_lo
	s_cbranch_execz .LBB15_23
; %bb.19:
	s_load_b64 s[0:1], s[0:1], 0x38
	s_wait_dscnt 0x2
	v_dual_add_f32 v0, v0, v5 :: v_dual_add_f32 v1, v1, v6
	s_wait_dscnt 0x0
	v_dual_add_f32 v2, v2, v7 :: v_dual_add_f32 v3, v3, v8
	v_lshlrev_b32_e32 v4, 2, v4
	s_delay_alu instid0(VALU_DEP_3) | instskip(NEXT) | instid1(VALU_DEP_3)
	v_dual_mul_f32 v0, s14, v0 :: v_dual_mul_f32 v1, s14, v1
	v_dual_mul_f32 v2, s14, v2 :: v_dual_mul_f32 v3, s14, v3
	s_cmp_eq_f32 s12, 0
	s_cbranch_scc0 .LBB15_21
; %bb.20:
	v_ashrrev_i32_e32 v5, 31, v4
	s_mov_b32 s2, 0
	s_delay_alu instid0(VALU_DEP_1) | instskip(SKIP_1) | instid1(VALU_DEP_1)
	v_lshlrev_b64_e32 v[5:6], 2, v[4:5]
	s_wait_kmcnt 0x0
	v_add_co_u32 v5, vcc_lo, s0, v5
	s_wait_alu 0xfffd
	s_delay_alu instid0(VALU_DEP_2)
	v_add_co_ci_u32_e64 v6, null, s1, v6, vcc_lo
	global_store_b128 v[5:6], v[0:3], off
.LBB15_21:
	s_wait_alu 0xfffe
	s_and_not1_b32 vcc_lo, exec_lo, s2
	s_wait_alu 0xfffe
	s_cbranch_vccnz .LBB15_23
; %bb.22:
	v_ashrrev_i32_e32 v5, 31, v4
	s_delay_alu instid0(VALU_DEP_1) | instskip(SKIP_1) | instid1(VALU_DEP_1)
	v_lshlrev_b64_e32 v[4:5], 2, v[4:5]
	s_wait_kmcnt 0x0
	v_add_co_u32 v8, vcc_lo, s0, v4
	s_wait_alu 0xfffd
	s_delay_alu instid0(VALU_DEP_2)
	v_add_co_ci_u32_e64 v9, null, s1, v5, vcc_lo
	global_load_b128 v[4:7], v[8:9], off
	s_wait_loadcnt 0x0
	v_dual_fmac_f32 v0, s12, v4 :: v_dual_fmac_f32 v1, s12, v5
	v_dual_fmac_f32 v2, s12, v6 :: v_dual_fmac_f32 v3, s12, v7
	global_store_b128 v[8:9], v[0:3], off
.LBB15_23:
	s_endpgm
	.section	.rodata,"a",@progbits
	.p2align	6, 0x0
	.amdhsa_kernel _ZN9rocsparseL19gebsrmvn_4xn_kernelILj128ELj5ELj4EfEEvi20rocsparse_direction_NS_24const_host_device_scalarIT2_EEPKiS6_PKS3_S8_S4_PS3_21rocsparse_index_base_b
		.amdhsa_group_segment_fixed_size 0
		.amdhsa_private_segment_fixed_size 0
		.amdhsa_kernarg_size 72
		.amdhsa_user_sgpr_count 2
		.amdhsa_user_sgpr_dispatch_ptr 0
		.amdhsa_user_sgpr_queue_ptr 0
		.amdhsa_user_sgpr_kernarg_segment_ptr 1
		.amdhsa_user_sgpr_dispatch_id 0
		.amdhsa_user_sgpr_private_segment_size 0
		.amdhsa_wavefront_size32 1
		.amdhsa_uses_dynamic_stack 0
		.amdhsa_enable_private_segment 0
		.amdhsa_system_sgpr_workgroup_id_x 1
		.amdhsa_system_sgpr_workgroup_id_y 0
		.amdhsa_system_sgpr_workgroup_id_z 0
		.amdhsa_system_sgpr_workgroup_info 0
		.amdhsa_system_vgpr_workitem_id 0
		.amdhsa_next_free_vgpr 41
		.amdhsa_next_free_sgpr 18
		.amdhsa_reserve_vcc 1
		.amdhsa_float_round_mode_32 0
		.amdhsa_float_round_mode_16_64 0
		.amdhsa_float_denorm_mode_32 3
		.amdhsa_float_denorm_mode_16_64 3
		.amdhsa_fp16_overflow 0
		.amdhsa_workgroup_processor_mode 1
		.amdhsa_memory_ordered 1
		.amdhsa_forward_progress 1
		.amdhsa_inst_pref_size 21
		.amdhsa_round_robin_scheduling 0
		.amdhsa_exception_fp_ieee_invalid_op 0
		.amdhsa_exception_fp_denorm_src 0
		.amdhsa_exception_fp_ieee_div_zero 0
		.amdhsa_exception_fp_ieee_overflow 0
		.amdhsa_exception_fp_ieee_underflow 0
		.amdhsa_exception_fp_ieee_inexact 0
		.amdhsa_exception_int_div_zero 0
	.end_amdhsa_kernel
	.section	.text._ZN9rocsparseL19gebsrmvn_4xn_kernelILj128ELj5ELj4EfEEvi20rocsparse_direction_NS_24const_host_device_scalarIT2_EEPKiS6_PKS3_S8_S4_PS3_21rocsparse_index_base_b,"axG",@progbits,_ZN9rocsparseL19gebsrmvn_4xn_kernelILj128ELj5ELj4EfEEvi20rocsparse_direction_NS_24const_host_device_scalarIT2_EEPKiS6_PKS3_S8_S4_PS3_21rocsparse_index_base_b,comdat
.Lfunc_end15:
	.size	_ZN9rocsparseL19gebsrmvn_4xn_kernelILj128ELj5ELj4EfEEvi20rocsparse_direction_NS_24const_host_device_scalarIT2_EEPKiS6_PKS3_S8_S4_PS3_21rocsparse_index_base_b, .Lfunc_end15-_ZN9rocsparseL19gebsrmvn_4xn_kernelILj128ELj5ELj4EfEEvi20rocsparse_direction_NS_24const_host_device_scalarIT2_EEPKiS6_PKS3_S8_S4_PS3_21rocsparse_index_base_b
                                        ; -- End function
	.set _ZN9rocsparseL19gebsrmvn_4xn_kernelILj128ELj5ELj4EfEEvi20rocsparse_direction_NS_24const_host_device_scalarIT2_EEPKiS6_PKS3_S8_S4_PS3_21rocsparse_index_base_b.num_vgpr, 41
	.set _ZN9rocsparseL19gebsrmvn_4xn_kernelILj128ELj5ELj4EfEEvi20rocsparse_direction_NS_24const_host_device_scalarIT2_EEPKiS6_PKS3_S8_S4_PS3_21rocsparse_index_base_b.num_agpr, 0
	.set _ZN9rocsparseL19gebsrmvn_4xn_kernelILj128ELj5ELj4EfEEvi20rocsparse_direction_NS_24const_host_device_scalarIT2_EEPKiS6_PKS3_S8_S4_PS3_21rocsparse_index_base_b.numbered_sgpr, 18
	.set _ZN9rocsparseL19gebsrmvn_4xn_kernelILj128ELj5ELj4EfEEvi20rocsparse_direction_NS_24const_host_device_scalarIT2_EEPKiS6_PKS3_S8_S4_PS3_21rocsparse_index_base_b.num_named_barrier, 0
	.set _ZN9rocsparseL19gebsrmvn_4xn_kernelILj128ELj5ELj4EfEEvi20rocsparse_direction_NS_24const_host_device_scalarIT2_EEPKiS6_PKS3_S8_S4_PS3_21rocsparse_index_base_b.private_seg_size, 0
	.set _ZN9rocsparseL19gebsrmvn_4xn_kernelILj128ELj5ELj4EfEEvi20rocsparse_direction_NS_24const_host_device_scalarIT2_EEPKiS6_PKS3_S8_S4_PS3_21rocsparse_index_base_b.uses_vcc, 1
	.set _ZN9rocsparseL19gebsrmvn_4xn_kernelILj128ELj5ELj4EfEEvi20rocsparse_direction_NS_24const_host_device_scalarIT2_EEPKiS6_PKS3_S8_S4_PS3_21rocsparse_index_base_b.uses_flat_scratch, 0
	.set _ZN9rocsparseL19gebsrmvn_4xn_kernelILj128ELj5ELj4EfEEvi20rocsparse_direction_NS_24const_host_device_scalarIT2_EEPKiS6_PKS3_S8_S4_PS3_21rocsparse_index_base_b.has_dyn_sized_stack, 0
	.set _ZN9rocsparseL19gebsrmvn_4xn_kernelILj128ELj5ELj4EfEEvi20rocsparse_direction_NS_24const_host_device_scalarIT2_EEPKiS6_PKS3_S8_S4_PS3_21rocsparse_index_base_b.has_recursion, 0
	.set _ZN9rocsparseL19gebsrmvn_4xn_kernelILj128ELj5ELj4EfEEvi20rocsparse_direction_NS_24const_host_device_scalarIT2_EEPKiS6_PKS3_S8_S4_PS3_21rocsparse_index_base_b.has_indirect_call, 0
	.section	.AMDGPU.csdata,"",@progbits
; Kernel info:
; codeLenInByte = 2648
; TotalNumSgprs: 20
; NumVgprs: 41
; ScratchSize: 0
; MemoryBound: 0
; FloatMode: 240
; IeeeMode: 1
; LDSByteSize: 0 bytes/workgroup (compile time only)
; SGPRBlocks: 0
; VGPRBlocks: 5
; NumSGPRsForWavesPerEU: 20
; NumVGPRsForWavesPerEU: 41
; Occupancy: 16
; WaveLimiterHint : 1
; COMPUTE_PGM_RSRC2:SCRATCH_EN: 0
; COMPUTE_PGM_RSRC2:USER_SGPR: 2
; COMPUTE_PGM_RSRC2:TRAP_HANDLER: 0
; COMPUTE_PGM_RSRC2:TGID_X_EN: 1
; COMPUTE_PGM_RSRC2:TGID_Y_EN: 0
; COMPUTE_PGM_RSRC2:TGID_Z_EN: 0
; COMPUTE_PGM_RSRC2:TIDIG_COMP_CNT: 0
	.section	.text._ZN9rocsparseL19gebsrmvn_4xn_kernelILj128ELj5ELj8EfEEvi20rocsparse_direction_NS_24const_host_device_scalarIT2_EEPKiS6_PKS3_S8_S4_PS3_21rocsparse_index_base_b,"axG",@progbits,_ZN9rocsparseL19gebsrmvn_4xn_kernelILj128ELj5ELj8EfEEvi20rocsparse_direction_NS_24const_host_device_scalarIT2_EEPKiS6_PKS3_S8_S4_PS3_21rocsparse_index_base_b,comdat
	.globl	_ZN9rocsparseL19gebsrmvn_4xn_kernelILj128ELj5ELj8EfEEvi20rocsparse_direction_NS_24const_host_device_scalarIT2_EEPKiS6_PKS3_S8_S4_PS3_21rocsparse_index_base_b ; -- Begin function _ZN9rocsparseL19gebsrmvn_4xn_kernelILj128ELj5ELj8EfEEvi20rocsparse_direction_NS_24const_host_device_scalarIT2_EEPKiS6_PKS3_S8_S4_PS3_21rocsparse_index_base_b
	.p2align	8
	.type	_ZN9rocsparseL19gebsrmvn_4xn_kernelILj128ELj5ELj8EfEEvi20rocsparse_direction_NS_24const_host_device_scalarIT2_EEPKiS6_PKS3_S8_S4_PS3_21rocsparse_index_base_b,@function
_ZN9rocsparseL19gebsrmvn_4xn_kernelILj128ELj5ELj8EfEEvi20rocsparse_direction_NS_24const_host_device_scalarIT2_EEPKiS6_PKS3_S8_S4_PS3_21rocsparse_index_base_b: ; @_ZN9rocsparseL19gebsrmvn_4xn_kernelILj128ELj5ELj8EfEEvi20rocsparse_direction_NS_24const_host_device_scalarIT2_EEPKiS6_PKS3_S8_S4_PS3_21rocsparse_index_base_b
; %bb.0:
	s_clause 0x2
	s_load_b64 s[16:17], s[0:1], 0x40
	s_load_b64 s[14:15], s[0:1], 0x8
	;; [unrolled: 1-line block ×3, first 2 shown]
	s_wait_kmcnt 0x0
	s_bitcmp1_b32 s17, 0
	s_cselect_b32 s2, -1, 0
	s_delay_alu instid0(SALU_CYCLE_1)
	s_and_b32 vcc_lo, exec_lo, s2
	s_xor_b32 s2, s2, -1
	s_cbranch_vccnz .LBB16_2
; %bb.1:
	s_load_b32 s14, s[14:15], 0x0
.LBB16_2:
	s_and_not1_b32 vcc_lo, exec_lo, s2
	s_cbranch_vccnz .LBB16_4
; %bb.3:
	s_load_b32 s12, s[12:13], 0x0
.LBB16_4:
	s_wait_kmcnt 0x0
	s_cmp_eq_f32 s14, 0
	s_cselect_b32 s2, -1, 0
	s_cmp_eq_f32 s12, 1.0
	s_cselect_b32 s3, -1, 0
	s_delay_alu instid0(SALU_CYCLE_1) | instskip(NEXT) | instid1(SALU_CYCLE_1)
	s_and_b32 s2, s2, s3
	s_and_b32 vcc_lo, exec_lo, s2
	s_cbranch_vccnz .LBB16_23
; %bb.5:
	s_load_b64 s[2:3], s[0:1], 0x0
	v_lshrrev_b32_e32 v1, 3, v0
	s_delay_alu instid0(VALU_DEP_1) | instskip(SKIP_1) | instid1(VALU_DEP_1)
	v_lshl_or_b32 v4, ttmp9, 4, v1
	s_wait_kmcnt 0x0
	v_cmp_gt_i32_e32 vcc_lo, s2, v4
	s_and_saveexec_b32 s2, vcc_lo
	s_cbranch_execz .LBB16_23
; %bb.6:
	s_load_b256 s[4:11], s[0:1], 0x10
	v_ashrrev_i32_e32 v5, 31, v4
	v_and_b32_e32 v9, 7, v0
	s_cmp_lg_u32 s3, 0
	s_delay_alu instid0(VALU_DEP_2) | instskip(SKIP_1) | instid1(VALU_DEP_1)
	v_lshlrev_b64_e32 v[1:2], 2, v[4:5]
	s_wait_kmcnt 0x0
	v_add_co_u32 v1, vcc_lo, s4, v1
	s_delay_alu instid0(VALU_DEP_1) | instskip(SKIP_4) | instid1(VALU_DEP_2)
	v_add_co_ci_u32_e64 v2, null, s5, v2, vcc_lo
	global_load_b64 v[1:2], v[1:2], off
	s_wait_loadcnt 0x0
	v_subrev_nc_u32_e32 v0, s16, v1
	v_subrev_nc_u32_e32 v14, s16, v2
	v_add_nc_u32_e32 v0, v0, v9
	s_delay_alu instid0(VALU_DEP_1)
	v_cmp_lt_i32_e64 s2, v0, v14
	s_cbranch_scc0 .LBB16_12
; %bb.7:
	v_dual_mov_b32 v10, 0 :: v_dual_mov_b32 v11, 0
	v_dual_mov_b32 v12, 0 :: v_dual_mov_b32 v13, 0
	s_and_saveexec_b32 s3, s2
	s_cbranch_execz .LBB16_11
; %bb.8:
	v_mad_co_u64_u32 v[1:2], null, v0, 20, 16
	v_dual_mov_b32 v6, 0 :: v_dual_mov_b32 v7, v0
	v_dual_mov_b32 v10, 0 :: v_dual_mov_b32 v11, 0
	v_dual_mov_b32 v12, 0 :: v_dual_mov_b32 v13, 0
	s_mov_b32 s4, 0
.LBB16_9:                               ; =>This Inner Loop Header: Depth=1
	s_delay_alu instid0(VALU_DEP_3) | instskip(SKIP_1) | instid1(VALU_DEP_2)
	v_ashrrev_i32_e32 v8, 31, v7
	v_add_nc_u32_e32 v5, -16, v1
	v_lshlrev_b64_e32 v[2:3], 2, v[7:8]
	v_add_nc_u32_e32 v7, 8, v7
	s_delay_alu instid0(VALU_DEP_2) | instskip(SKIP_1) | instid1(VALU_DEP_3)
	v_add_co_u32 v2, vcc_lo, s6, v2
	s_wait_alu 0xfffd
	v_add_co_ci_u32_e64 v3, null, s7, v3, vcc_lo
	global_load_b32 v8, v[2:3], off
	v_mov_b32_e32 v2, v6
	v_lshlrev_b64_e32 v[15:16], 2, v[5:6]
	v_add_nc_u32_e32 v5, -12, v1
	s_delay_alu instid0(VALU_DEP_3) | instskip(NEXT) | instid1(VALU_DEP_2)
	v_lshlrev_b64_e32 v[17:18], 2, v[1:2]
	v_lshlrev_b64_e32 v[19:20], 2, v[5:6]
	s_delay_alu instid0(VALU_DEP_4) | instskip(SKIP_2) | instid1(VALU_DEP_4)
	v_add_co_u32 v15, vcc_lo, s8, v15
	s_wait_alu 0xfffd
	v_add_co_ci_u32_e64 v16, null, s9, v16, vcc_lo
	v_add_co_u32 v31, vcc_lo, s8, v17
	s_wait_alu 0xfffd
	v_add_co_ci_u32_e64 v32, null, s9, v18, vcc_lo
	;; [unrolled: 3-line block ×3, first 2 shown]
	s_clause 0x1
	global_load_b128 v[15:18], v[15:16], off
	global_load_b128 v[19:22], v[19:20], off
	v_mov_b32_e32 v3, v6
	s_wait_loadcnt 0x2
	v_subrev_nc_u32_e32 v2, s16, v8
	s_delay_alu instid0(VALU_DEP_1) | instskip(NEXT) | instid1(VALU_DEP_1)
	v_lshl_add_u32 v2, v2, 2, v2
	v_add_nc_u32_e32 v5, 1, v2
	v_lshlrev_b64_e32 v[23:24], 2, v[2:3]
	s_delay_alu instid0(VALU_DEP_2) | instskip(NEXT) | instid1(VALU_DEP_2)
	v_lshlrev_b64_e32 v[25:26], 2, v[5:6]
	v_add_co_u32 v23, vcc_lo, s10, v23
	s_wait_alu 0xfffd
	s_delay_alu instid0(VALU_DEP_3) | instskip(NEXT) | instid1(VALU_DEP_3)
	v_add_co_ci_u32_e64 v24, null, s11, v24, vcc_lo
	v_add_co_u32 v25, vcc_lo, s10, v25
	s_wait_alu 0xfffd
	v_add_co_ci_u32_e64 v26, null, s11, v26, vcc_lo
	s_clause 0x1
	global_load_b32 v8, v[23:24], off
	global_load_b32 v37, v[25:26], off
	s_wait_loadcnt 0x1
	v_fmac_f32_e32 v10, v15, v8
	v_fmac_f32_e32 v12, v17, v8
	s_wait_loadcnt 0x0
	s_delay_alu instid0(VALU_DEP_2) | instskip(SKIP_1) | instid1(VALU_DEP_3)
	v_fmac_f32_e32 v10, v19, v37
	v_add_nc_u32_e32 v5, -8, v1
	v_fmac_f32_e32 v12, v21, v37
	s_delay_alu instid0(VALU_DEP_2) | instskip(SKIP_1) | instid1(VALU_DEP_1)
	v_lshlrev_b64_e32 v[27:28], 2, v[5:6]
	v_add_nc_u32_e32 v5, 2, v2
	v_lshlrev_b64_e32 v[23:24], 2, v[5:6]
	s_delay_alu instid0(VALU_DEP_3) | instskip(SKIP_1) | instid1(VALU_DEP_4)
	v_add_co_u32 v25, vcc_lo, s8, v27
	s_wait_alu 0xfffd
	v_add_co_ci_u32_e64 v26, null, s9, v28, vcc_lo
	s_delay_alu instid0(VALU_DEP_3)
	v_add_co_u32 v29, vcc_lo, s10, v23
	s_wait_alu 0xfffd
	v_add_co_ci_u32_e64 v30, null, s11, v24, vcc_lo
	global_load_b128 v[23:26], v[25:26], off
	global_load_b32 v38, v[29:30], off
	v_add_nc_u32_e32 v5, -4, v1
	s_wait_loadcnt 0x0
	v_dual_fmac_f32 v12, v25, v38 :: v_dual_add_nc_u32 v1, 0xa0, v1
	s_delay_alu instid0(VALU_DEP_2) | instskip(SKIP_2) | instid1(VALU_DEP_2)
	v_lshlrev_b64_e32 v[27:28], 2, v[5:6]
	v_add_nc_u32_e32 v5, 3, v2
	v_fmac_f32_e32 v10, v23, v38
	v_lshlrev_b64_e32 v[33:34], 2, v[5:6]
	v_add_nc_u32_e32 v5, 4, v2
	v_add_co_u32 v2, vcc_lo, s8, v27
	s_wait_alu 0xfffd
	v_add_co_ci_u32_e64 v3, null, s9, v28, vcc_lo
	s_delay_alu instid0(VALU_DEP_3)
	v_lshlrev_b64_e32 v[35:36], 2, v[5:6]
	v_add_co_u32 v33, vcc_lo, s10, v33
	s_wait_alu 0xfffd
	v_add_co_ci_u32_e64 v34, null, s11, v34, vcc_lo
	global_load_b128 v[27:30], v[2:3], off
	global_load_b32 v5, v[33:34], off
	v_add_co_u32 v2, vcc_lo, s10, v35
	s_wait_alu 0xfffd
	v_add_co_ci_u32_e64 v3, null, s11, v36, vcc_lo
	global_load_b128 v[31:34], v[31:32], off
	global_load_b32 v2, v[2:3], off
	v_fmac_f32_e32 v13, v16, v8
	v_fmac_f32_e32 v11, v18, v8
	v_cmp_ge_i32_e32 vcc_lo, v7, v14
	s_wait_alu 0xfffe
	s_or_b32 s4, vcc_lo, s4
	s_wait_loadcnt 0x2
	v_fmac_f32_e32 v10, v27, v5
	v_fmac_f32_e32 v13, v20, v37
	;; [unrolled: 1-line block ×3, first 2 shown]
	s_wait_loadcnt 0x0
	s_delay_alu instid0(VALU_DEP_1) | instskip(NEXT) | instid1(VALU_DEP_1)
	v_dual_fmac_f32 v11, v22, v37 :: v_dual_fmac_f32 v12, v33, v2
	v_fmac_f32_e32 v11, v26, v38
	v_fmac_f32_e32 v10, v31, v2
	;; [unrolled: 1-line block ×3, first 2 shown]
	s_delay_alu instid0(VALU_DEP_3) | instskip(NEXT) | instid1(VALU_DEP_2)
	v_fmac_f32_e32 v11, v30, v5
	v_fmac_f32_e32 v13, v28, v5
	s_delay_alu instid0(VALU_DEP_2) | instskip(NEXT) | instid1(VALU_DEP_2)
	v_fmac_f32_e32 v11, v34, v2
	v_fmac_f32_e32 v13, v32, v2
	s_wait_alu 0xfffe
	s_and_not1_b32 exec_lo, exec_lo, s4
	s_cbranch_execnz .LBB16_9
; %bb.10:
	s_or_b32 exec_lo, exec_lo, s4
.LBB16_11:
	s_wait_alu 0xfffe
	s_or_b32 exec_lo, exec_lo, s3
	s_cbranch_execz .LBB16_13
	s_branch .LBB16_18
.LBB16_12:
                                        ; implicit-def: $vgpr10
                                        ; implicit-def: $vgpr11
                                        ; implicit-def: $vgpr12
                                        ; implicit-def: $vgpr13
.LBB16_13:
	v_dual_mov_b32 v10, 0 :: v_dual_mov_b32 v11, 0
	v_dual_mov_b32 v12, 0 :: v_dual_mov_b32 v13, 0
	s_and_saveexec_b32 s3, s2
	s_cbranch_execz .LBB16_17
; %bb.14:
	v_mad_co_u64_u32 v[2:3], null, v0, 20, 19
	v_dual_mov_b32 v6, 0 :: v_dual_mov_b32 v11, 0
	v_dual_mov_b32 v10, 0 :: v_dual_mov_b32 v13, 0
	v_mov_b32_e32 v12, 0
	s_mov_b32 s2, 0
.LBB16_15:                              ; =>This Inner Loop Header: Depth=1
	v_ashrrev_i32_e32 v1, 31, v0
	v_subrev_nc_u32_e32 v5, 19, v2
	v_add_nc_u32_e32 v15, -9, v2
	v_dual_mov_b32 v16, v6 :: v_dual_add_nc_u32 v17, -4, v2
	s_delay_alu instid0(VALU_DEP_4) | instskip(NEXT) | instid1(VALU_DEP_4)
	v_lshlrev_b64_e32 v[7:8], 2, v[0:1]
	v_lshlrev_b64_e32 v[21:22], 2, v[5:6]
	v_dual_mov_b32 v18, v6 :: v_dual_mov_b32 v3, v6
	v_mov_b32_e32 v20, v6
	v_add_nc_u32_e32 v0, 8, v0
	v_add_co_u32 v7, vcc_lo, s6, v7
	s_wait_alu 0xfffd
	v_add_co_ci_u32_e64 v8, null, s7, v8, vcc_lo
	v_lshlrev_b64_e32 v[17:18], 2, v[17:18]
	v_add_co_u32 v21, vcc_lo, s8, v21
	global_load_b32 v1, v[7:8], off
	v_dual_mov_b32 v8, v6 :: v_dual_add_nc_u32 v7, -14, v2
	v_lshlrev_b64_e32 v[15:16], 2, v[15:16]
	s_wait_alu 0xfffd
	v_add_co_ci_u32_e64 v22, null, s9, v22, vcc_lo
	v_lshlrev_b64_e32 v[23:24], 2, v[2:3]
	v_lshlrev_b64_e32 v[7:8], 2, v[7:8]
	s_delay_alu instid0(VALU_DEP_1) | instskip(SKIP_1) | instid1(VALU_DEP_2)
	v_add_co_u32 v7, vcc_lo, s8, v7
	s_wait_alu 0xfffd
	v_add_co_ci_u32_e64 v8, null, s9, v8, vcc_lo
	v_add_co_u32 v25, vcc_lo, s8, v15
	s_wait_alu 0xfffd
	v_add_co_ci_u32_e64 v26, null, s9, v16, vcc_lo
	;; [unrolled: 3-line block ×3, first 2 shown]
	s_clause 0x3
	global_load_b128 v[15:18], v[21:22], off
	global_load_b32 v3, v[7:8], off
	global_load_b32 v29, v[25:26], off
	;; [unrolled: 1-line block ×3, first 2 shown]
	v_add_co_u32 v23, vcc_lo, s8, v23
	s_wait_alu 0xfffd
	v_add_co_ci_u32_e64 v24, null, s9, v24, vcc_lo
	s_wait_loadcnt 0x4
	v_subrev_nc_u32_e32 v1, s16, v1
	s_delay_alu instid0(VALU_DEP_1) | instskip(NEXT) | instid1(VALU_DEP_1)
	v_lshl_add_u32 v19, v1, 2, v1
	v_lshlrev_b64_e32 v[7:8], 2, v[19:20]
	s_delay_alu instid0(VALU_DEP_1) | instskip(SKIP_1) | instid1(VALU_DEP_2)
	v_add_co_u32 v7, vcc_lo, s10, v7
	s_wait_alu 0xfffd
	v_add_co_ci_u32_e64 v8, null, s11, v8, vcc_lo
	global_load_b32 v1, v[7:8], off
	s_wait_loadcnt 0x0
	v_dual_fmac_f32 v10, v15, v1 :: v_dual_add_nc_u32 v5, 1, v19
	s_delay_alu instid0(VALU_DEP_1) | instskip(SKIP_3) | instid1(VALU_DEP_4)
	v_lshlrev_b64_e32 v[20:21], 2, v[5:6]
	v_dual_fmac_f32 v12, v29, v1 :: v_dual_add_nc_u32 v5, -13, v2
	v_fmac_f32_e32 v13, v3, v1
	v_fmac_f32_e32 v11, v27, v1
	v_add_co_u32 v7, vcc_lo, s10, v20
	s_wait_alu 0xfffd
	v_add_co_ci_u32_e64 v8, null, s11, v21, vcc_lo
	v_lshlrev_b64_e32 v[25:26], 2, v[5:6]
	global_load_b32 v28, v[7:8], off
	v_add_nc_u32_e32 v5, -8, v2
	v_add_co_u32 v25, vcc_lo, s8, v25
	s_wait_alu 0xfffd
	v_add_co_ci_u32_e64 v26, null, s9, v26, vcc_lo
	global_load_b32 v30, v[25:26], off
	s_wait_loadcnt 0x1
	v_fmac_f32_e32 v10, v16, v28
	v_lshlrev_b64_e32 v[20:21], 2, v[5:6]
	s_delay_alu instid0(VALU_DEP_1) | instskip(SKIP_1) | instid1(VALU_DEP_2)
	v_add_co_u32 v20, vcc_lo, s8, v20
	s_wait_alu 0xfffd
	v_add_co_ci_u32_e64 v21, null, s9, v21, vcc_lo
	global_load_b32 v31, v[20:21], off
	v_add_nc_u32_e32 v5, -3, v2
	s_delay_alu instid0(VALU_DEP_1) | instskip(SKIP_1) | instid1(VALU_DEP_1)
	v_lshlrev_b64_e32 v[7:8], 2, v[5:6]
	v_add_nc_u32_e32 v5, 2, v19
	v_lshlrev_b64_e32 v[25:26], 2, v[5:6]
	s_delay_alu instid0(VALU_DEP_3) | instskip(SKIP_1) | instid1(VALU_DEP_4)
	v_add_co_u32 v7, vcc_lo, s8, v7
	s_wait_alu 0xfffd
	v_add_co_ci_u32_e64 v8, null, s9, v8, vcc_lo
	global_load_b32 v32, v[7:8], off
	v_add_co_u32 v7, vcc_lo, s10, v25
	s_wait_alu 0xfffd
	v_add_co_ci_u32_e64 v8, null, s11, v26, vcc_lo
	global_load_b32 v33, v[7:8], off
	s_wait_loadcnt 0x2
	v_dual_fmac_f32 v12, v31, v28 :: v_dual_add_nc_u32 v5, -12, v2
	s_delay_alu instid0(VALU_DEP_1) | instskip(NEXT) | instid1(VALU_DEP_1)
	v_lshlrev_b64_e32 v[20:21], 2, v[5:6]
	v_add_co_u32 v20, vcc_lo, s8, v20
	s_wait_alu 0xfffd
	s_delay_alu instid0(VALU_DEP_2) | instskip(SKIP_3) | instid1(VALU_DEP_1)
	v_add_co_ci_u32_e64 v21, null, s9, v21, vcc_lo
	global_load_b32 v34, v[20:21], off
	s_wait_loadcnt 0x1
	v_dual_fmac_f32 v10, v17, v33 :: v_dual_add_nc_u32 v5, -7, v2
	v_lshlrev_b64_e32 v[25:26], 2, v[5:6]
	v_add_nc_u32_e32 v5, -2, v2
	s_delay_alu instid0(VALU_DEP_1) | instskip(SKIP_1) | instid1(VALU_DEP_4)
	v_lshlrev_b64_e32 v[7:8], 2, v[5:6]
	v_add_nc_u32_e32 v5, 3, v19
	v_add_co_u32 v20, vcc_lo, s8, v25
	s_wait_alu 0xfffd
	v_add_co_ci_u32_e64 v21, null, s9, v26, vcc_lo
	s_delay_alu instid0(VALU_DEP_4)
	v_add_co_u32 v7, vcc_lo, s8, v7
	v_lshlrev_b64_e32 v[25:26], 2, v[5:6]
	v_add_nc_u32_e32 v5, -11, v2
	s_wait_alu 0xfffd
	v_add_co_ci_u32_e64 v8, null, s9, v8, vcc_lo
	s_clause 0x1
	global_load_b32 v35, v[20:21], off
	global_load_b32 v36, v[7:8], off
	v_lshlrev_b64_e32 v[20:21], 2, v[5:6]
	v_add_nc_u32_e32 v5, -6, v2
	v_add_co_u32 v7, vcc_lo, s10, v25
	s_wait_alu 0xfffd
	v_add_co_ci_u32_e64 v8, null, s11, v26, vcc_lo
	s_delay_alu instid0(VALU_DEP_3)
	v_lshlrev_b64_e32 v[25:26], 2, v[5:6]
	v_add_nc_u32_e32 v5, -1, v2
	v_add_co_u32 v20, vcc_lo, s8, v20
	s_wait_alu 0xfffd
	v_add_co_ci_u32_e64 v21, null, s9, v21, vcc_lo
	global_load_b32 v37, v[7:8], off
	v_lshlrev_b64_e32 v[7:8], 2, v[5:6]
	v_add_nc_u32_e32 v5, -15, v2
	global_load_b32 v38, v[20:21], off
	v_add_co_u32 v20, vcc_lo, s8, v25
	s_wait_alu 0xfffd
	v_add_co_ci_u32_e64 v21, null, s9, v26, vcc_lo
	v_add_co_u32 v7, vcc_lo, s8, v7
	v_lshlrev_b64_e32 v[25:26], 2, v[5:6]
	v_add_nc_u32_e32 v5, 4, v19
	s_wait_alu 0xfffd
	v_add_co_ci_u32_e64 v8, null, s9, v8, vcc_lo
	s_clause 0x1
	global_load_b32 v39, v[20:21], off
	global_load_b32 v40, v[7:8], off
	v_lshlrev_b64_e32 v[19:20], 2, v[5:6]
	v_add_nc_u32_e32 v5, -10, v2
	v_add_co_u32 v7, vcc_lo, s8, v25
	s_wait_alu 0xfffd
	v_add_co_ci_u32_e64 v8, null, s9, v26, vcc_lo
	s_delay_alu instid0(VALU_DEP_3) | instskip(SKIP_4) | instid1(VALU_DEP_3)
	v_lshlrev_b64_e32 v[21:22], 2, v[5:6]
	v_add_nc_u32_e32 v5, -5, v2
	v_add_co_u32 v19, vcc_lo, s10, v19
	s_wait_alu 0xfffd
	v_add_co_ci_u32_e64 v20, null, s11, v20, vcc_lo
	v_lshlrev_b64_e32 v[25:26], 2, v[5:6]
	v_add_co_u32 v21, vcc_lo, s8, v21
	s_wait_alu 0xfffd
	v_add_co_ci_u32_e64 v22, null, s9, v22, vcc_lo
	v_add_nc_u32_e32 v2, 0xa0, v2
	s_delay_alu instid0(VALU_DEP_4)
	v_add_co_u32 v25, vcc_lo, s8, v25
	s_wait_alu 0xfffd
	v_add_co_ci_u32_e64 v26, null, s9, v26, vcc_lo
	global_load_b32 v5, v[7:8], off
	global_load_b32 v7, v[19:20], off
	s_clause 0x2
	global_load_b32 v8, v[21:22], off
	global_load_b32 v19, v[25:26], off
	;; [unrolled: 1-line block ×3, first 2 shown]
	v_fmac_f32_e32 v11, v32, v28
	v_cmp_ge_i32_e32 vcc_lo, v0, v14
	s_wait_alu 0xfffe
	s_or_b32 s2, vcc_lo, s2
	s_wait_loadcnt 0xa
	v_fmac_f32_e32 v12, v35, v33
	s_wait_loadcnt 0x9
	v_fmac_f32_e32 v11, v36, v33
	;; [unrolled: 2-line block ×3, first 2 shown]
	s_wait_loadcnt 0x6
	v_dual_fmac_f32 v13, v30, v28 :: v_dual_fmac_f32 v12, v39, v37
	s_wait_loadcnt 0x3
	s_delay_alu instid0(VALU_DEP_2) | instskip(SKIP_1) | instid1(VALU_DEP_2)
	v_dual_fmac_f32 v11, v40, v37 :: v_dual_fmac_f32 v10, v5, v7
	s_wait_loadcnt 0x1
	v_dual_fmac_f32 v13, v34, v33 :: v_dual_fmac_f32 v12, v19, v7
	s_wait_loadcnt 0x0
	s_delay_alu instid0(VALU_DEP_2) | instskip(NEXT) | instid1(VALU_DEP_2)
	v_fmac_f32_e32 v11, v20, v7
	v_fmac_f32_e32 v13, v38, v37
	s_delay_alu instid0(VALU_DEP_1)
	v_fmac_f32_e32 v13, v8, v7
	s_wait_alu 0xfffe
	s_and_not1_b32 exec_lo, exec_lo, s2
	s_cbranch_execnz .LBB16_15
; %bb.16:
	s_or_b32 exec_lo, exec_lo, s2
.LBB16_17:
	s_wait_alu 0xfffe
	s_or_b32 exec_lo, exec_lo, s3
.LBB16_18:
	v_mbcnt_lo_u32_b32 v0, -1, 0
	s_mov_b32 s2, -1
	s_delay_alu instid0(VALU_DEP_1) | instskip(SKIP_1) | instid1(VALU_DEP_2)
	v_xor_b32_e32 v1, 4, v0
	v_xor_b32_e32 v6, 2, v0
	v_cmp_gt_i32_e32 vcc_lo, 32, v1
	s_wait_alu 0xfffd
	v_cndmask_b32_e32 v1, v0, v1, vcc_lo
	s_delay_alu instid0(VALU_DEP_3) | instskip(SKIP_2) | instid1(VALU_DEP_1)
	v_cmp_gt_i32_e32 vcc_lo, 32, v6
	s_wait_alu 0xfffd
	v_cndmask_b32_e32 v6, v0, v6, vcc_lo
	v_lshlrev_b32_e32 v6, 2, v6
	v_lshlrev_b32_e32 v1, 2, v1
	ds_bpermute_b32 v2, v1, v10
	s_wait_dscnt 0x0
	v_add_f32_e32 v2, v10, v2
	ds_bpermute_b32 v3, v1, v13
	ds_bpermute_b32 v5, v1, v12
	;; [unrolled: 1-line block ×3, first 2 shown]
	s_wait_dscnt 0x2
	v_add_f32_e32 v3, v13, v3
	s_wait_dscnt 0x1
	v_add_f32_e32 v5, v12, v5
	s_wait_dscnt 0x0
	v_add_f32_e32 v7, v11, v1
	v_xor_b32_e32 v11, 1, v0
	ds_bpermute_b32 v1, v6, v2
	ds_bpermute_b32 v8, v6, v3
	;; [unrolled: 1-line block ×3, first 2 shown]
	v_cmp_gt_i32_e32 vcc_lo, 32, v11
	s_wait_alu 0xfffd
	v_cndmask_b32_e32 v0, v0, v11, vcc_lo
	ds_bpermute_b32 v6, v6, v7
	v_cmp_eq_u32_e32 vcc_lo, 7, v9
	s_wait_dscnt 0x3
	v_dual_add_f32 v0, v2, v1 :: v_dual_lshlrev_b32 v11, 2, v0
	s_wait_dscnt 0x1
	v_dual_add_f32 v1, v3, v8 :: v_dual_add_f32 v2, v5, v10
	ds_bpermute_b32 v5, v11, v0
	s_wait_dscnt 0x1
	v_add_f32_e32 v3, v7, v6
	ds_bpermute_b32 v6, v11, v1
	ds_bpermute_b32 v7, v11, v2
	;; [unrolled: 1-line block ×3, first 2 shown]
	s_and_b32 exec_lo, exec_lo, vcc_lo
	s_cbranch_execz .LBB16_23
; %bb.19:
	s_load_b64 s[0:1], s[0:1], 0x38
	s_wait_dscnt 0x2
	v_dual_add_f32 v0, v0, v5 :: v_dual_add_f32 v1, v1, v6
	s_wait_dscnt 0x0
	v_dual_add_f32 v2, v2, v7 :: v_dual_add_f32 v3, v3, v8
	v_lshlrev_b32_e32 v4, 2, v4
	s_delay_alu instid0(VALU_DEP_3) | instskip(NEXT) | instid1(VALU_DEP_3)
	v_dual_mul_f32 v0, s14, v0 :: v_dual_mul_f32 v1, s14, v1
	v_dual_mul_f32 v2, s14, v2 :: v_dual_mul_f32 v3, s14, v3
	s_cmp_eq_f32 s12, 0
	s_cbranch_scc0 .LBB16_21
; %bb.20:
	v_ashrrev_i32_e32 v5, 31, v4
	s_mov_b32 s2, 0
	s_delay_alu instid0(VALU_DEP_1) | instskip(SKIP_1) | instid1(VALU_DEP_1)
	v_lshlrev_b64_e32 v[5:6], 2, v[4:5]
	s_wait_kmcnt 0x0
	v_add_co_u32 v5, vcc_lo, s0, v5
	s_wait_alu 0xfffd
	s_delay_alu instid0(VALU_DEP_2)
	v_add_co_ci_u32_e64 v6, null, s1, v6, vcc_lo
	global_store_b128 v[5:6], v[0:3], off
.LBB16_21:
	s_wait_alu 0xfffe
	s_and_not1_b32 vcc_lo, exec_lo, s2
	s_wait_alu 0xfffe
	s_cbranch_vccnz .LBB16_23
; %bb.22:
	v_ashrrev_i32_e32 v5, 31, v4
	s_delay_alu instid0(VALU_DEP_1) | instskip(SKIP_1) | instid1(VALU_DEP_1)
	v_lshlrev_b64_e32 v[4:5], 2, v[4:5]
	s_wait_kmcnt 0x0
	v_add_co_u32 v8, vcc_lo, s0, v4
	s_wait_alu 0xfffd
	s_delay_alu instid0(VALU_DEP_2)
	v_add_co_ci_u32_e64 v9, null, s1, v5, vcc_lo
	global_load_b128 v[4:7], v[8:9], off
	s_wait_loadcnt 0x0
	v_dual_fmac_f32 v0, s12, v4 :: v_dual_fmac_f32 v1, s12, v5
	v_dual_fmac_f32 v2, s12, v6 :: v_dual_fmac_f32 v3, s12, v7
	global_store_b128 v[8:9], v[0:3], off
.LBB16_23:
	s_endpgm
	.section	.rodata,"a",@progbits
	.p2align	6, 0x0
	.amdhsa_kernel _ZN9rocsparseL19gebsrmvn_4xn_kernelILj128ELj5ELj8EfEEvi20rocsparse_direction_NS_24const_host_device_scalarIT2_EEPKiS6_PKS3_S8_S4_PS3_21rocsparse_index_base_b
		.amdhsa_group_segment_fixed_size 0
		.amdhsa_private_segment_fixed_size 0
		.amdhsa_kernarg_size 72
		.amdhsa_user_sgpr_count 2
		.amdhsa_user_sgpr_dispatch_ptr 0
		.amdhsa_user_sgpr_queue_ptr 0
		.amdhsa_user_sgpr_kernarg_segment_ptr 1
		.amdhsa_user_sgpr_dispatch_id 0
		.amdhsa_user_sgpr_private_segment_size 0
		.amdhsa_wavefront_size32 1
		.amdhsa_uses_dynamic_stack 0
		.amdhsa_enable_private_segment 0
		.amdhsa_system_sgpr_workgroup_id_x 1
		.amdhsa_system_sgpr_workgroup_id_y 0
		.amdhsa_system_sgpr_workgroup_id_z 0
		.amdhsa_system_sgpr_workgroup_info 0
		.amdhsa_system_vgpr_workitem_id 0
		.amdhsa_next_free_vgpr 41
		.amdhsa_next_free_sgpr 18
		.amdhsa_reserve_vcc 1
		.amdhsa_float_round_mode_32 0
		.amdhsa_float_round_mode_16_64 0
		.amdhsa_float_denorm_mode_32 3
		.amdhsa_float_denorm_mode_16_64 3
		.amdhsa_fp16_overflow 0
		.amdhsa_workgroup_processor_mode 1
		.amdhsa_memory_ordered 1
		.amdhsa_forward_progress 1
		.amdhsa_inst_pref_size 22
		.amdhsa_round_robin_scheduling 0
		.amdhsa_exception_fp_ieee_invalid_op 0
		.amdhsa_exception_fp_denorm_src 0
		.amdhsa_exception_fp_ieee_div_zero 0
		.amdhsa_exception_fp_ieee_overflow 0
		.amdhsa_exception_fp_ieee_underflow 0
		.amdhsa_exception_fp_ieee_inexact 0
		.amdhsa_exception_int_div_zero 0
	.end_amdhsa_kernel
	.section	.text._ZN9rocsparseL19gebsrmvn_4xn_kernelILj128ELj5ELj8EfEEvi20rocsparse_direction_NS_24const_host_device_scalarIT2_EEPKiS6_PKS3_S8_S4_PS3_21rocsparse_index_base_b,"axG",@progbits,_ZN9rocsparseL19gebsrmvn_4xn_kernelILj128ELj5ELj8EfEEvi20rocsparse_direction_NS_24const_host_device_scalarIT2_EEPKiS6_PKS3_S8_S4_PS3_21rocsparse_index_base_b,comdat
.Lfunc_end16:
	.size	_ZN9rocsparseL19gebsrmvn_4xn_kernelILj128ELj5ELj8EfEEvi20rocsparse_direction_NS_24const_host_device_scalarIT2_EEPKiS6_PKS3_S8_S4_PS3_21rocsparse_index_base_b, .Lfunc_end16-_ZN9rocsparseL19gebsrmvn_4xn_kernelILj128ELj5ELj8EfEEvi20rocsparse_direction_NS_24const_host_device_scalarIT2_EEPKiS6_PKS3_S8_S4_PS3_21rocsparse_index_base_b
                                        ; -- End function
	.set _ZN9rocsparseL19gebsrmvn_4xn_kernelILj128ELj5ELj8EfEEvi20rocsparse_direction_NS_24const_host_device_scalarIT2_EEPKiS6_PKS3_S8_S4_PS3_21rocsparse_index_base_b.num_vgpr, 41
	.set _ZN9rocsparseL19gebsrmvn_4xn_kernelILj128ELj5ELj8EfEEvi20rocsparse_direction_NS_24const_host_device_scalarIT2_EEPKiS6_PKS3_S8_S4_PS3_21rocsparse_index_base_b.num_agpr, 0
	.set _ZN9rocsparseL19gebsrmvn_4xn_kernelILj128ELj5ELj8EfEEvi20rocsparse_direction_NS_24const_host_device_scalarIT2_EEPKiS6_PKS3_S8_S4_PS3_21rocsparse_index_base_b.numbered_sgpr, 18
	.set _ZN9rocsparseL19gebsrmvn_4xn_kernelILj128ELj5ELj8EfEEvi20rocsparse_direction_NS_24const_host_device_scalarIT2_EEPKiS6_PKS3_S8_S4_PS3_21rocsparse_index_base_b.num_named_barrier, 0
	.set _ZN9rocsparseL19gebsrmvn_4xn_kernelILj128ELj5ELj8EfEEvi20rocsparse_direction_NS_24const_host_device_scalarIT2_EEPKiS6_PKS3_S8_S4_PS3_21rocsparse_index_base_b.private_seg_size, 0
	.set _ZN9rocsparseL19gebsrmvn_4xn_kernelILj128ELj5ELj8EfEEvi20rocsparse_direction_NS_24const_host_device_scalarIT2_EEPKiS6_PKS3_S8_S4_PS3_21rocsparse_index_base_b.uses_vcc, 1
	.set _ZN9rocsparseL19gebsrmvn_4xn_kernelILj128ELj5ELj8EfEEvi20rocsparse_direction_NS_24const_host_device_scalarIT2_EEPKiS6_PKS3_S8_S4_PS3_21rocsparse_index_base_b.uses_flat_scratch, 0
	.set _ZN9rocsparseL19gebsrmvn_4xn_kernelILj128ELj5ELj8EfEEvi20rocsparse_direction_NS_24const_host_device_scalarIT2_EEPKiS6_PKS3_S8_S4_PS3_21rocsparse_index_base_b.has_dyn_sized_stack, 0
	.set _ZN9rocsparseL19gebsrmvn_4xn_kernelILj128ELj5ELj8EfEEvi20rocsparse_direction_NS_24const_host_device_scalarIT2_EEPKiS6_PKS3_S8_S4_PS3_21rocsparse_index_base_b.has_recursion, 0
	.set _ZN9rocsparseL19gebsrmvn_4xn_kernelILj128ELj5ELj8EfEEvi20rocsparse_direction_NS_24const_host_device_scalarIT2_EEPKiS6_PKS3_S8_S4_PS3_21rocsparse_index_base_b.has_indirect_call, 0
	.section	.AMDGPU.csdata,"",@progbits
; Kernel info:
; codeLenInByte = 2732
; TotalNumSgprs: 20
; NumVgprs: 41
; ScratchSize: 0
; MemoryBound: 0
; FloatMode: 240
; IeeeMode: 1
; LDSByteSize: 0 bytes/workgroup (compile time only)
; SGPRBlocks: 0
; VGPRBlocks: 5
; NumSGPRsForWavesPerEU: 20
; NumVGPRsForWavesPerEU: 41
; Occupancy: 16
; WaveLimiterHint : 1
; COMPUTE_PGM_RSRC2:SCRATCH_EN: 0
; COMPUTE_PGM_RSRC2:USER_SGPR: 2
; COMPUTE_PGM_RSRC2:TRAP_HANDLER: 0
; COMPUTE_PGM_RSRC2:TGID_X_EN: 1
; COMPUTE_PGM_RSRC2:TGID_Y_EN: 0
; COMPUTE_PGM_RSRC2:TGID_Z_EN: 0
; COMPUTE_PGM_RSRC2:TIDIG_COMP_CNT: 0
	.section	.text._ZN9rocsparseL19gebsrmvn_4xn_kernelILj128ELj5ELj16EfEEvi20rocsparse_direction_NS_24const_host_device_scalarIT2_EEPKiS6_PKS3_S8_S4_PS3_21rocsparse_index_base_b,"axG",@progbits,_ZN9rocsparseL19gebsrmvn_4xn_kernelILj128ELj5ELj16EfEEvi20rocsparse_direction_NS_24const_host_device_scalarIT2_EEPKiS6_PKS3_S8_S4_PS3_21rocsparse_index_base_b,comdat
	.globl	_ZN9rocsparseL19gebsrmvn_4xn_kernelILj128ELj5ELj16EfEEvi20rocsparse_direction_NS_24const_host_device_scalarIT2_EEPKiS6_PKS3_S8_S4_PS3_21rocsparse_index_base_b ; -- Begin function _ZN9rocsparseL19gebsrmvn_4xn_kernelILj128ELj5ELj16EfEEvi20rocsparse_direction_NS_24const_host_device_scalarIT2_EEPKiS6_PKS3_S8_S4_PS3_21rocsparse_index_base_b
	.p2align	8
	.type	_ZN9rocsparseL19gebsrmvn_4xn_kernelILj128ELj5ELj16EfEEvi20rocsparse_direction_NS_24const_host_device_scalarIT2_EEPKiS6_PKS3_S8_S4_PS3_21rocsparse_index_base_b,@function
_ZN9rocsparseL19gebsrmvn_4xn_kernelILj128ELj5ELj16EfEEvi20rocsparse_direction_NS_24const_host_device_scalarIT2_EEPKiS6_PKS3_S8_S4_PS3_21rocsparse_index_base_b: ; @_ZN9rocsparseL19gebsrmvn_4xn_kernelILj128ELj5ELj16EfEEvi20rocsparse_direction_NS_24const_host_device_scalarIT2_EEPKiS6_PKS3_S8_S4_PS3_21rocsparse_index_base_b
; %bb.0:
	s_clause 0x2
	s_load_b64 s[16:17], s[0:1], 0x40
	s_load_b64 s[14:15], s[0:1], 0x8
	;; [unrolled: 1-line block ×3, first 2 shown]
	s_wait_kmcnt 0x0
	s_bitcmp1_b32 s17, 0
	s_cselect_b32 s2, -1, 0
	s_delay_alu instid0(SALU_CYCLE_1)
	s_and_b32 vcc_lo, exec_lo, s2
	s_xor_b32 s2, s2, -1
	s_cbranch_vccnz .LBB17_2
; %bb.1:
	s_load_b32 s14, s[14:15], 0x0
.LBB17_2:
	s_and_not1_b32 vcc_lo, exec_lo, s2
	s_cbranch_vccnz .LBB17_4
; %bb.3:
	s_load_b32 s12, s[12:13], 0x0
.LBB17_4:
	s_wait_kmcnt 0x0
	s_cmp_eq_f32 s14, 0
	s_cselect_b32 s2, -1, 0
	s_cmp_eq_f32 s12, 1.0
	s_cselect_b32 s3, -1, 0
	s_delay_alu instid0(SALU_CYCLE_1) | instskip(NEXT) | instid1(SALU_CYCLE_1)
	s_and_b32 s2, s2, s3
	s_and_b32 vcc_lo, exec_lo, s2
	s_cbranch_vccnz .LBB17_23
; %bb.5:
	s_load_b64 s[2:3], s[0:1], 0x0
	v_lshrrev_b32_e32 v1, 4, v0
	s_delay_alu instid0(VALU_DEP_1) | instskip(SKIP_1) | instid1(VALU_DEP_1)
	v_lshl_or_b32 v4, ttmp9, 3, v1
	s_wait_kmcnt 0x0
	v_cmp_gt_i32_e32 vcc_lo, s2, v4
	s_and_saveexec_b32 s2, vcc_lo
	s_cbranch_execz .LBB17_23
; %bb.6:
	s_load_b256 s[4:11], s[0:1], 0x10
	v_ashrrev_i32_e32 v5, 31, v4
	v_and_b32_e32 v9, 15, v0
	s_cmp_lg_u32 s3, 0
	s_delay_alu instid0(VALU_DEP_2) | instskip(SKIP_1) | instid1(VALU_DEP_1)
	v_lshlrev_b64_e32 v[1:2], 2, v[4:5]
	s_wait_kmcnt 0x0
	v_add_co_u32 v1, vcc_lo, s4, v1
	s_delay_alu instid0(VALU_DEP_1) | instskip(SKIP_4) | instid1(VALU_DEP_2)
	v_add_co_ci_u32_e64 v2, null, s5, v2, vcc_lo
	global_load_b64 v[1:2], v[1:2], off
	s_wait_loadcnt 0x0
	v_subrev_nc_u32_e32 v0, s16, v1
	v_subrev_nc_u32_e32 v14, s16, v2
	v_add_nc_u32_e32 v0, v0, v9
	s_delay_alu instid0(VALU_DEP_1)
	v_cmp_lt_i32_e64 s2, v0, v14
	s_cbranch_scc0 .LBB17_12
; %bb.7:
	v_dual_mov_b32 v10, 0 :: v_dual_mov_b32 v11, 0
	v_dual_mov_b32 v12, 0 :: v_dual_mov_b32 v13, 0
	s_and_saveexec_b32 s3, s2
	s_cbranch_execz .LBB17_11
; %bb.8:
	v_mad_co_u64_u32 v[1:2], null, v0, 20, 16
	v_dual_mov_b32 v6, 0 :: v_dual_mov_b32 v7, v0
	v_dual_mov_b32 v10, 0 :: v_dual_mov_b32 v11, 0
	;; [unrolled: 1-line block ×3, first 2 shown]
	s_mov_b32 s4, 0
.LBB17_9:                               ; =>This Inner Loop Header: Depth=1
	s_delay_alu instid0(VALU_DEP_3) | instskip(SKIP_1) | instid1(VALU_DEP_2)
	v_ashrrev_i32_e32 v8, 31, v7
	v_add_nc_u32_e32 v5, -16, v1
	v_lshlrev_b64_e32 v[2:3], 2, v[7:8]
	v_add_nc_u32_e32 v7, 16, v7
	s_delay_alu instid0(VALU_DEP_2) | instskip(SKIP_1) | instid1(VALU_DEP_3)
	v_add_co_u32 v2, vcc_lo, s6, v2
	s_wait_alu 0xfffd
	v_add_co_ci_u32_e64 v3, null, s7, v3, vcc_lo
	global_load_b32 v8, v[2:3], off
	v_mov_b32_e32 v2, v6
	v_lshlrev_b64_e32 v[15:16], 2, v[5:6]
	v_add_nc_u32_e32 v5, -12, v1
	s_delay_alu instid0(VALU_DEP_3) | instskip(NEXT) | instid1(VALU_DEP_2)
	v_lshlrev_b64_e32 v[17:18], 2, v[1:2]
	v_lshlrev_b64_e32 v[19:20], 2, v[5:6]
	s_delay_alu instid0(VALU_DEP_4) | instskip(SKIP_2) | instid1(VALU_DEP_4)
	v_add_co_u32 v15, vcc_lo, s8, v15
	s_wait_alu 0xfffd
	v_add_co_ci_u32_e64 v16, null, s9, v16, vcc_lo
	v_add_co_u32 v31, vcc_lo, s8, v17
	s_wait_alu 0xfffd
	v_add_co_ci_u32_e64 v32, null, s9, v18, vcc_lo
	;; [unrolled: 3-line block ×3, first 2 shown]
	s_clause 0x1
	global_load_b128 v[15:18], v[15:16], off
	global_load_b128 v[19:22], v[19:20], off
	v_mov_b32_e32 v3, v6
	s_wait_loadcnt 0x2
	v_subrev_nc_u32_e32 v2, s16, v8
	s_delay_alu instid0(VALU_DEP_1) | instskip(NEXT) | instid1(VALU_DEP_1)
	v_lshl_add_u32 v2, v2, 2, v2
	v_add_nc_u32_e32 v5, 1, v2
	v_lshlrev_b64_e32 v[23:24], 2, v[2:3]
	s_delay_alu instid0(VALU_DEP_2) | instskip(NEXT) | instid1(VALU_DEP_2)
	v_lshlrev_b64_e32 v[25:26], 2, v[5:6]
	v_add_co_u32 v23, vcc_lo, s10, v23
	s_wait_alu 0xfffd
	s_delay_alu instid0(VALU_DEP_3) | instskip(NEXT) | instid1(VALU_DEP_3)
	v_add_co_ci_u32_e64 v24, null, s11, v24, vcc_lo
	v_add_co_u32 v25, vcc_lo, s10, v25
	s_wait_alu 0xfffd
	v_add_co_ci_u32_e64 v26, null, s11, v26, vcc_lo
	s_clause 0x1
	global_load_b32 v8, v[23:24], off
	global_load_b32 v37, v[25:26], off
	s_wait_loadcnt 0x1
	v_fmac_f32_e32 v10, v15, v8
	v_fmac_f32_e32 v12, v17, v8
	s_wait_loadcnt 0x0
	s_delay_alu instid0(VALU_DEP_2) | instskip(SKIP_1) | instid1(VALU_DEP_3)
	v_fmac_f32_e32 v10, v19, v37
	v_add_nc_u32_e32 v5, -8, v1
	v_fmac_f32_e32 v12, v21, v37
	s_delay_alu instid0(VALU_DEP_2) | instskip(SKIP_1) | instid1(VALU_DEP_1)
	v_lshlrev_b64_e32 v[27:28], 2, v[5:6]
	v_add_nc_u32_e32 v5, 2, v2
	v_lshlrev_b64_e32 v[23:24], 2, v[5:6]
	s_delay_alu instid0(VALU_DEP_3) | instskip(SKIP_1) | instid1(VALU_DEP_4)
	v_add_co_u32 v25, vcc_lo, s8, v27
	s_wait_alu 0xfffd
	v_add_co_ci_u32_e64 v26, null, s9, v28, vcc_lo
	s_delay_alu instid0(VALU_DEP_3)
	v_add_co_u32 v29, vcc_lo, s10, v23
	s_wait_alu 0xfffd
	v_add_co_ci_u32_e64 v30, null, s11, v24, vcc_lo
	global_load_b128 v[23:26], v[25:26], off
	global_load_b32 v38, v[29:30], off
	v_add_nc_u32_e32 v5, -4, v1
	s_wait_loadcnt 0x0
	v_dual_fmac_f32 v12, v25, v38 :: v_dual_add_nc_u32 v1, 0x140, v1
	s_delay_alu instid0(VALU_DEP_2) | instskip(SKIP_2) | instid1(VALU_DEP_2)
	v_lshlrev_b64_e32 v[27:28], 2, v[5:6]
	v_add_nc_u32_e32 v5, 3, v2
	v_fmac_f32_e32 v10, v23, v38
	v_lshlrev_b64_e32 v[33:34], 2, v[5:6]
	v_add_nc_u32_e32 v5, 4, v2
	v_add_co_u32 v2, vcc_lo, s8, v27
	s_wait_alu 0xfffd
	v_add_co_ci_u32_e64 v3, null, s9, v28, vcc_lo
	s_delay_alu instid0(VALU_DEP_3)
	v_lshlrev_b64_e32 v[35:36], 2, v[5:6]
	v_add_co_u32 v33, vcc_lo, s10, v33
	s_wait_alu 0xfffd
	v_add_co_ci_u32_e64 v34, null, s11, v34, vcc_lo
	global_load_b128 v[27:30], v[2:3], off
	global_load_b32 v5, v[33:34], off
	v_add_co_u32 v2, vcc_lo, s10, v35
	s_wait_alu 0xfffd
	v_add_co_ci_u32_e64 v3, null, s11, v36, vcc_lo
	global_load_b128 v[31:34], v[31:32], off
	global_load_b32 v2, v[2:3], off
	v_fmac_f32_e32 v13, v16, v8
	v_fmac_f32_e32 v11, v18, v8
	v_cmp_ge_i32_e32 vcc_lo, v7, v14
	s_wait_alu 0xfffe
	s_or_b32 s4, vcc_lo, s4
	s_wait_loadcnt 0x2
	v_fmac_f32_e32 v10, v27, v5
	v_fmac_f32_e32 v13, v20, v37
	;; [unrolled: 1-line block ×3, first 2 shown]
	s_wait_loadcnt 0x0
	s_delay_alu instid0(VALU_DEP_1) | instskip(NEXT) | instid1(VALU_DEP_1)
	v_dual_fmac_f32 v11, v22, v37 :: v_dual_fmac_f32 v12, v33, v2
	v_fmac_f32_e32 v11, v26, v38
	v_fmac_f32_e32 v10, v31, v2
	;; [unrolled: 1-line block ×3, first 2 shown]
	s_delay_alu instid0(VALU_DEP_3) | instskip(NEXT) | instid1(VALU_DEP_2)
	v_fmac_f32_e32 v11, v30, v5
	v_fmac_f32_e32 v13, v28, v5
	s_delay_alu instid0(VALU_DEP_2) | instskip(NEXT) | instid1(VALU_DEP_2)
	v_fmac_f32_e32 v11, v34, v2
	v_fmac_f32_e32 v13, v32, v2
	s_wait_alu 0xfffe
	s_and_not1_b32 exec_lo, exec_lo, s4
	s_cbranch_execnz .LBB17_9
; %bb.10:
	s_or_b32 exec_lo, exec_lo, s4
.LBB17_11:
	s_wait_alu 0xfffe
	s_or_b32 exec_lo, exec_lo, s3
	s_cbranch_execz .LBB17_13
	s_branch .LBB17_18
.LBB17_12:
                                        ; implicit-def: $vgpr10
                                        ; implicit-def: $vgpr11
                                        ; implicit-def: $vgpr12
                                        ; implicit-def: $vgpr13
.LBB17_13:
	v_dual_mov_b32 v10, 0 :: v_dual_mov_b32 v11, 0
	v_dual_mov_b32 v12, 0 :: v_dual_mov_b32 v13, 0
	s_and_saveexec_b32 s3, s2
	s_cbranch_execz .LBB17_17
; %bb.14:
	v_mad_co_u64_u32 v[2:3], null, v0, 20, 19
	v_dual_mov_b32 v6, 0 :: v_dual_mov_b32 v11, 0
	v_dual_mov_b32 v10, 0 :: v_dual_mov_b32 v13, 0
	v_mov_b32_e32 v12, 0
	s_mov_b32 s2, 0
.LBB17_15:                              ; =>This Inner Loop Header: Depth=1
	v_ashrrev_i32_e32 v1, 31, v0
	v_subrev_nc_u32_e32 v5, 19, v2
	v_add_nc_u32_e32 v15, -9, v2
	v_dual_mov_b32 v16, v6 :: v_dual_add_nc_u32 v17, -4, v2
	s_delay_alu instid0(VALU_DEP_4) | instskip(NEXT) | instid1(VALU_DEP_4)
	v_lshlrev_b64_e32 v[7:8], 2, v[0:1]
	v_lshlrev_b64_e32 v[21:22], 2, v[5:6]
	v_dual_mov_b32 v18, v6 :: v_dual_mov_b32 v3, v6
	v_mov_b32_e32 v20, v6
	v_add_nc_u32_e32 v0, 16, v0
	v_add_co_u32 v7, vcc_lo, s6, v7
	s_wait_alu 0xfffd
	v_add_co_ci_u32_e64 v8, null, s7, v8, vcc_lo
	v_lshlrev_b64_e32 v[17:18], 2, v[17:18]
	v_add_co_u32 v21, vcc_lo, s8, v21
	global_load_b32 v1, v[7:8], off
	v_dual_mov_b32 v8, v6 :: v_dual_add_nc_u32 v7, -14, v2
	v_lshlrev_b64_e32 v[15:16], 2, v[15:16]
	s_wait_alu 0xfffd
	v_add_co_ci_u32_e64 v22, null, s9, v22, vcc_lo
	v_lshlrev_b64_e32 v[23:24], 2, v[2:3]
	v_lshlrev_b64_e32 v[7:8], 2, v[7:8]
	s_delay_alu instid0(VALU_DEP_1) | instskip(SKIP_1) | instid1(VALU_DEP_2)
	v_add_co_u32 v7, vcc_lo, s8, v7
	s_wait_alu 0xfffd
	v_add_co_ci_u32_e64 v8, null, s9, v8, vcc_lo
	v_add_co_u32 v25, vcc_lo, s8, v15
	s_wait_alu 0xfffd
	v_add_co_ci_u32_e64 v26, null, s9, v16, vcc_lo
	;; [unrolled: 3-line block ×3, first 2 shown]
	s_clause 0x3
	global_load_b128 v[15:18], v[21:22], off
	global_load_b32 v3, v[7:8], off
	global_load_b32 v29, v[25:26], off
	;; [unrolled: 1-line block ×3, first 2 shown]
	v_add_co_u32 v23, vcc_lo, s8, v23
	s_wait_alu 0xfffd
	v_add_co_ci_u32_e64 v24, null, s9, v24, vcc_lo
	s_wait_loadcnt 0x4
	v_subrev_nc_u32_e32 v1, s16, v1
	s_delay_alu instid0(VALU_DEP_1) | instskip(NEXT) | instid1(VALU_DEP_1)
	v_lshl_add_u32 v19, v1, 2, v1
	v_lshlrev_b64_e32 v[7:8], 2, v[19:20]
	s_delay_alu instid0(VALU_DEP_1) | instskip(SKIP_1) | instid1(VALU_DEP_2)
	v_add_co_u32 v7, vcc_lo, s10, v7
	s_wait_alu 0xfffd
	v_add_co_ci_u32_e64 v8, null, s11, v8, vcc_lo
	global_load_b32 v1, v[7:8], off
	s_wait_loadcnt 0x0
	v_dual_fmac_f32 v10, v15, v1 :: v_dual_add_nc_u32 v5, 1, v19
	s_delay_alu instid0(VALU_DEP_1) | instskip(SKIP_3) | instid1(VALU_DEP_4)
	v_lshlrev_b64_e32 v[20:21], 2, v[5:6]
	v_dual_fmac_f32 v12, v29, v1 :: v_dual_add_nc_u32 v5, -13, v2
	v_fmac_f32_e32 v13, v3, v1
	v_fmac_f32_e32 v11, v27, v1
	v_add_co_u32 v7, vcc_lo, s10, v20
	s_wait_alu 0xfffd
	v_add_co_ci_u32_e64 v8, null, s11, v21, vcc_lo
	v_lshlrev_b64_e32 v[25:26], 2, v[5:6]
	global_load_b32 v28, v[7:8], off
	v_add_nc_u32_e32 v5, -8, v2
	v_add_co_u32 v25, vcc_lo, s8, v25
	s_wait_alu 0xfffd
	v_add_co_ci_u32_e64 v26, null, s9, v26, vcc_lo
	global_load_b32 v30, v[25:26], off
	s_wait_loadcnt 0x1
	v_fmac_f32_e32 v10, v16, v28
	v_lshlrev_b64_e32 v[20:21], 2, v[5:6]
	s_delay_alu instid0(VALU_DEP_1) | instskip(SKIP_1) | instid1(VALU_DEP_2)
	v_add_co_u32 v20, vcc_lo, s8, v20
	s_wait_alu 0xfffd
	v_add_co_ci_u32_e64 v21, null, s9, v21, vcc_lo
	global_load_b32 v31, v[20:21], off
	v_add_nc_u32_e32 v5, -3, v2
	s_delay_alu instid0(VALU_DEP_1) | instskip(SKIP_1) | instid1(VALU_DEP_1)
	v_lshlrev_b64_e32 v[7:8], 2, v[5:6]
	v_add_nc_u32_e32 v5, 2, v19
	v_lshlrev_b64_e32 v[25:26], 2, v[5:6]
	s_delay_alu instid0(VALU_DEP_3) | instskip(SKIP_1) | instid1(VALU_DEP_4)
	v_add_co_u32 v7, vcc_lo, s8, v7
	s_wait_alu 0xfffd
	v_add_co_ci_u32_e64 v8, null, s9, v8, vcc_lo
	global_load_b32 v32, v[7:8], off
	v_add_co_u32 v7, vcc_lo, s10, v25
	s_wait_alu 0xfffd
	v_add_co_ci_u32_e64 v8, null, s11, v26, vcc_lo
	global_load_b32 v33, v[7:8], off
	s_wait_loadcnt 0x2
	v_dual_fmac_f32 v12, v31, v28 :: v_dual_add_nc_u32 v5, -12, v2
	s_delay_alu instid0(VALU_DEP_1) | instskip(NEXT) | instid1(VALU_DEP_1)
	v_lshlrev_b64_e32 v[20:21], 2, v[5:6]
	v_add_co_u32 v20, vcc_lo, s8, v20
	s_wait_alu 0xfffd
	s_delay_alu instid0(VALU_DEP_2) | instskip(SKIP_3) | instid1(VALU_DEP_1)
	v_add_co_ci_u32_e64 v21, null, s9, v21, vcc_lo
	global_load_b32 v34, v[20:21], off
	s_wait_loadcnt 0x1
	v_dual_fmac_f32 v10, v17, v33 :: v_dual_add_nc_u32 v5, -7, v2
	v_lshlrev_b64_e32 v[25:26], 2, v[5:6]
	v_add_nc_u32_e32 v5, -2, v2
	s_delay_alu instid0(VALU_DEP_1) | instskip(SKIP_1) | instid1(VALU_DEP_4)
	v_lshlrev_b64_e32 v[7:8], 2, v[5:6]
	v_add_nc_u32_e32 v5, 3, v19
	v_add_co_u32 v20, vcc_lo, s8, v25
	s_wait_alu 0xfffd
	v_add_co_ci_u32_e64 v21, null, s9, v26, vcc_lo
	s_delay_alu instid0(VALU_DEP_4)
	v_add_co_u32 v7, vcc_lo, s8, v7
	v_lshlrev_b64_e32 v[25:26], 2, v[5:6]
	v_add_nc_u32_e32 v5, -11, v2
	s_wait_alu 0xfffd
	v_add_co_ci_u32_e64 v8, null, s9, v8, vcc_lo
	s_clause 0x1
	global_load_b32 v35, v[20:21], off
	global_load_b32 v36, v[7:8], off
	v_lshlrev_b64_e32 v[20:21], 2, v[5:6]
	v_add_nc_u32_e32 v5, -6, v2
	v_add_co_u32 v7, vcc_lo, s10, v25
	s_wait_alu 0xfffd
	v_add_co_ci_u32_e64 v8, null, s11, v26, vcc_lo
	s_delay_alu instid0(VALU_DEP_3)
	v_lshlrev_b64_e32 v[25:26], 2, v[5:6]
	v_add_nc_u32_e32 v5, -1, v2
	v_add_co_u32 v20, vcc_lo, s8, v20
	s_wait_alu 0xfffd
	v_add_co_ci_u32_e64 v21, null, s9, v21, vcc_lo
	global_load_b32 v37, v[7:8], off
	v_lshlrev_b64_e32 v[7:8], 2, v[5:6]
	v_add_nc_u32_e32 v5, -15, v2
	global_load_b32 v38, v[20:21], off
	v_add_co_u32 v20, vcc_lo, s8, v25
	s_wait_alu 0xfffd
	v_add_co_ci_u32_e64 v21, null, s9, v26, vcc_lo
	v_add_co_u32 v7, vcc_lo, s8, v7
	v_lshlrev_b64_e32 v[25:26], 2, v[5:6]
	v_add_nc_u32_e32 v5, 4, v19
	s_wait_alu 0xfffd
	v_add_co_ci_u32_e64 v8, null, s9, v8, vcc_lo
	s_clause 0x1
	global_load_b32 v39, v[20:21], off
	global_load_b32 v40, v[7:8], off
	v_lshlrev_b64_e32 v[19:20], 2, v[5:6]
	v_add_nc_u32_e32 v5, -10, v2
	v_add_co_u32 v7, vcc_lo, s8, v25
	s_wait_alu 0xfffd
	v_add_co_ci_u32_e64 v8, null, s9, v26, vcc_lo
	s_delay_alu instid0(VALU_DEP_3) | instskip(SKIP_4) | instid1(VALU_DEP_3)
	v_lshlrev_b64_e32 v[21:22], 2, v[5:6]
	v_add_nc_u32_e32 v5, -5, v2
	v_add_co_u32 v19, vcc_lo, s10, v19
	s_wait_alu 0xfffd
	v_add_co_ci_u32_e64 v20, null, s11, v20, vcc_lo
	v_lshlrev_b64_e32 v[25:26], 2, v[5:6]
	v_add_co_u32 v21, vcc_lo, s8, v21
	s_wait_alu 0xfffd
	v_add_co_ci_u32_e64 v22, null, s9, v22, vcc_lo
	v_add_nc_u32_e32 v2, 0x140, v2
	s_delay_alu instid0(VALU_DEP_4)
	v_add_co_u32 v25, vcc_lo, s8, v25
	s_wait_alu 0xfffd
	v_add_co_ci_u32_e64 v26, null, s9, v26, vcc_lo
	global_load_b32 v5, v[7:8], off
	global_load_b32 v7, v[19:20], off
	s_clause 0x2
	global_load_b32 v8, v[21:22], off
	global_load_b32 v19, v[25:26], off
	;; [unrolled: 1-line block ×3, first 2 shown]
	v_fmac_f32_e32 v11, v32, v28
	v_cmp_ge_i32_e32 vcc_lo, v0, v14
	s_wait_alu 0xfffe
	s_or_b32 s2, vcc_lo, s2
	s_wait_loadcnt 0xa
	v_fmac_f32_e32 v12, v35, v33
	s_wait_loadcnt 0x9
	v_fmac_f32_e32 v11, v36, v33
	;; [unrolled: 2-line block ×3, first 2 shown]
	s_wait_loadcnt 0x6
	v_dual_fmac_f32 v13, v30, v28 :: v_dual_fmac_f32 v12, v39, v37
	s_wait_loadcnt 0x3
	s_delay_alu instid0(VALU_DEP_2) | instskip(SKIP_1) | instid1(VALU_DEP_2)
	v_dual_fmac_f32 v11, v40, v37 :: v_dual_fmac_f32 v10, v5, v7
	s_wait_loadcnt 0x1
	v_dual_fmac_f32 v13, v34, v33 :: v_dual_fmac_f32 v12, v19, v7
	s_wait_loadcnt 0x0
	s_delay_alu instid0(VALU_DEP_2) | instskip(NEXT) | instid1(VALU_DEP_2)
	v_fmac_f32_e32 v11, v20, v7
	v_fmac_f32_e32 v13, v38, v37
	s_delay_alu instid0(VALU_DEP_1)
	v_fmac_f32_e32 v13, v8, v7
	s_wait_alu 0xfffe
	s_and_not1_b32 exec_lo, exec_lo, s2
	s_cbranch_execnz .LBB17_15
; %bb.16:
	s_or_b32 exec_lo, exec_lo, s2
.LBB17_17:
	s_wait_alu 0xfffe
	s_or_b32 exec_lo, exec_lo, s3
.LBB17_18:
	v_mbcnt_lo_u32_b32 v0, -1, 0
	s_mov_b32 s2, -1
	s_delay_alu instid0(VALU_DEP_1) | instskip(SKIP_1) | instid1(VALU_DEP_2)
	v_xor_b32_e32 v1, 8, v0
	v_xor_b32_e32 v6, 4, v0
	v_cmp_gt_i32_e32 vcc_lo, 32, v1
	s_wait_alu 0xfffd
	v_cndmask_b32_e32 v1, v0, v1, vcc_lo
	s_delay_alu instid0(VALU_DEP_3) | instskip(SKIP_2) | instid1(VALU_DEP_1)
	v_cmp_gt_i32_e32 vcc_lo, 32, v6
	s_wait_alu 0xfffd
	v_cndmask_b32_e32 v6, v0, v6, vcc_lo
	v_lshlrev_b32_e32 v6, 2, v6
	v_lshlrev_b32_e32 v1, 2, v1
	ds_bpermute_b32 v2, v1, v10
	s_wait_dscnt 0x0
	v_add_f32_e32 v2, v10, v2
	ds_bpermute_b32 v3, v1, v13
	ds_bpermute_b32 v5, v1, v12
	;; [unrolled: 1-line block ×4, first 2 shown]
	s_wait_dscnt 0x3
	v_add_f32_e32 v3, v13, v3
	s_wait_dscnt 0x2
	v_add_f32_e32 v5, v12, v5
	;; [unrolled: 2-line block ×3, first 2 shown]
	v_xor_b32_e32 v11, 2, v0
	s_wait_dscnt 0x0
	v_add_f32_e32 v2, v2, v7
	ds_bpermute_b32 v8, v6, v3
	ds_bpermute_b32 v10, v6, v5
	;; [unrolled: 1-line block ×3, first 2 shown]
	v_cmp_gt_i32_e32 vcc_lo, 32, v11
	s_wait_alu 0xfffd
	v_cndmask_b32_e32 v11, v0, v11, vcc_lo
	s_wait_dscnt 0x2
	v_add_f32_e32 v3, v3, v8
	s_wait_dscnt 0x1
	v_add_f32_e32 v5, v5, v10
	s_wait_dscnt 0x0
	v_dual_add_f32 v6, v1, v6 :: v_dual_lshlrev_b32 v11, 2, v11
	ds_bpermute_b32 v1, v11, v2
	ds_bpermute_b32 v7, v11, v3
	;; [unrolled: 1-line block ×4, first 2 shown]
	v_xor_b32_e32 v11, 1, v0
	s_delay_alu instid0(VALU_DEP_1) | instskip(SKIP_4) | instid1(VALU_DEP_2)
	v_cmp_gt_i32_e32 vcc_lo, 32, v11
	s_wait_alu 0xfffd
	v_cndmask_b32_e32 v0, v0, v11, vcc_lo
	v_cmp_eq_u32_e32 vcc_lo, 15, v9
	s_wait_dscnt 0x3
	v_dual_add_f32 v0, v2, v1 :: v_dual_lshlrev_b32 v11, 2, v0
	s_wait_dscnt 0x1
	v_dual_add_f32 v1, v3, v7 :: v_dual_add_f32 v2, v5, v8
	s_wait_dscnt 0x0
	v_add_f32_e32 v3, v6, v10
	ds_bpermute_b32 v5, v11, v0
	ds_bpermute_b32 v6, v11, v1
	;; [unrolled: 1-line block ×4, first 2 shown]
	s_and_b32 exec_lo, exec_lo, vcc_lo
	s_cbranch_execz .LBB17_23
; %bb.19:
	s_load_b64 s[0:1], s[0:1], 0x38
	s_wait_dscnt 0x2
	v_dual_add_f32 v0, v0, v5 :: v_dual_add_f32 v1, v1, v6
	s_wait_dscnt 0x0
	v_dual_add_f32 v2, v2, v7 :: v_dual_add_f32 v3, v3, v8
	v_lshlrev_b32_e32 v4, 2, v4
	s_delay_alu instid0(VALU_DEP_3) | instskip(NEXT) | instid1(VALU_DEP_3)
	v_dual_mul_f32 v0, s14, v0 :: v_dual_mul_f32 v1, s14, v1
	v_dual_mul_f32 v2, s14, v2 :: v_dual_mul_f32 v3, s14, v3
	s_cmp_eq_f32 s12, 0
	s_cbranch_scc0 .LBB17_21
; %bb.20:
	v_ashrrev_i32_e32 v5, 31, v4
	s_mov_b32 s2, 0
	s_delay_alu instid0(VALU_DEP_1) | instskip(SKIP_1) | instid1(VALU_DEP_1)
	v_lshlrev_b64_e32 v[5:6], 2, v[4:5]
	s_wait_kmcnt 0x0
	v_add_co_u32 v5, vcc_lo, s0, v5
	s_wait_alu 0xfffd
	s_delay_alu instid0(VALU_DEP_2)
	v_add_co_ci_u32_e64 v6, null, s1, v6, vcc_lo
	global_store_b128 v[5:6], v[0:3], off
.LBB17_21:
	s_wait_alu 0xfffe
	s_and_not1_b32 vcc_lo, exec_lo, s2
	s_wait_alu 0xfffe
	s_cbranch_vccnz .LBB17_23
; %bb.22:
	v_ashrrev_i32_e32 v5, 31, v4
	s_delay_alu instid0(VALU_DEP_1) | instskip(SKIP_1) | instid1(VALU_DEP_1)
	v_lshlrev_b64_e32 v[4:5], 2, v[4:5]
	s_wait_kmcnt 0x0
	v_add_co_u32 v8, vcc_lo, s0, v4
	s_wait_alu 0xfffd
	s_delay_alu instid0(VALU_DEP_2)
	v_add_co_ci_u32_e64 v9, null, s1, v5, vcc_lo
	global_load_b128 v[4:7], v[8:9], off
	s_wait_loadcnt 0x0
	v_dual_fmac_f32 v0, s12, v4 :: v_dual_fmac_f32 v1, s12, v5
	v_dual_fmac_f32 v2, s12, v6 :: v_dual_fmac_f32 v3, s12, v7
	global_store_b128 v[8:9], v[0:3], off
.LBB17_23:
	s_endpgm
	.section	.rodata,"a",@progbits
	.p2align	6, 0x0
	.amdhsa_kernel _ZN9rocsparseL19gebsrmvn_4xn_kernelILj128ELj5ELj16EfEEvi20rocsparse_direction_NS_24const_host_device_scalarIT2_EEPKiS6_PKS3_S8_S4_PS3_21rocsparse_index_base_b
		.amdhsa_group_segment_fixed_size 0
		.amdhsa_private_segment_fixed_size 0
		.amdhsa_kernarg_size 72
		.amdhsa_user_sgpr_count 2
		.amdhsa_user_sgpr_dispatch_ptr 0
		.amdhsa_user_sgpr_queue_ptr 0
		.amdhsa_user_sgpr_kernarg_segment_ptr 1
		.amdhsa_user_sgpr_dispatch_id 0
		.amdhsa_user_sgpr_private_segment_size 0
		.amdhsa_wavefront_size32 1
		.amdhsa_uses_dynamic_stack 0
		.amdhsa_enable_private_segment 0
		.amdhsa_system_sgpr_workgroup_id_x 1
		.amdhsa_system_sgpr_workgroup_id_y 0
		.amdhsa_system_sgpr_workgroup_id_z 0
		.amdhsa_system_sgpr_workgroup_info 0
		.amdhsa_system_vgpr_workitem_id 0
		.amdhsa_next_free_vgpr 41
		.amdhsa_next_free_sgpr 18
		.amdhsa_reserve_vcc 1
		.amdhsa_float_round_mode_32 0
		.amdhsa_float_round_mode_16_64 0
		.amdhsa_float_denorm_mode_32 3
		.amdhsa_float_denorm_mode_16_64 3
		.amdhsa_fp16_overflow 0
		.amdhsa_workgroup_processor_mode 1
		.amdhsa_memory_ordered 1
		.amdhsa_forward_progress 1
		.amdhsa_inst_pref_size 23
		.amdhsa_round_robin_scheduling 0
		.amdhsa_exception_fp_ieee_invalid_op 0
		.amdhsa_exception_fp_denorm_src 0
		.amdhsa_exception_fp_ieee_div_zero 0
		.amdhsa_exception_fp_ieee_overflow 0
		.amdhsa_exception_fp_ieee_underflow 0
		.amdhsa_exception_fp_ieee_inexact 0
		.amdhsa_exception_int_div_zero 0
	.end_amdhsa_kernel
	.section	.text._ZN9rocsparseL19gebsrmvn_4xn_kernelILj128ELj5ELj16EfEEvi20rocsparse_direction_NS_24const_host_device_scalarIT2_EEPKiS6_PKS3_S8_S4_PS3_21rocsparse_index_base_b,"axG",@progbits,_ZN9rocsparseL19gebsrmvn_4xn_kernelILj128ELj5ELj16EfEEvi20rocsparse_direction_NS_24const_host_device_scalarIT2_EEPKiS6_PKS3_S8_S4_PS3_21rocsparse_index_base_b,comdat
.Lfunc_end17:
	.size	_ZN9rocsparseL19gebsrmvn_4xn_kernelILj128ELj5ELj16EfEEvi20rocsparse_direction_NS_24const_host_device_scalarIT2_EEPKiS6_PKS3_S8_S4_PS3_21rocsparse_index_base_b, .Lfunc_end17-_ZN9rocsparseL19gebsrmvn_4xn_kernelILj128ELj5ELj16EfEEvi20rocsparse_direction_NS_24const_host_device_scalarIT2_EEPKiS6_PKS3_S8_S4_PS3_21rocsparse_index_base_b
                                        ; -- End function
	.set _ZN9rocsparseL19gebsrmvn_4xn_kernelILj128ELj5ELj16EfEEvi20rocsparse_direction_NS_24const_host_device_scalarIT2_EEPKiS6_PKS3_S8_S4_PS3_21rocsparse_index_base_b.num_vgpr, 41
	.set _ZN9rocsparseL19gebsrmvn_4xn_kernelILj128ELj5ELj16EfEEvi20rocsparse_direction_NS_24const_host_device_scalarIT2_EEPKiS6_PKS3_S8_S4_PS3_21rocsparse_index_base_b.num_agpr, 0
	.set _ZN9rocsparseL19gebsrmvn_4xn_kernelILj128ELj5ELj16EfEEvi20rocsparse_direction_NS_24const_host_device_scalarIT2_EEPKiS6_PKS3_S8_S4_PS3_21rocsparse_index_base_b.numbered_sgpr, 18
	.set _ZN9rocsparseL19gebsrmvn_4xn_kernelILj128ELj5ELj16EfEEvi20rocsparse_direction_NS_24const_host_device_scalarIT2_EEPKiS6_PKS3_S8_S4_PS3_21rocsparse_index_base_b.num_named_barrier, 0
	.set _ZN9rocsparseL19gebsrmvn_4xn_kernelILj128ELj5ELj16EfEEvi20rocsparse_direction_NS_24const_host_device_scalarIT2_EEPKiS6_PKS3_S8_S4_PS3_21rocsparse_index_base_b.private_seg_size, 0
	.set _ZN9rocsparseL19gebsrmvn_4xn_kernelILj128ELj5ELj16EfEEvi20rocsparse_direction_NS_24const_host_device_scalarIT2_EEPKiS6_PKS3_S8_S4_PS3_21rocsparse_index_base_b.uses_vcc, 1
	.set _ZN9rocsparseL19gebsrmvn_4xn_kernelILj128ELj5ELj16EfEEvi20rocsparse_direction_NS_24const_host_device_scalarIT2_EEPKiS6_PKS3_S8_S4_PS3_21rocsparse_index_base_b.uses_flat_scratch, 0
	.set _ZN9rocsparseL19gebsrmvn_4xn_kernelILj128ELj5ELj16EfEEvi20rocsparse_direction_NS_24const_host_device_scalarIT2_EEPKiS6_PKS3_S8_S4_PS3_21rocsparse_index_base_b.has_dyn_sized_stack, 0
	.set _ZN9rocsparseL19gebsrmvn_4xn_kernelILj128ELj5ELj16EfEEvi20rocsparse_direction_NS_24const_host_device_scalarIT2_EEPKiS6_PKS3_S8_S4_PS3_21rocsparse_index_base_b.has_recursion, 0
	.set _ZN9rocsparseL19gebsrmvn_4xn_kernelILj128ELj5ELj16EfEEvi20rocsparse_direction_NS_24const_host_device_scalarIT2_EEPKiS6_PKS3_S8_S4_PS3_21rocsparse_index_base_b.has_indirect_call, 0
	.section	.AMDGPU.csdata,"",@progbits
; Kernel info:
; codeLenInByte = 2820
; TotalNumSgprs: 20
; NumVgprs: 41
; ScratchSize: 0
; MemoryBound: 0
; FloatMode: 240
; IeeeMode: 1
; LDSByteSize: 0 bytes/workgroup (compile time only)
; SGPRBlocks: 0
; VGPRBlocks: 5
; NumSGPRsForWavesPerEU: 20
; NumVGPRsForWavesPerEU: 41
; Occupancy: 16
; WaveLimiterHint : 1
; COMPUTE_PGM_RSRC2:SCRATCH_EN: 0
; COMPUTE_PGM_RSRC2:USER_SGPR: 2
; COMPUTE_PGM_RSRC2:TRAP_HANDLER: 0
; COMPUTE_PGM_RSRC2:TGID_X_EN: 1
; COMPUTE_PGM_RSRC2:TGID_Y_EN: 0
; COMPUTE_PGM_RSRC2:TGID_Z_EN: 0
; COMPUTE_PGM_RSRC2:TIDIG_COMP_CNT: 0
	.section	.text._ZN9rocsparseL19gebsrmvn_4xn_kernelILj128ELj5ELj32EfEEvi20rocsparse_direction_NS_24const_host_device_scalarIT2_EEPKiS6_PKS3_S8_S4_PS3_21rocsparse_index_base_b,"axG",@progbits,_ZN9rocsparseL19gebsrmvn_4xn_kernelILj128ELj5ELj32EfEEvi20rocsparse_direction_NS_24const_host_device_scalarIT2_EEPKiS6_PKS3_S8_S4_PS3_21rocsparse_index_base_b,comdat
	.globl	_ZN9rocsparseL19gebsrmvn_4xn_kernelILj128ELj5ELj32EfEEvi20rocsparse_direction_NS_24const_host_device_scalarIT2_EEPKiS6_PKS3_S8_S4_PS3_21rocsparse_index_base_b ; -- Begin function _ZN9rocsparseL19gebsrmvn_4xn_kernelILj128ELj5ELj32EfEEvi20rocsparse_direction_NS_24const_host_device_scalarIT2_EEPKiS6_PKS3_S8_S4_PS3_21rocsparse_index_base_b
	.p2align	8
	.type	_ZN9rocsparseL19gebsrmvn_4xn_kernelILj128ELj5ELj32EfEEvi20rocsparse_direction_NS_24const_host_device_scalarIT2_EEPKiS6_PKS3_S8_S4_PS3_21rocsparse_index_base_b,@function
_ZN9rocsparseL19gebsrmvn_4xn_kernelILj128ELj5ELj32EfEEvi20rocsparse_direction_NS_24const_host_device_scalarIT2_EEPKiS6_PKS3_S8_S4_PS3_21rocsparse_index_base_b: ; @_ZN9rocsparseL19gebsrmvn_4xn_kernelILj128ELj5ELj32EfEEvi20rocsparse_direction_NS_24const_host_device_scalarIT2_EEPKiS6_PKS3_S8_S4_PS3_21rocsparse_index_base_b
; %bb.0:
	s_clause 0x2
	s_load_b64 s[16:17], s[0:1], 0x40
	s_load_b64 s[14:15], s[0:1], 0x8
	;; [unrolled: 1-line block ×3, first 2 shown]
	s_wait_kmcnt 0x0
	s_bitcmp1_b32 s17, 0
	s_cselect_b32 s2, -1, 0
	s_delay_alu instid0(SALU_CYCLE_1)
	s_and_b32 vcc_lo, exec_lo, s2
	s_xor_b32 s2, s2, -1
	s_cbranch_vccnz .LBB18_2
; %bb.1:
	s_load_b32 s14, s[14:15], 0x0
.LBB18_2:
	s_and_not1_b32 vcc_lo, exec_lo, s2
	s_cbranch_vccnz .LBB18_4
; %bb.3:
	s_load_b32 s12, s[12:13], 0x0
.LBB18_4:
	s_wait_kmcnt 0x0
	s_cmp_eq_f32 s14, 0
	s_cselect_b32 s2, -1, 0
	s_cmp_eq_f32 s12, 1.0
	s_cselect_b32 s3, -1, 0
	s_delay_alu instid0(SALU_CYCLE_1) | instskip(NEXT) | instid1(SALU_CYCLE_1)
	s_and_b32 s2, s2, s3
	s_and_b32 vcc_lo, exec_lo, s2
	s_cbranch_vccnz .LBB18_23
; %bb.5:
	s_load_b64 s[2:3], s[0:1], 0x0
	v_lshrrev_b32_e32 v1, 5, v0
	s_delay_alu instid0(VALU_DEP_1) | instskip(SKIP_1) | instid1(VALU_DEP_1)
	v_lshl_or_b32 v4, ttmp9, 2, v1
	s_wait_kmcnt 0x0
	v_cmp_gt_i32_e32 vcc_lo, s2, v4
	s_and_saveexec_b32 s2, vcc_lo
	s_cbranch_execz .LBB18_23
; %bb.6:
	s_load_b256 s[4:11], s[0:1], 0x10
	v_ashrrev_i32_e32 v5, 31, v4
	v_and_b32_e32 v9, 31, v0
	s_cmp_lg_u32 s3, 0
	s_delay_alu instid0(VALU_DEP_2) | instskip(SKIP_1) | instid1(VALU_DEP_1)
	v_lshlrev_b64_e32 v[1:2], 2, v[4:5]
	s_wait_kmcnt 0x0
	v_add_co_u32 v1, vcc_lo, s4, v1
	s_delay_alu instid0(VALU_DEP_1) | instskip(SKIP_4) | instid1(VALU_DEP_2)
	v_add_co_ci_u32_e64 v2, null, s5, v2, vcc_lo
	global_load_b64 v[1:2], v[1:2], off
	s_wait_loadcnt 0x0
	v_subrev_nc_u32_e32 v0, s16, v1
	v_subrev_nc_u32_e32 v14, s16, v2
	v_add_nc_u32_e32 v0, v0, v9
	s_delay_alu instid0(VALU_DEP_1)
	v_cmp_lt_i32_e64 s2, v0, v14
	s_cbranch_scc0 .LBB18_12
; %bb.7:
	v_dual_mov_b32 v10, 0 :: v_dual_mov_b32 v11, 0
	v_dual_mov_b32 v12, 0 :: v_dual_mov_b32 v13, 0
	s_and_saveexec_b32 s3, s2
	s_cbranch_execz .LBB18_11
; %bb.8:
	v_mad_co_u64_u32 v[1:2], null, v0, 20, 16
	v_dual_mov_b32 v6, 0 :: v_dual_mov_b32 v7, v0
	v_dual_mov_b32 v10, 0 :: v_dual_mov_b32 v11, 0
	;; [unrolled: 1-line block ×3, first 2 shown]
	s_mov_b32 s4, 0
.LBB18_9:                               ; =>This Inner Loop Header: Depth=1
	s_delay_alu instid0(VALU_DEP_3) | instskip(SKIP_1) | instid1(VALU_DEP_2)
	v_ashrrev_i32_e32 v8, 31, v7
	v_add_nc_u32_e32 v5, -16, v1
	v_lshlrev_b64_e32 v[2:3], 2, v[7:8]
	v_add_nc_u32_e32 v7, 32, v7
	s_delay_alu instid0(VALU_DEP_2) | instskip(SKIP_1) | instid1(VALU_DEP_3)
	v_add_co_u32 v2, vcc_lo, s6, v2
	s_wait_alu 0xfffd
	v_add_co_ci_u32_e64 v3, null, s7, v3, vcc_lo
	global_load_b32 v8, v[2:3], off
	v_mov_b32_e32 v2, v6
	v_lshlrev_b64_e32 v[15:16], 2, v[5:6]
	v_add_nc_u32_e32 v5, -12, v1
	s_delay_alu instid0(VALU_DEP_3) | instskip(NEXT) | instid1(VALU_DEP_2)
	v_lshlrev_b64_e32 v[17:18], 2, v[1:2]
	v_lshlrev_b64_e32 v[19:20], 2, v[5:6]
	s_delay_alu instid0(VALU_DEP_4) | instskip(SKIP_2) | instid1(VALU_DEP_4)
	v_add_co_u32 v15, vcc_lo, s8, v15
	s_wait_alu 0xfffd
	v_add_co_ci_u32_e64 v16, null, s9, v16, vcc_lo
	v_add_co_u32 v31, vcc_lo, s8, v17
	s_wait_alu 0xfffd
	v_add_co_ci_u32_e64 v32, null, s9, v18, vcc_lo
	v_add_co_u32 v19, vcc_lo, s8, v19
	s_wait_alu 0xfffd
	v_add_co_ci_u32_e64 v20, null, s9, v20, vcc_lo
	s_clause 0x1
	global_load_b128 v[15:18], v[15:16], off
	global_load_b128 v[19:22], v[19:20], off
	v_mov_b32_e32 v3, v6
	s_wait_loadcnt 0x2
	v_subrev_nc_u32_e32 v2, s16, v8
	s_delay_alu instid0(VALU_DEP_1) | instskip(NEXT) | instid1(VALU_DEP_1)
	v_lshl_add_u32 v2, v2, 2, v2
	v_add_nc_u32_e32 v5, 1, v2
	v_lshlrev_b64_e32 v[23:24], 2, v[2:3]
	s_delay_alu instid0(VALU_DEP_2) | instskip(NEXT) | instid1(VALU_DEP_2)
	v_lshlrev_b64_e32 v[25:26], 2, v[5:6]
	v_add_co_u32 v23, vcc_lo, s10, v23
	s_wait_alu 0xfffd
	s_delay_alu instid0(VALU_DEP_3) | instskip(NEXT) | instid1(VALU_DEP_3)
	v_add_co_ci_u32_e64 v24, null, s11, v24, vcc_lo
	v_add_co_u32 v25, vcc_lo, s10, v25
	s_wait_alu 0xfffd
	v_add_co_ci_u32_e64 v26, null, s11, v26, vcc_lo
	s_clause 0x1
	global_load_b32 v8, v[23:24], off
	global_load_b32 v37, v[25:26], off
	s_wait_loadcnt 0x1
	v_fmac_f32_e32 v10, v15, v8
	v_fmac_f32_e32 v12, v17, v8
	s_wait_loadcnt 0x0
	s_delay_alu instid0(VALU_DEP_2) | instskip(SKIP_1) | instid1(VALU_DEP_3)
	v_fmac_f32_e32 v10, v19, v37
	v_add_nc_u32_e32 v5, -8, v1
	v_fmac_f32_e32 v12, v21, v37
	s_delay_alu instid0(VALU_DEP_2) | instskip(SKIP_1) | instid1(VALU_DEP_1)
	v_lshlrev_b64_e32 v[27:28], 2, v[5:6]
	v_add_nc_u32_e32 v5, 2, v2
	v_lshlrev_b64_e32 v[23:24], 2, v[5:6]
	s_delay_alu instid0(VALU_DEP_3) | instskip(SKIP_1) | instid1(VALU_DEP_4)
	v_add_co_u32 v25, vcc_lo, s8, v27
	s_wait_alu 0xfffd
	v_add_co_ci_u32_e64 v26, null, s9, v28, vcc_lo
	s_delay_alu instid0(VALU_DEP_3)
	v_add_co_u32 v29, vcc_lo, s10, v23
	s_wait_alu 0xfffd
	v_add_co_ci_u32_e64 v30, null, s11, v24, vcc_lo
	global_load_b128 v[23:26], v[25:26], off
	global_load_b32 v38, v[29:30], off
	v_add_nc_u32_e32 v5, -4, v1
	s_wait_loadcnt 0x0
	v_dual_fmac_f32 v12, v25, v38 :: v_dual_add_nc_u32 v1, 0x280, v1
	s_delay_alu instid0(VALU_DEP_2) | instskip(SKIP_2) | instid1(VALU_DEP_2)
	v_lshlrev_b64_e32 v[27:28], 2, v[5:6]
	v_add_nc_u32_e32 v5, 3, v2
	v_fmac_f32_e32 v10, v23, v38
	v_lshlrev_b64_e32 v[33:34], 2, v[5:6]
	v_add_nc_u32_e32 v5, 4, v2
	v_add_co_u32 v2, vcc_lo, s8, v27
	s_wait_alu 0xfffd
	v_add_co_ci_u32_e64 v3, null, s9, v28, vcc_lo
	s_delay_alu instid0(VALU_DEP_3)
	v_lshlrev_b64_e32 v[35:36], 2, v[5:6]
	v_add_co_u32 v33, vcc_lo, s10, v33
	s_wait_alu 0xfffd
	v_add_co_ci_u32_e64 v34, null, s11, v34, vcc_lo
	global_load_b128 v[27:30], v[2:3], off
	global_load_b32 v5, v[33:34], off
	v_add_co_u32 v2, vcc_lo, s10, v35
	s_wait_alu 0xfffd
	v_add_co_ci_u32_e64 v3, null, s11, v36, vcc_lo
	global_load_b128 v[31:34], v[31:32], off
	global_load_b32 v2, v[2:3], off
	v_fmac_f32_e32 v13, v16, v8
	v_fmac_f32_e32 v11, v18, v8
	v_cmp_ge_i32_e32 vcc_lo, v7, v14
	s_wait_alu 0xfffe
	s_or_b32 s4, vcc_lo, s4
	s_wait_loadcnt 0x2
	v_fmac_f32_e32 v10, v27, v5
	v_fmac_f32_e32 v13, v20, v37
	;; [unrolled: 1-line block ×3, first 2 shown]
	s_wait_loadcnt 0x0
	s_delay_alu instid0(VALU_DEP_1) | instskip(NEXT) | instid1(VALU_DEP_1)
	v_dual_fmac_f32 v11, v22, v37 :: v_dual_fmac_f32 v12, v33, v2
	v_fmac_f32_e32 v11, v26, v38
	v_fmac_f32_e32 v10, v31, v2
	;; [unrolled: 1-line block ×3, first 2 shown]
	s_delay_alu instid0(VALU_DEP_3) | instskip(NEXT) | instid1(VALU_DEP_2)
	v_fmac_f32_e32 v11, v30, v5
	v_fmac_f32_e32 v13, v28, v5
	s_delay_alu instid0(VALU_DEP_2) | instskip(NEXT) | instid1(VALU_DEP_2)
	v_fmac_f32_e32 v11, v34, v2
	v_fmac_f32_e32 v13, v32, v2
	s_wait_alu 0xfffe
	s_and_not1_b32 exec_lo, exec_lo, s4
	s_cbranch_execnz .LBB18_9
; %bb.10:
	s_or_b32 exec_lo, exec_lo, s4
.LBB18_11:
	s_wait_alu 0xfffe
	s_or_b32 exec_lo, exec_lo, s3
	s_cbranch_execz .LBB18_13
	s_branch .LBB18_18
.LBB18_12:
                                        ; implicit-def: $vgpr10
                                        ; implicit-def: $vgpr11
                                        ; implicit-def: $vgpr12
                                        ; implicit-def: $vgpr13
.LBB18_13:
	v_dual_mov_b32 v10, 0 :: v_dual_mov_b32 v11, 0
	v_dual_mov_b32 v12, 0 :: v_dual_mov_b32 v13, 0
	s_and_saveexec_b32 s3, s2
	s_cbranch_execz .LBB18_17
; %bb.14:
	v_mad_co_u64_u32 v[2:3], null, v0, 20, 19
	v_dual_mov_b32 v6, 0 :: v_dual_mov_b32 v11, 0
	v_dual_mov_b32 v10, 0 :: v_dual_mov_b32 v13, 0
	v_mov_b32_e32 v12, 0
	s_mov_b32 s2, 0
.LBB18_15:                              ; =>This Inner Loop Header: Depth=1
	v_ashrrev_i32_e32 v1, 31, v0
	v_subrev_nc_u32_e32 v5, 19, v2
	v_add_nc_u32_e32 v15, -9, v2
	v_dual_mov_b32 v16, v6 :: v_dual_add_nc_u32 v17, -4, v2
	s_delay_alu instid0(VALU_DEP_4) | instskip(NEXT) | instid1(VALU_DEP_4)
	v_lshlrev_b64_e32 v[7:8], 2, v[0:1]
	v_lshlrev_b64_e32 v[21:22], 2, v[5:6]
	v_dual_mov_b32 v18, v6 :: v_dual_mov_b32 v3, v6
	v_mov_b32_e32 v20, v6
	v_add_nc_u32_e32 v0, 32, v0
	v_add_co_u32 v7, vcc_lo, s6, v7
	s_wait_alu 0xfffd
	v_add_co_ci_u32_e64 v8, null, s7, v8, vcc_lo
	v_lshlrev_b64_e32 v[17:18], 2, v[17:18]
	v_add_co_u32 v21, vcc_lo, s8, v21
	global_load_b32 v1, v[7:8], off
	v_dual_mov_b32 v8, v6 :: v_dual_add_nc_u32 v7, -14, v2
	v_lshlrev_b64_e32 v[15:16], 2, v[15:16]
	s_wait_alu 0xfffd
	v_add_co_ci_u32_e64 v22, null, s9, v22, vcc_lo
	v_lshlrev_b64_e32 v[23:24], 2, v[2:3]
	v_lshlrev_b64_e32 v[7:8], 2, v[7:8]
	s_delay_alu instid0(VALU_DEP_1) | instskip(SKIP_1) | instid1(VALU_DEP_2)
	v_add_co_u32 v7, vcc_lo, s8, v7
	s_wait_alu 0xfffd
	v_add_co_ci_u32_e64 v8, null, s9, v8, vcc_lo
	v_add_co_u32 v25, vcc_lo, s8, v15
	s_wait_alu 0xfffd
	v_add_co_ci_u32_e64 v26, null, s9, v16, vcc_lo
	;; [unrolled: 3-line block ×3, first 2 shown]
	s_clause 0x3
	global_load_b128 v[15:18], v[21:22], off
	global_load_b32 v3, v[7:8], off
	global_load_b32 v29, v[25:26], off
	;; [unrolled: 1-line block ×3, first 2 shown]
	v_add_co_u32 v23, vcc_lo, s8, v23
	s_wait_alu 0xfffd
	v_add_co_ci_u32_e64 v24, null, s9, v24, vcc_lo
	s_wait_loadcnt 0x4
	v_subrev_nc_u32_e32 v1, s16, v1
	s_delay_alu instid0(VALU_DEP_1) | instskip(NEXT) | instid1(VALU_DEP_1)
	v_lshl_add_u32 v19, v1, 2, v1
	v_lshlrev_b64_e32 v[7:8], 2, v[19:20]
	s_delay_alu instid0(VALU_DEP_1) | instskip(SKIP_1) | instid1(VALU_DEP_2)
	v_add_co_u32 v7, vcc_lo, s10, v7
	s_wait_alu 0xfffd
	v_add_co_ci_u32_e64 v8, null, s11, v8, vcc_lo
	global_load_b32 v1, v[7:8], off
	s_wait_loadcnt 0x0
	v_dual_fmac_f32 v10, v15, v1 :: v_dual_add_nc_u32 v5, 1, v19
	s_delay_alu instid0(VALU_DEP_1) | instskip(SKIP_3) | instid1(VALU_DEP_4)
	v_lshlrev_b64_e32 v[20:21], 2, v[5:6]
	v_dual_fmac_f32 v12, v29, v1 :: v_dual_add_nc_u32 v5, -13, v2
	v_fmac_f32_e32 v13, v3, v1
	v_fmac_f32_e32 v11, v27, v1
	v_add_co_u32 v7, vcc_lo, s10, v20
	s_wait_alu 0xfffd
	v_add_co_ci_u32_e64 v8, null, s11, v21, vcc_lo
	v_lshlrev_b64_e32 v[25:26], 2, v[5:6]
	global_load_b32 v28, v[7:8], off
	v_add_nc_u32_e32 v5, -8, v2
	v_add_co_u32 v25, vcc_lo, s8, v25
	s_wait_alu 0xfffd
	v_add_co_ci_u32_e64 v26, null, s9, v26, vcc_lo
	global_load_b32 v30, v[25:26], off
	s_wait_loadcnt 0x1
	v_fmac_f32_e32 v10, v16, v28
	v_lshlrev_b64_e32 v[20:21], 2, v[5:6]
	s_delay_alu instid0(VALU_DEP_1) | instskip(SKIP_1) | instid1(VALU_DEP_2)
	v_add_co_u32 v20, vcc_lo, s8, v20
	s_wait_alu 0xfffd
	v_add_co_ci_u32_e64 v21, null, s9, v21, vcc_lo
	global_load_b32 v31, v[20:21], off
	v_add_nc_u32_e32 v5, -3, v2
	s_delay_alu instid0(VALU_DEP_1) | instskip(SKIP_1) | instid1(VALU_DEP_1)
	v_lshlrev_b64_e32 v[7:8], 2, v[5:6]
	v_add_nc_u32_e32 v5, 2, v19
	v_lshlrev_b64_e32 v[25:26], 2, v[5:6]
	s_delay_alu instid0(VALU_DEP_3) | instskip(SKIP_1) | instid1(VALU_DEP_4)
	v_add_co_u32 v7, vcc_lo, s8, v7
	s_wait_alu 0xfffd
	v_add_co_ci_u32_e64 v8, null, s9, v8, vcc_lo
	global_load_b32 v32, v[7:8], off
	v_add_co_u32 v7, vcc_lo, s10, v25
	s_wait_alu 0xfffd
	v_add_co_ci_u32_e64 v8, null, s11, v26, vcc_lo
	global_load_b32 v33, v[7:8], off
	s_wait_loadcnt 0x2
	v_dual_fmac_f32 v12, v31, v28 :: v_dual_add_nc_u32 v5, -12, v2
	s_delay_alu instid0(VALU_DEP_1) | instskip(NEXT) | instid1(VALU_DEP_1)
	v_lshlrev_b64_e32 v[20:21], 2, v[5:6]
	v_add_co_u32 v20, vcc_lo, s8, v20
	s_wait_alu 0xfffd
	s_delay_alu instid0(VALU_DEP_2) | instskip(SKIP_3) | instid1(VALU_DEP_1)
	v_add_co_ci_u32_e64 v21, null, s9, v21, vcc_lo
	global_load_b32 v34, v[20:21], off
	s_wait_loadcnt 0x1
	v_dual_fmac_f32 v10, v17, v33 :: v_dual_add_nc_u32 v5, -7, v2
	v_lshlrev_b64_e32 v[25:26], 2, v[5:6]
	v_add_nc_u32_e32 v5, -2, v2
	s_delay_alu instid0(VALU_DEP_1) | instskip(SKIP_1) | instid1(VALU_DEP_4)
	v_lshlrev_b64_e32 v[7:8], 2, v[5:6]
	v_add_nc_u32_e32 v5, 3, v19
	v_add_co_u32 v20, vcc_lo, s8, v25
	s_wait_alu 0xfffd
	v_add_co_ci_u32_e64 v21, null, s9, v26, vcc_lo
	s_delay_alu instid0(VALU_DEP_4)
	v_add_co_u32 v7, vcc_lo, s8, v7
	v_lshlrev_b64_e32 v[25:26], 2, v[5:6]
	v_add_nc_u32_e32 v5, -11, v2
	s_wait_alu 0xfffd
	v_add_co_ci_u32_e64 v8, null, s9, v8, vcc_lo
	s_clause 0x1
	global_load_b32 v35, v[20:21], off
	global_load_b32 v36, v[7:8], off
	v_lshlrev_b64_e32 v[20:21], 2, v[5:6]
	v_add_nc_u32_e32 v5, -6, v2
	v_add_co_u32 v7, vcc_lo, s10, v25
	s_wait_alu 0xfffd
	v_add_co_ci_u32_e64 v8, null, s11, v26, vcc_lo
	s_delay_alu instid0(VALU_DEP_3)
	v_lshlrev_b64_e32 v[25:26], 2, v[5:6]
	v_add_nc_u32_e32 v5, -1, v2
	v_add_co_u32 v20, vcc_lo, s8, v20
	s_wait_alu 0xfffd
	v_add_co_ci_u32_e64 v21, null, s9, v21, vcc_lo
	global_load_b32 v37, v[7:8], off
	v_lshlrev_b64_e32 v[7:8], 2, v[5:6]
	v_add_nc_u32_e32 v5, -15, v2
	global_load_b32 v38, v[20:21], off
	v_add_co_u32 v20, vcc_lo, s8, v25
	s_wait_alu 0xfffd
	v_add_co_ci_u32_e64 v21, null, s9, v26, vcc_lo
	v_add_co_u32 v7, vcc_lo, s8, v7
	v_lshlrev_b64_e32 v[25:26], 2, v[5:6]
	v_add_nc_u32_e32 v5, 4, v19
	s_wait_alu 0xfffd
	v_add_co_ci_u32_e64 v8, null, s9, v8, vcc_lo
	s_clause 0x1
	global_load_b32 v39, v[20:21], off
	global_load_b32 v40, v[7:8], off
	v_lshlrev_b64_e32 v[19:20], 2, v[5:6]
	v_add_nc_u32_e32 v5, -10, v2
	v_add_co_u32 v7, vcc_lo, s8, v25
	s_wait_alu 0xfffd
	v_add_co_ci_u32_e64 v8, null, s9, v26, vcc_lo
	s_delay_alu instid0(VALU_DEP_3) | instskip(SKIP_4) | instid1(VALU_DEP_3)
	v_lshlrev_b64_e32 v[21:22], 2, v[5:6]
	v_add_nc_u32_e32 v5, -5, v2
	v_add_co_u32 v19, vcc_lo, s10, v19
	s_wait_alu 0xfffd
	v_add_co_ci_u32_e64 v20, null, s11, v20, vcc_lo
	v_lshlrev_b64_e32 v[25:26], 2, v[5:6]
	v_add_co_u32 v21, vcc_lo, s8, v21
	s_wait_alu 0xfffd
	v_add_co_ci_u32_e64 v22, null, s9, v22, vcc_lo
	v_add_nc_u32_e32 v2, 0x280, v2
	s_delay_alu instid0(VALU_DEP_4)
	v_add_co_u32 v25, vcc_lo, s8, v25
	s_wait_alu 0xfffd
	v_add_co_ci_u32_e64 v26, null, s9, v26, vcc_lo
	global_load_b32 v5, v[7:8], off
	global_load_b32 v7, v[19:20], off
	s_clause 0x2
	global_load_b32 v8, v[21:22], off
	global_load_b32 v19, v[25:26], off
	;; [unrolled: 1-line block ×3, first 2 shown]
	v_fmac_f32_e32 v11, v32, v28
	v_cmp_ge_i32_e32 vcc_lo, v0, v14
	s_wait_alu 0xfffe
	s_or_b32 s2, vcc_lo, s2
	s_wait_loadcnt 0xa
	v_fmac_f32_e32 v12, v35, v33
	s_wait_loadcnt 0x9
	v_fmac_f32_e32 v11, v36, v33
	;; [unrolled: 2-line block ×3, first 2 shown]
	s_wait_loadcnt 0x6
	v_dual_fmac_f32 v13, v30, v28 :: v_dual_fmac_f32 v12, v39, v37
	s_wait_loadcnt 0x3
	s_delay_alu instid0(VALU_DEP_2) | instskip(SKIP_1) | instid1(VALU_DEP_2)
	v_dual_fmac_f32 v11, v40, v37 :: v_dual_fmac_f32 v10, v5, v7
	s_wait_loadcnt 0x1
	v_dual_fmac_f32 v13, v34, v33 :: v_dual_fmac_f32 v12, v19, v7
	s_wait_loadcnt 0x0
	s_delay_alu instid0(VALU_DEP_2) | instskip(NEXT) | instid1(VALU_DEP_2)
	v_fmac_f32_e32 v11, v20, v7
	v_fmac_f32_e32 v13, v38, v37
	s_delay_alu instid0(VALU_DEP_1)
	v_fmac_f32_e32 v13, v8, v7
	s_wait_alu 0xfffe
	s_and_not1_b32 exec_lo, exec_lo, s2
	s_cbranch_execnz .LBB18_15
; %bb.16:
	s_or_b32 exec_lo, exec_lo, s2
.LBB18_17:
	s_wait_alu 0xfffe
	s_or_b32 exec_lo, exec_lo, s3
.LBB18_18:
	v_mbcnt_lo_u32_b32 v0, -1, 0
	s_mov_b32 s2, -1
	s_delay_alu instid0(VALU_DEP_1) | instskip(SKIP_1) | instid1(VALU_DEP_2)
	v_xor_b32_e32 v1, 16, v0
	v_xor_b32_e32 v6, 8, v0
	v_cmp_gt_i32_e32 vcc_lo, 32, v1
	s_wait_alu 0xfffd
	v_cndmask_b32_e32 v1, v0, v1, vcc_lo
	s_delay_alu instid0(VALU_DEP_3) | instskip(SKIP_2) | instid1(VALU_DEP_1)
	v_cmp_gt_i32_e32 vcc_lo, 32, v6
	s_wait_alu 0xfffd
	v_cndmask_b32_e32 v6, v0, v6, vcc_lo
	v_lshlrev_b32_e32 v6, 2, v6
	v_lshlrev_b32_e32 v1, 2, v1
	ds_bpermute_b32 v2, v1, v10
	s_wait_dscnt 0x0
	v_add_f32_e32 v2, v10, v2
	ds_bpermute_b32 v3, v1, v13
	ds_bpermute_b32 v5, v1, v12
	;; [unrolled: 1-line block ×4, first 2 shown]
	s_wait_dscnt 0x3
	v_add_f32_e32 v3, v13, v3
	s_wait_dscnt 0x0
	v_dual_add_f32 v5, v12, v5 :: v_dual_add_f32 v2, v2, v7
	v_add_f32_e32 v1, v11, v1
	ds_bpermute_b32 v8, v6, v3
	ds_bpermute_b32 v10, v6, v5
	v_xor_b32_e32 v11, 4, v0
	ds_bpermute_b32 v6, v6, v1
	v_cmp_gt_i32_e32 vcc_lo, 32, v11
	s_wait_dscnt 0x2
	v_add_f32_e32 v3, v3, v8
	s_wait_dscnt 0x1
	v_add_f32_e32 v5, v5, v10
	;; [unrolled: 2-line block ×3, first 2 shown]
	s_wait_alu 0xfffd
	v_cndmask_b32_e32 v11, v0, v11, vcc_lo
	s_delay_alu instid0(VALU_DEP_1)
	v_lshlrev_b32_e32 v11, 2, v11
	ds_bpermute_b32 v8, v11, v5
	ds_bpermute_b32 v6, v11, v2
	;; [unrolled: 1-line block ×4, first 2 shown]
	v_xor_b32_e32 v11, 2, v0
	s_delay_alu instid0(VALU_DEP_1)
	v_cmp_gt_i32_e32 vcc_lo, 32, v11
	s_wait_dscnt 0x3
	v_add_f32_e32 v5, v5, v8
	s_wait_dscnt 0x2
	s_wait_alu 0xfffd
	v_dual_cndmask_b32 v11, v0, v11 :: v_dual_add_f32 v2, v2, v6
	s_wait_dscnt 0x0
	v_dual_add_f32 v3, v3, v7 :: v_dual_add_f32 v6, v1, v10
	s_delay_alu instid0(VALU_DEP_2)
	v_lshlrev_b32_e32 v11, 2, v11
	ds_bpermute_b32 v1, v11, v2
	ds_bpermute_b32 v7, v11, v3
	;; [unrolled: 1-line block ×4, first 2 shown]
	v_xor_b32_e32 v11, 1, v0
	s_delay_alu instid0(VALU_DEP_1) | instskip(SKIP_4) | instid1(VALU_DEP_2)
	v_cmp_gt_i32_e32 vcc_lo, 32, v11
	s_wait_alu 0xfffd
	v_cndmask_b32_e32 v0, v0, v11, vcc_lo
	v_cmp_eq_u32_e32 vcc_lo, 31, v9
	s_wait_dscnt 0x3
	v_dual_add_f32 v0, v2, v1 :: v_dual_lshlrev_b32 v11, 2, v0
	s_wait_dscnt 0x1
	v_dual_add_f32 v1, v3, v7 :: v_dual_add_f32 v2, v5, v8
	s_wait_dscnt 0x0
	v_add_f32_e32 v3, v6, v10
	ds_bpermute_b32 v5, v11, v0
	ds_bpermute_b32 v6, v11, v1
	;; [unrolled: 1-line block ×4, first 2 shown]
	s_and_b32 exec_lo, exec_lo, vcc_lo
	s_cbranch_execz .LBB18_23
; %bb.19:
	s_load_b64 s[0:1], s[0:1], 0x38
	s_wait_dscnt 0x2
	v_dual_add_f32 v0, v0, v5 :: v_dual_add_f32 v1, v1, v6
	s_wait_dscnt 0x0
	v_dual_add_f32 v2, v2, v7 :: v_dual_add_f32 v3, v3, v8
	v_lshlrev_b32_e32 v4, 2, v4
	s_delay_alu instid0(VALU_DEP_3) | instskip(NEXT) | instid1(VALU_DEP_3)
	v_dual_mul_f32 v0, s14, v0 :: v_dual_mul_f32 v1, s14, v1
	v_dual_mul_f32 v2, s14, v2 :: v_dual_mul_f32 v3, s14, v3
	s_cmp_eq_f32 s12, 0
	s_cbranch_scc0 .LBB18_21
; %bb.20:
	v_ashrrev_i32_e32 v5, 31, v4
	s_mov_b32 s2, 0
	s_delay_alu instid0(VALU_DEP_1) | instskip(SKIP_1) | instid1(VALU_DEP_1)
	v_lshlrev_b64_e32 v[5:6], 2, v[4:5]
	s_wait_kmcnt 0x0
	v_add_co_u32 v5, vcc_lo, s0, v5
	s_wait_alu 0xfffd
	s_delay_alu instid0(VALU_DEP_2)
	v_add_co_ci_u32_e64 v6, null, s1, v6, vcc_lo
	global_store_b128 v[5:6], v[0:3], off
.LBB18_21:
	s_wait_alu 0xfffe
	s_and_not1_b32 vcc_lo, exec_lo, s2
	s_wait_alu 0xfffe
	s_cbranch_vccnz .LBB18_23
; %bb.22:
	v_ashrrev_i32_e32 v5, 31, v4
	s_delay_alu instid0(VALU_DEP_1) | instskip(SKIP_1) | instid1(VALU_DEP_1)
	v_lshlrev_b64_e32 v[4:5], 2, v[4:5]
	s_wait_kmcnt 0x0
	v_add_co_u32 v8, vcc_lo, s0, v4
	s_wait_alu 0xfffd
	s_delay_alu instid0(VALU_DEP_2)
	v_add_co_ci_u32_e64 v9, null, s1, v5, vcc_lo
	global_load_b128 v[4:7], v[8:9], off
	s_wait_loadcnt 0x0
	v_dual_fmac_f32 v0, s12, v4 :: v_dual_fmac_f32 v1, s12, v5
	v_dual_fmac_f32 v2, s12, v6 :: v_dual_fmac_f32 v3, s12, v7
	global_store_b128 v[8:9], v[0:3], off
.LBB18_23:
	s_endpgm
	.section	.rodata,"a",@progbits
	.p2align	6, 0x0
	.amdhsa_kernel _ZN9rocsparseL19gebsrmvn_4xn_kernelILj128ELj5ELj32EfEEvi20rocsparse_direction_NS_24const_host_device_scalarIT2_EEPKiS6_PKS3_S8_S4_PS3_21rocsparse_index_base_b
		.amdhsa_group_segment_fixed_size 0
		.amdhsa_private_segment_fixed_size 0
		.amdhsa_kernarg_size 72
		.amdhsa_user_sgpr_count 2
		.amdhsa_user_sgpr_dispatch_ptr 0
		.amdhsa_user_sgpr_queue_ptr 0
		.amdhsa_user_sgpr_kernarg_segment_ptr 1
		.amdhsa_user_sgpr_dispatch_id 0
		.amdhsa_user_sgpr_private_segment_size 0
		.amdhsa_wavefront_size32 1
		.amdhsa_uses_dynamic_stack 0
		.amdhsa_enable_private_segment 0
		.amdhsa_system_sgpr_workgroup_id_x 1
		.amdhsa_system_sgpr_workgroup_id_y 0
		.amdhsa_system_sgpr_workgroup_id_z 0
		.amdhsa_system_sgpr_workgroup_info 0
		.amdhsa_system_vgpr_workitem_id 0
		.amdhsa_next_free_vgpr 41
		.amdhsa_next_free_sgpr 18
		.amdhsa_reserve_vcc 1
		.amdhsa_float_round_mode_32 0
		.amdhsa_float_round_mode_16_64 0
		.amdhsa_float_denorm_mode_32 3
		.amdhsa_float_denorm_mode_16_64 3
		.amdhsa_fp16_overflow 0
		.amdhsa_workgroup_processor_mode 1
		.amdhsa_memory_ordered 1
		.amdhsa_forward_progress 1
		.amdhsa_inst_pref_size 23
		.amdhsa_round_robin_scheduling 0
		.amdhsa_exception_fp_ieee_invalid_op 0
		.amdhsa_exception_fp_denorm_src 0
		.amdhsa_exception_fp_ieee_div_zero 0
		.amdhsa_exception_fp_ieee_overflow 0
		.amdhsa_exception_fp_ieee_underflow 0
		.amdhsa_exception_fp_ieee_inexact 0
		.amdhsa_exception_int_div_zero 0
	.end_amdhsa_kernel
	.section	.text._ZN9rocsparseL19gebsrmvn_4xn_kernelILj128ELj5ELj32EfEEvi20rocsparse_direction_NS_24const_host_device_scalarIT2_EEPKiS6_PKS3_S8_S4_PS3_21rocsparse_index_base_b,"axG",@progbits,_ZN9rocsparseL19gebsrmvn_4xn_kernelILj128ELj5ELj32EfEEvi20rocsparse_direction_NS_24const_host_device_scalarIT2_EEPKiS6_PKS3_S8_S4_PS3_21rocsparse_index_base_b,comdat
.Lfunc_end18:
	.size	_ZN9rocsparseL19gebsrmvn_4xn_kernelILj128ELj5ELj32EfEEvi20rocsparse_direction_NS_24const_host_device_scalarIT2_EEPKiS6_PKS3_S8_S4_PS3_21rocsparse_index_base_b, .Lfunc_end18-_ZN9rocsparseL19gebsrmvn_4xn_kernelILj128ELj5ELj32EfEEvi20rocsparse_direction_NS_24const_host_device_scalarIT2_EEPKiS6_PKS3_S8_S4_PS3_21rocsparse_index_base_b
                                        ; -- End function
	.set _ZN9rocsparseL19gebsrmvn_4xn_kernelILj128ELj5ELj32EfEEvi20rocsparse_direction_NS_24const_host_device_scalarIT2_EEPKiS6_PKS3_S8_S4_PS3_21rocsparse_index_base_b.num_vgpr, 41
	.set _ZN9rocsparseL19gebsrmvn_4xn_kernelILj128ELj5ELj32EfEEvi20rocsparse_direction_NS_24const_host_device_scalarIT2_EEPKiS6_PKS3_S8_S4_PS3_21rocsparse_index_base_b.num_agpr, 0
	.set _ZN9rocsparseL19gebsrmvn_4xn_kernelILj128ELj5ELj32EfEEvi20rocsparse_direction_NS_24const_host_device_scalarIT2_EEPKiS6_PKS3_S8_S4_PS3_21rocsparse_index_base_b.numbered_sgpr, 18
	.set _ZN9rocsparseL19gebsrmvn_4xn_kernelILj128ELj5ELj32EfEEvi20rocsparse_direction_NS_24const_host_device_scalarIT2_EEPKiS6_PKS3_S8_S4_PS3_21rocsparse_index_base_b.num_named_barrier, 0
	.set _ZN9rocsparseL19gebsrmvn_4xn_kernelILj128ELj5ELj32EfEEvi20rocsparse_direction_NS_24const_host_device_scalarIT2_EEPKiS6_PKS3_S8_S4_PS3_21rocsparse_index_base_b.private_seg_size, 0
	.set _ZN9rocsparseL19gebsrmvn_4xn_kernelILj128ELj5ELj32EfEEvi20rocsparse_direction_NS_24const_host_device_scalarIT2_EEPKiS6_PKS3_S8_S4_PS3_21rocsparse_index_base_b.uses_vcc, 1
	.set _ZN9rocsparseL19gebsrmvn_4xn_kernelILj128ELj5ELj32EfEEvi20rocsparse_direction_NS_24const_host_device_scalarIT2_EEPKiS6_PKS3_S8_S4_PS3_21rocsparse_index_base_b.uses_flat_scratch, 0
	.set _ZN9rocsparseL19gebsrmvn_4xn_kernelILj128ELj5ELj32EfEEvi20rocsparse_direction_NS_24const_host_device_scalarIT2_EEPKiS6_PKS3_S8_S4_PS3_21rocsparse_index_base_b.has_dyn_sized_stack, 0
	.set _ZN9rocsparseL19gebsrmvn_4xn_kernelILj128ELj5ELj32EfEEvi20rocsparse_direction_NS_24const_host_device_scalarIT2_EEPKiS6_PKS3_S8_S4_PS3_21rocsparse_index_base_b.has_recursion, 0
	.set _ZN9rocsparseL19gebsrmvn_4xn_kernelILj128ELj5ELj32EfEEvi20rocsparse_direction_NS_24const_host_device_scalarIT2_EEPKiS6_PKS3_S8_S4_PS3_21rocsparse_index_base_b.has_indirect_call, 0
	.section	.AMDGPU.csdata,"",@progbits
; Kernel info:
; codeLenInByte = 2904
; TotalNumSgprs: 20
; NumVgprs: 41
; ScratchSize: 0
; MemoryBound: 0
; FloatMode: 240
; IeeeMode: 1
; LDSByteSize: 0 bytes/workgroup (compile time only)
; SGPRBlocks: 0
; VGPRBlocks: 5
; NumSGPRsForWavesPerEU: 20
; NumVGPRsForWavesPerEU: 41
; Occupancy: 16
; WaveLimiterHint : 1
; COMPUTE_PGM_RSRC2:SCRATCH_EN: 0
; COMPUTE_PGM_RSRC2:USER_SGPR: 2
; COMPUTE_PGM_RSRC2:TRAP_HANDLER: 0
; COMPUTE_PGM_RSRC2:TGID_X_EN: 1
; COMPUTE_PGM_RSRC2:TGID_Y_EN: 0
; COMPUTE_PGM_RSRC2:TGID_Z_EN: 0
; COMPUTE_PGM_RSRC2:TIDIG_COMP_CNT: 0
	.section	.text._ZN9rocsparseL19gebsrmvn_4xn_kernelILj128ELj5ELj64EfEEvi20rocsparse_direction_NS_24const_host_device_scalarIT2_EEPKiS6_PKS3_S8_S4_PS3_21rocsparse_index_base_b,"axG",@progbits,_ZN9rocsparseL19gebsrmvn_4xn_kernelILj128ELj5ELj64EfEEvi20rocsparse_direction_NS_24const_host_device_scalarIT2_EEPKiS6_PKS3_S8_S4_PS3_21rocsparse_index_base_b,comdat
	.globl	_ZN9rocsparseL19gebsrmvn_4xn_kernelILj128ELj5ELj64EfEEvi20rocsparse_direction_NS_24const_host_device_scalarIT2_EEPKiS6_PKS3_S8_S4_PS3_21rocsparse_index_base_b ; -- Begin function _ZN9rocsparseL19gebsrmvn_4xn_kernelILj128ELj5ELj64EfEEvi20rocsparse_direction_NS_24const_host_device_scalarIT2_EEPKiS6_PKS3_S8_S4_PS3_21rocsparse_index_base_b
	.p2align	8
	.type	_ZN9rocsparseL19gebsrmvn_4xn_kernelILj128ELj5ELj64EfEEvi20rocsparse_direction_NS_24const_host_device_scalarIT2_EEPKiS6_PKS3_S8_S4_PS3_21rocsparse_index_base_b,@function
_ZN9rocsparseL19gebsrmvn_4xn_kernelILj128ELj5ELj64EfEEvi20rocsparse_direction_NS_24const_host_device_scalarIT2_EEPKiS6_PKS3_S8_S4_PS3_21rocsparse_index_base_b: ; @_ZN9rocsparseL19gebsrmvn_4xn_kernelILj128ELj5ELj64EfEEvi20rocsparse_direction_NS_24const_host_device_scalarIT2_EEPKiS6_PKS3_S8_S4_PS3_21rocsparse_index_base_b
; %bb.0:
	s_clause 0x2
	s_load_b64 s[16:17], s[0:1], 0x40
	s_load_b64 s[14:15], s[0:1], 0x8
	;; [unrolled: 1-line block ×3, first 2 shown]
	s_wait_kmcnt 0x0
	s_bitcmp1_b32 s17, 0
	s_cselect_b32 s2, -1, 0
	s_delay_alu instid0(SALU_CYCLE_1)
	s_and_b32 vcc_lo, exec_lo, s2
	s_xor_b32 s2, s2, -1
	s_cbranch_vccnz .LBB19_2
; %bb.1:
	s_load_b32 s14, s[14:15], 0x0
.LBB19_2:
	s_and_not1_b32 vcc_lo, exec_lo, s2
	s_cbranch_vccnz .LBB19_4
; %bb.3:
	s_load_b32 s12, s[12:13], 0x0
.LBB19_4:
	s_wait_kmcnt 0x0
	s_cmp_eq_f32 s14, 0
	s_cselect_b32 s2, -1, 0
	s_cmp_eq_f32 s12, 1.0
	s_cselect_b32 s3, -1, 0
	s_delay_alu instid0(SALU_CYCLE_1) | instskip(NEXT) | instid1(SALU_CYCLE_1)
	s_and_b32 s2, s2, s3
	s_and_b32 vcc_lo, exec_lo, s2
	s_cbranch_vccnz .LBB19_23
; %bb.5:
	s_load_b64 s[2:3], s[0:1], 0x0
	v_lshrrev_b32_e32 v1, 6, v0
	s_delay_alu instid0(VALU_DEP_1) | instskip(SKIP_1) | instid1(VALU_DEP_1)
	v_lshl_or_b32 v4, ttmp9, 1, v1
	s_wait_kmcnt 0x0
	v_cmp_gt_i32_e32 vcc_lo, s2, v4
	s_and_saveexec_b32 s2, vcc_lo
	s_cbranch_execz .LBB19_23
; %bb.6:
	s_load_b256 s[4:11], s[0:1], 0x10
	v_ashrrev_i32_e32 v5, 31, v4
	v_and_b32_e32 v9, 63, v0
	s_cmp_lg_u32 s3, 0
	s_delay_alu instid0(VALU_DEP_2) | instskip(SKIP_1) | instid1(VALU_DEP_1)
	v_lshlrev_b64_e32 v[1:2], 2, v[4:5]
	s_wait_kmcnt 0x0
	v_add_co_u32 v1, vcc_lo, s4, v1
	s_delay_alu instid0(VALU_DEP_1) | instskip(SKIP_4) | instid1(VALU_DEP_2)
	v_add_co_ci_u32_e64 v2, null, s5, v2, vcc_lo
	global_load_b64 v[1:2], v[1:2], off
	s_wait_loadcnt 0x0
	v_subrev_nc_u32_e32 v0, s16, v1
	v_subrev_nc_u32_e32 v14, s16, v2
	v_add_nc_u32_e32 v0, v0, v9
	s_delay_alu instid0(VALU_DEP_1)
	v_cmp_lt_i32_e64 s2, v0, v14
	s_cbranch_scc0 .LBB19_12
; %bb.7:
	v_dual_mov_b32 v10, 0 :: v_dual_mov_b32 v11, 0
	v_dual_mov_b32 v12, 0 :: v_dual_mov_b32 v13, 0
	s_and_saveexec_b32 s3, s2
	s_cbranch_execz .LBB19_11
; %bb.8:
	v_mad_co_u64_u32 v[1:2], null, v0, 20, 16
	v_dual_mov_b32 v6, 0 :: v_dual_mov_b32 v7, v0
	v_dual_mov_b32 v10, 0 :: v_dual_mov_b32 v11, 0
	;; [unrolled: 1-line block ×3, first 2 shown]
	s_mov_b32 s4, 0
.LBB19_9:                               ; =>This Inner Loop Header: Depth=1
	s_delay_alu instid0(VALU_DEP_3) | instskip(SKIP_1) | instid1(VALU_DEP_2)
	v_ashrrev_i32_e32 v8, 31, v7
	v_add_nc_u32_e32 v5, -16, v1
	v_lshlrev_b64_e32 v[2:3], 2, v[7:8]
	v_add_nc_u32_e32 v7, 64, v7
	s_delay_alu instid0(VALU_DEP_2) | instskip(SKIP_1) | instid1(VALU_DEP_3)
	v_add_co_u32 v2, vcc_lo, s6, v2
	s_wait_alu 0xfffd
	v_add_co_ci_u32_e64 v3, null, s7, v3, vcc_lo
	global_load_b32 v8, v[2:3], off
	v_mov_b32_e32 v2, v6
	v_lshlrev_b64_e32 v[15:16], 2, v[5:6]
	v_add_nc_u32_e32 v5, -12, v1
	s_delay_alu instid0(VALU_DEP_3) | instskip(NEXT) | instid1(VALU_DEP_2)
	v_lshlrev_b64_e32 v[17:18], 2, v[1:2]
	v_lshlrev_b64_e32 v[19:20], 2, v[5:6]
	s_delay_alu instid0(VALU_DEP_4) | instskip(SKIP_2) | instid1(VALU_DEP_4)
	v_add_co_u32 v15, vcc_lo, s8, v15
	s_wait_alu 0xfffd
	v_add_co_ci_u32_e64 v16, null, s9, v16, vcc_lo
	v_add_co_u32 v31, vcc_lo, s8, v17
	s_wait_alu 0xfffd
	v_add_co_ci_u32_e64 v32, null, s9, v18, vcc_lo
	;; [unrolled: 3-line block ×3, first 2 shown]
	s_clause 0x1
	global_load_b128 v[15:18], v[15:16], off
	global_load_b128 v[19:22], v[19:20], off
	v_mov_b32_e32 v3, v6
	s_wait_loadcnt 0x2
	v_subrev_nc_u32_e32 v2, s16, v8
	s_delay_alu instid0(VALU_DEP_1) | instskip(NEXT) | instid1(VALU_DEP_1)
	v_lshl_add_u32 v2, v2, 2, v2
	v_add_nc_u32_e32 v5, 1, v2
	v_lshlrev_b64_e32 v[23:24], 2, v[2:3]
	s_delay_alu instid0(VALU_DEP_2) | instskip(NEXT) | instid1(VALU_DEP_2)
	v_lshlrev_b64_e32 v[25:26], 2, v[5:6]
	v_add_co_u32 v23, vcc_lo, s10, v23
	s_wait_alu 0xfffd
	s_delay_alu instid0(VALU_DEP_3) | instskip(NEXT) | instid1(VALU_DEP_3)
	v_add_co_ci_u32_e64 v24, null, s11, v24, vcc_lo
	v_add_co_u32 v25, vcc_lo, s10, v25
	s_wait_alu 0xfffd
	v_add_co_ci_u32_e64 v26, null, s11, v26, vcc_lo
	s_clause 0x1
	global_load_b32 v8, v[23:24], off
	global_load_b32 v37, v[25:26], off
	s_wait_loadcnt 0x1
	v_fmac_f32_e32 v10, v15, v8
	v_fmac_f32_e32 v12, v17, v8
	s_wait_loadcnt 0x0
	s_delay_alu instid0(VALU_DEP_2) | instskip(SKIP_1) | instid1(VALU_DEP_3)
	v_fmac_f32_e32 v10, v19, v37
	v_add_nc_u32_e32 v5, -8, v1
	v_fmac_f32_e32 v12, v21, v37
	s_delay_alu instid0(VALU_DEP_2) | instskip(SKIP_1) | instid1(VALU_DEP_1)
	v_lshlrev_b64_e32 v[27:28], 2, v[5:6]
	v_add_nc_u32_e32 v5, 2, v2
	v_lshlrev_b64_e32 v[23:24], 2, v[5:6]
	s_delay_alu instid0(VALU_DEP_3) | instskip(SKIP_1) | instid1(VALU_DEP_4)
	v_add_co_u32 v25, vcc_lo, s8, v27
	s_wait_alu 0xfffd
	v_add_co_ci_u32_e64 v26, null, s9, v28, vcc_lo
	s_delay_alu instid0(VALU_DEP_3)
	v_add_co_u32 v29, vcc_lo, s10, v23
	s_wait_alu 0xfffd
	v_add_co_ci_u32_e64 v30, null, s11, v24, vcc_lo
	global_load_b128 v[23:26], v[25:26], off
	global_load_b32 v38, v[29:30], off
	v_add_nc_u32_e32 v5, -4, v1
	s_wait_loadcnt 0x0
	v_dual_fmac_f32 v12, v25, v38 :: v_dual_add_nc_u32 v1, 0x500, v1
	s_delay_alu instid0(VALU_DEP_2) | instskip(SKIP_2) | instid1(VALU_DEP_2)
	v_lshlrev_b64_e32 v[27:28], 2, v[5:6]
	v_add_nc_u32_e32 v5, 3, v2
	v_fmac_f32_e32 v10, v23, v38
	v_lshlrev_b64_e32 v[33:34], 2, v[5:6]
	v_add_nc_u32_e32 v5, 4, v2
	v_add_co_u32 v2, vcc_lo, s8, v27
	s_wait_alu 0xfffd
	v_add_co_ci_u32_e64 v3, null, s9, v28, vcc_lo
	s_delay_alu instid0(VALU_DEP_3)
	v_lshlrev_b64_e32 v[35:36], 2, v[5:6]
	v_add_co_u32 v33, vcc_lo, s10, v33
	s_wait_alu 0xfffd
	v_add_co_ci_u32_e64 v34, null, s11, v34, vcc_lo
	global_load_b128 v[27:30], v[2:3], off
	global_load_b32 v5, v[33:34], off
	v_add_co_u32 v2, vcc_lo, s10, v35
	s_wait_alu 0xfffd
	v_add_co_ci_u32_e64 v3, null, s11, v36, vcc_lo
	global_load_b128 v[31:34], v[31:32], off
	global_load_b32 v2, v[2:3], off
	v_fmac_f32_e32 v13, v16, v8
	v_fmac_f32_e32 v11, v18, v8
	v_cmp_ge_i32_e32 vcc_lo, v7, v14
	s_wait_alu 0xfffe
	s_or_b32 s4, vcc_lo, s4
	s_wait_loadcnt 0x2
	v_fmac_f32_e32 v10, v27, v5
	v_fmac_f32_e32 v13, v20, v37
	;; [unrolled: 1-line block ×3, first 2 shown]
	s_wait_loadcnt 0x0
	s_delay_alu instid0(VALU_DEP_1) | instskip(NEXT) | instid1(VALU_DEP_1)
	v_dual_fmac_f32 v11, v22, v37 :: v_dual_fmac_f32 v12, v33, v2
	v_fmac_f32_e32 v11, v26, v38
	v_fmac_f32_e32 v10, v31, v2
	;; [unrolled: 1-line block ×3, first 2 shown]
	s_delay_alu instid0(VALU_DEP_3) | instskip(NEXT) | instid1(VALU_DEP_2)
	v_fmac_f32_e32 v11, v30, v5
	v_fmac_f32_e32 v13, v28, v5
	s_delay_alu instid0(VALU_DEP_2) | instskip(NEXT) | instid1(VALU_DEP_2)
	v_fmac_f32_e32 v11, v34, v2
	v_fmac_f32_e32 v13, v32, v2
	s_wait_alu 0xfffe
	s_and_not1_b32 exec_lo, exec_lo, s4
	s_cbranch_execnz .LBB19_9
; %bb.10:
	s_or_b32 exec_lo, exec_lo, s4
.LBB19_11:
	s_wait_alu 0xfffe
	s_or_b32 exec_lo, exec_lo, s3
	s_cbranch_execz .LBB19_13
	s_branch .LBB19_18
.LBB19_12:
                                        ; implicit-def: $vgpr10
                                        ; implicit-def: $vgpr11
                                        ; implicit-def: $vgpr12
                                        ; implicit-def: $vgpr13
.LBB19_13:
	v_dual_mov_b32 v10, 0 :: v_dual_mov_b32 v11, 0
	v_dual_mov_b32 v12, 0 :: v_dual_mov_b32 v13, 0
	s_and_saveexec_b32 s3, s2
	s_cbranch_execz .LBB19_17
; %bb.14:
	v_mad_co_u64_u32 v[2:3], null, v0, 20, 19
	v_dual_mov_b32 v6, 0 :: v_dual_mov_b32 v11, 0
	v_dual_mov_b32 v10, 0 :: v_dual_mov_b32 v13, 0
	v_mov_b32_e32 v12, 0
	s_mov_b32 s2, 0
.LBB19_15:                              ; =>This Inner Loop Header: Depth=1
	v_ashrrev_i32_e32 v1, 31, v0
	v_subrev_nc_u32_e32 v5, 19, v2
	v_add_nc_u32_e32 v15, -9, v2
	v_dual_mov_b32 v16, v6 :: v_dual_add_nc_u32 v17, -4, v2
	s_delay_alu instid0(VALU_DEP_4) | instskip(NEXT) | instid1(VALU_DEP_4)
	v_lshlrev_b64_e32 v[7:8], 2, v[0:1]
	v_lshlrev_b64_e32 v[21:22], 2, v[5:6]
	v_dual_mov_b32 v18, v6 :: v_dual_mov_b32 v3, v6
	v_mov_b32_e32 v20, v6
	v_add_nc_u32_e32 v0, 64, v0
	v_add_co_u32 v7, vcc_lo, s6, v7
	s_wait_alu 0xfffd
	v_add_co_ci_u32_e64 v8, null, s7, v8, vcc_lo
	v_lshlrev_b64_e32 v[17:18], 2, v[17:18]
	v_add_co_u32 v21, vcc_lo, s8, v21
	global_load_b32 v1, v[7:8], off
	v_dual_mov_b32 v8, v6 :: v_dual_add_nc_u32 v7, -14, v2
	v_lshlrev_b64_e32 v[15:16], 2, v[15:16]
	s_wait_alu 0xfffd
	v_add_co_ci_u32_e64 v22, null, s9, v22, vcc_lo
	v_lshlrev_b64_e32 v[23:24], 2, v[2:3]
	v_lshlrev_b64_e32 v[7:8], 2, v[7:8]
	s_delay_alu instid0(VALU_DEP_1) | instskip(SKIP_1) | instid1(VALU_DEP_2)
	v_add_co_u32 v7, vcc_lo, s8, v7
	s_wait_alu 0xfffd
	v_add_co_ci_u32_e64 v8, null, s9, v8, vcc_lo
	v_add_co_u32 v25, vcc_lo, s8, v15
	s_wait_alu 0xfffd
	v_add_co_ci_u32_e64 v26, null, s9, v16, vcc_lo
	;; [unrolled: 3-line block ×3, first 2 shown]
	s_clause 0x3
	global_load_b128 v[15:18], v[21:22], off
	global_load_b32 v3, v[7:8], off
	global_load_b32 v29, v[25:26], off
	;; [unrolled: 1-line block ×3, first 2 shown]
	v_add_co_u32 v23, vcc_lo, s8, v23
	s_wait_alu 0xfffd
	v_add_co_ci_u32_e64 v24, null, s9, v24, vcc_lo
	s_wait_loadcnt 0x4
	v_subrev_nc_u32_e32 v1, s16, v1
	s_delay_alu instid0(VALU_DEP_1) | instskip(NEXT) | instid1(VALU_DEP_1)
	v_lshl_add_u32 v19, v1, 2, v1
	v_lshlrev_b64_e32 v[7:8], 2, v[19:20]
	s_delay_alu instid0(VALU_DEP_1) | instskip(SKIP_1) | instid1(VALU_DEP_2)
	v_add_co_u32 v7, vcc_lo, s10, v7
	s_wait_alu 0xfffd
	v_add_co_ci_u32_e64 v8, null, s11, v8, vcc_lo
	global_load_b32 v1, v[7:8], off
	s_wait_loadcnt 0x0
	v_dual_fmac_f32 v10, v15, v1 :: v_dual_add_nc_u32 v5, 1, v19
	s_delay_alu instid0(VALU_DEP_1) | instskip(SKIP_3) | instid1(VALU_DEP_4)
	v_lshlrev_b64_e32 v[20:21], 2, v[5:6]
	v_dual_fmac_f32 v12, v29, v1 :: v_dual_add_nc_u32 v5, -13, v2
	v_fmac_f32_e32 v13, v3, v1
	v_fmac_f32_e32 v11, v27, v1
	v_add_co_u32 v7, vcc_lo, s10, v20
	s_wait_alu 0xfffd
	v_add_co_ci_u32_e64 v8, null, s11, v21, vcc_lo
	v_lshlrev_b64_e32 v[25:26], 2, v[5:6]
	global_load_b32 v28, v[7:8], off
	v_add_nc_u32_e32 v5, -8, v2
	v_add_co_u32 v25, vcc_lo, s8, v25
	s_wait_alu 0xfffd
	v_add_co_ci_u32_e64 v26, null, s9, v26, vcc_lo
	global_load_b32 v30, v[25:26], off
	s_wait_loadcnt 0x1
	v_fmac_f32_e32 v10, v16, v28
	v_lshlrev_b64_e32 v[20:21], 2, v[5:6]
	s_delay_alu instid0(VALU_DEP_1) | instskip(SKIP_1) | instid1(VALU_DEP_2)
	v_add_co_u32 v20, vcc_lo, s8, v20
	s_wait_alu 0xfffd
	v_add_co_ci_u32_e64 v21, null, s9, v21, vcc_lo
	global_load_b32 v31, v[20:21], off
	v_add_nc_u32_e32 v5, -3, v2
	s_delay_alu instid0(VALU_DEP_1) | instskip(SKIP_1) | instid1(VALU_DEP_1)
	v_lshlrev_b64_e32 v[7:8], 2, v[5:6]
	v_add_nc_u32_e32 v5, 2, v19
	v_lshlrev_b64_e32 v[25:26], 2, v[5:6]
	s_delay_alu instid0(VALU_DEP_3) | instskip(SKIP_1) | instid1(VALU_DEP_4)
	v_add_co_u32 v7, vcc_lo, s8, v7
	s_wait_alu 0xfffd
	v_add_co_ci_u32_e64 v8, null, s9, v8, vcc_lo
	global_load_b32 v32, v[7:8], off
	v_add_co_u32 v7, vcc_lo, s10, v25
	s_wait_alu 0xfffd
	v_add_co_ci_u32_e64 v8, null, s11, v26, vcc_lo
	global_load_b32 v33, v[7:8], off
	s_wait_loadcnt 0x2
	v_dual_fmac_f32 v12, v31, v28 :: v_dual_add_nc_u32 v5, -12, v2
	s_delay_alu instid0(VALU_DEP_1) | instskip(NEXT) | instid1(VALU_DEP_1)
	v_lshlrev_b64_e32 v[20:21], 2, v[5:6]
	v_add_co_u32 v20, vcc_lo, s8, v20
	s_wait_alu 0xfffd
	s_delay_alu instid0(VALU_DEP_2) | instskip(SKIP_3) | instid1(VALU_DEP_1)
	v_add_co_ci_u32_e64 v21, null, s9, v21, vcc_lo
	global_load_b32 v34, v[20:21], off
	s_wait_loadcnt 0x1
	v_dual_fmac_f32 v10, v17, v33 :: v_dual_add_nc_u32 v5, -7, v2
	v_lshlrev_b64_e32 v[25:26], 2, v[5:6]
	v_add_nc_u32_e32 v5, -2, v2
	s_delay_alu instid0(VALU_DEP_1) | instskip(SKIP_1) | instid1(VALU_DEP_4)
	v_lshlrev_b64_e32 v[7:8], 2, v[5:6]
	v_add_nc_u32_e32 v5, 3, v19
	v_add_co_u32 v20, vcc_lo, s8, v25
	s_wait_alu 0xfffd
	v_add_co_ci_u32_e64 v21, null, s9, v26, vcc_lo
	s_delay_alu instid0(VALU_DEP_4)
	v_add_co_u32 v7, vcc_lo, s8, v7
	v_lshlrev_b64_e32 v[25:26], 2, v[5:6]
	v_add_nc_u32_e32 v5, -11, v2
	s_wait_alu 0xfffd
	v_add_co_ci_u32_e64 v8, null, s9, v8, vcc_lo
	s_clause 0x1
	global_load_b32 v35, v[20:21], off
	global_load_b32 v36, v[7:8], off
	v_lshlrev_b64_e32 v[20:21], 2, v[5:6]
	v_add_nc_u32_e32 v5, -6, v2
	v_add_co_u32 v7, vcc_lo, s10, v25
	s_wait_alu 0xfffd
	v_add_co_ci_u32_e64 v8, null, s11, v26, vcc_lo
	s_delay_alu instid0(VALU_DEP_3)
	v_lshlrev_b64_e32 v[25:26], 2, v[5:6]
	v_add_nc_u32_e32 v5, -1, v2
	v_add_co_u32 v20, vcc_lo, s8, v20
	s_wait_alu 0xfffd
	v_add_co_ci_u32_e64 v21, null, s9, v21, vcc_lo
	global_load_b32 v37, v[7:8], off
	v_lshlrev_b64_e32 v[7:8], 2, v[5:6]
	v_add_nc_u32_e32 v5, -15, v2
	global_load_b32 v38, v[20:21], off
	v_add_co_u32 v20, vcc_lo, s8, v25
	s_wait_alu 0xfffd
	v_add_co_ci_u32_e64 v21, null, s9, v26, vcc_lo
	v_add_co_u32 v7, vcc_lo, s8, v7
	v_lshlrev_b64_e32 v[25:26], 2, v[5:6]
	v_add_nc_u32_e32 v5, 4, v19
	s_wait_alu 0xfffd
	v_add_co_ci_u32_e64 v8, null, s9, v8, vcc_lo
	s_clause 0x1
	global_load_b32 v39, v[20:21], off
	global_load_b32 v40, v[7:8], off
	v_lshlrev_b64_e32 v[19:20], 2, v[5:6]
	v_add_nc_u32_e32 v5, -10, v2
	v_add_co_u32 v7, vcc_lo, s8, v25
	s_wait_alu 0xfffd
	v_add_co_ci_u32_e64 v8, null, s9, v26, vcc_lo
	s_delay_alu instid0(VALU_DEP_3) | instskip(SKIP_4) | instid1(VALU_DEP_3)
	v_lshlrev_b64_e32 v[21:22], 2, v[5:6]
	v_add_nc_u32_e32 v5, -5, v2
	v_add_co_u32 v19, vcc_lo, s10, v19
	s_wait_alu 0xfffd
	v_add_co_ci_u32_e64 v20, null, s11, v20, vcc_lo
	v_lshlrev_b64_e32 v[25:26], 2, v[5:6]
	v_add_co_u32 v21, vcc_lo, s8, v21
	s_wait_alu 0xfffd
	v_add_co_ci_u32_e64 v22, null, s9, v22, vcc_lo
	v_add_nc_u32_e32 v2, 0x500, v2
	s_delay_alu instid0(VALU_DEP_4)
	v_add_co_u32 v25, vcc_lo, s8, v25
	s_wait_alu 0xfffd
	v_add_co_ci_u32_e64 v26, null, s9, v26, vcc_lo
	global_load_b32 v5, v[7:8], off
	global_load_b32 v7, v[19:20], off
	s_clause 0x2
	global_load_b32 v8, v[21:22], off
	global_load_b32 v19, v[25:26], off
	;; [unrolled: 1-line block ×3, first 2 shown]
	v_fmac_f32_e32 v11, v32, v28
	v_cmp_ge_i32_e32 vcc_lo, v0, v14
	s_wait_alu 0xfffe
	s_or_b32 s2, vcc_lo, s2
	s_wait_loadcnt 0xa
	v_fmac_f32_e32 v12, v35, v33
	s_wait_loadcnt 0x9
	v_fmac_f32_e32 v11, v36, v33
	;; [unrolled: 2-line block ×3, first 2 shown]
	s_wait_loadcnt 0x6
	v_dual_fmac_f32 v13, v30, v28 :: v_dual_fmac_f32 v12, v39, v37
	s_wait_loadcnt 0x3
	s_delay_alu instid0(VALU_DEP_2) | instskip(SKIP_1) | instid1(VALU_DEP_2)
	v_dual_fmac_f32 v11, v40, v37 :: v_dual_fmac_f32 v10, v5, v7
	s_wait_loadcnt 0x1
	v_dual_fmac_f32 v13, v34, v33 :: v_dual_fmac_f32 v12, v19, v7
	s_wait_loadcnt 0x0
	s_delay_alu instid0(VALU_DEP_2) | instskip(NEXT) | instid1(VALU_DEP_2)
	v_fmac_f32_e32 v11, v20, v7
	v_fmac_f32_e32 v13, v38, v37
	s_delay_alu instid0(VALU_DEP_1)
	v_fmac_f32_e32 v13, v8, v7
	s_wait_alu 0xfffe
	s_and_not1_b32 exec_lo, exec_lo, s2
	s_cbranch_execnz .LBB19_15
; %bb.16:
	s_or_b32 exec_lo, exec_lo, s2
.LBB19_17:
	s_wait_alu 0xfffe
	s_or_b32 exec_lo, exec_lo, s3
.LBB19_18:
	v_mbcnt_lo_u32_b32 v0, -1, 0
	s_mov_b32 s2, -1
	s_delay_alu instid0(VALU_DEP_1) | instskip(SKIP_1) | instid1(VALU_DEP_2)
	v_or_b32_e32 v1, 32, v0
	v_xor_b32_e32 v6, 16, v0
	v_cmp_gt_i32_e32 vcc_lo, 32, v1
	s_wait_alu 0xfffd
	v_cndmask_b32_e32 v1, v0, v1, vcc_lo
	s_delay_alu instid0(VALU_DEP_3) | instskip(SKIP_2) | instid1(VALU_DEP_1)
	v_cmp_gt_i32_e32 vcc_lo, 32, v6
	s_wait_alu 0xfffd
	v_cndmask_b32_e32 v6, v0, v6, vcc_lo
	v_lshlrev_b32_e32 v6, 2, v6
	v_lshlrev_b32_e32 v1, 2, v1
	ds_bpermute_b32 v2, v1, v10
	s_wait_dscnt 0x0
	v_add_f32_e32 v2, v10, v2
	ds_bpermute_b32 v3, v1, v13
	ds_bpermute_b32 v5, v1, v12
	;; [unrolled: 1-line block ×4, first 2 shown]
	s_wait_dscnt 0x3
	v_add_f32_e32 v3, v13, v3
	s_wait_dscnt 0x0
	v_dual_add_f32 v5, v12, v5 :: v_dual_add_f32 v2, v2, v7
	v_add_f32_e32 v1, v11, v1
	ds_bpermute_b32 v8, v6, v3
	ds_bpermute_b32 v10, v6, v5
	v_xor_b32_e32 v11, 8, v0
	ds_bpermute_b32 v6, v6, v1
	v_cmp_gt_i32_e32 vcc_lo, 32, v11
	s_wait_alu 0xfffd
	v_cndmask_b32_e32 v11, v0, v11, vcc_lo
	s_delay_alu instid0(VALU_DEP_1)
	v_lshlrev_b32_e32 v11, 2, v11
	s_wait_dscnt 0x2
	v_add_f32_e32 v3, v3, v8
	s_wait_dscnt 0x1
	v_add_f32_e32 v5, v5, v10
	;; [unrolled: 2-line block ×3, first 2 shown]
	ds_bpermute_b32 v6, v11, v2
	ds_bpermute_b32 v7, v11, v3
	;; [unrolled: 1-line block ×4, first 2 shown]
	v_xor_b32_e32 v11, 4, v0
	s_delay_alu instid0(VALU_DEP_1) | instskip(SKIP_3) | instid1(VALU_DEP_1)
	v_cmp_gt_i32_e32 vcc_lo, 32, v11
	s_wait_alu 0xfffd
	v_cndmask_b32_e32 v11, v0, v11, vcc_lo
	s_wait_dscnt 0x3
	v_dual_add_f32 v2, v2, v6 :: v_dual_lshlrev_b32 v11, 2, v11
	s_wait_dscnt 0x2
	v_add_f32_e32 v3, v3, v7
	s_wait_dscnt 0x1
	v_add_f32_e32 v5, v5, v8
	;; [unrolled: 2-line block ×3, first 2 shown]
	ds_bpermute_b32 v6, v11, v2
	ds_bpermute_b32 v7, v11, v3
	;; [unrolled: 1-line block ×4, first 2 shown]
	v_xor_b32_e32 v11, 2, v0
	s_delay_alu instid0(VALU_DEP_1) | instskip(SKIP_3) | instid1(VALU_DEP_1)
	v_cmp_gt_i32_e32 vcc_lo, 32, v11
	s_wait_alu 0xfffd
	v_cndmask_b32_e32 v11, v0, v11, vcc_lo
	s_wait_dscnt 0x3
	v_dual_add_f32 v2, v2, v6 :: v_dual_lshlrev_b32 v11, 2, v11
	s_wait_dscnt 0x2
	v_add_f32_e32 v3, v3, v7
	s_wait_dscnt 0x1
	v_add_f32_e32 v5, v5, v8
	;; [unrolled: 2-line block ×3, first 2 shown]
	ds_bpermute_b32 v1, v11, v2
	ds_bpermute_b32 v7, v11, v3
	;; [unrolled: 1-line block ×4, first 2 shown]
	v_xor_b32_e32 v11, 1, v0
	s_delay_alu instid0(VALU_DEP_1) | instskip(SKIP_4) | instid1(VALU_DEP_2)
	v_cmp_gt_i32_e32 vcc_lo, 32, v11
	s_wait_alu 0xfffd
	v_cndmask_b32_e32 v0, v0, v11, vcc_lo
	v_cmp_eq_u32_e32 vcc_lo, 63, v9
	s_wait_dscnt 0x3
	v_dual_add_f32 v0, v2, v1 :: v_dual_lshlrev_b32 v11, 2, v0
	s_wait_dscnt 0x1
	v_dual_add_f32 v1, v3, v7 :: v_dual_add_f32 v2, v5, v8
	s_wait_dscnt 0x0
	v_add_f32_e32 v3, v6, v10
	ds_bpermute_b32 v5, v11, v0
	ds_bpermute_b32 v6, v11, v1
	;; [unrolled: 1-line block ×4, first 2 shown]
	s_and_b32 exec_lo, exec_lo, vcc_lo
	s_cbranch_execz .LBB19_23
; %bb.19:
	s_load_b64 s[0:1], s[0:1], 0x38
	s_wait_dscnt 0x2
	v_dual_add_f32 v0, v0, v5 :: v_dual_add_f32 v1, v1, v6
	s_wait_dscnt 0x0
	v_dual_add_f32 v2, v2, v7 :: v_dual_add_f32 v3, v3, v8
	v_lshlrev_b32_e32 v4, 2, v4
	s_delay_alu instid0(VALU_DEP_3) | instskip(NEXT) | instid1(VALU_DEP_3)
	v_dual_mul_f32 v0, s14, v0 :: v_dual_mul_f32 v1, s14, v1
	v_dual_mul_f32 v2, s14, v2 :: v_dual_mul_f32 v3, s14, v3
	s_cmp_eq_f32 s12, 0
	s_cbranch_scc0 .LBB19_21
; %bb.20:
	v_ashrrev_i32_e32 v5, 31, v4
	s_mov_b32 s2, 0
	s_delay_alu instid0(VALU_DEP_1) | instskip(SKIP_1) | instid1(VALU_DEP_1)
	v_lshlrev_b64_e32 v[5:6], 2, v[4:5]
	s_wait_kmcnt 0x0
	v_add_co_u32 v5, vcc_lo, s0, v5
	s_wait_alu 0xfffd
	s_delay_alu instid0(VALU_DEP_2)
	v_add_co_ci_u32_e64 v6, null, s1, v6, vcc_lo
	global_store_b128 v[5:6], v[0:3], off
.LBB19_21:
	s_wait_alu 0xfffe
	s_and_not1_b32 vcc_lo, exec_lo, s2
	s_wait_alu 0xfffe
	s_cbranch_vccnz .LBB19_23
; %bb.22:
	v_ashrrev_i32_e32 v5, 31, v4
	s_delay_alu instid0(VALU_DEP_1) | instskip(SKIP_1) | instid1(VALU_DEP_1)
	v_lshlrev_b64_e32 v[4:5], 2, v[4:5]
	s_wait_kmcnt 0x0
	v_add_co_u32 v8, vcc_lo, s0, v4
	s_wait_alu 0xfffd
	s_delay_alu instid0(VALU_DEP_2)
	v_add_co_ci_u32_e64 v9, null, s1, v5, vcc_lo
	global_load_b128 v[4:7], v[8:9], off
	s_wait_loadcnt 0x0
	v_dual_fmac_f32 v0, s12, v4 :: v_dual_fmac_f32 v1, s12, v5
	v_dual_fmac_f32 v2, s12, v6 :: v_dual_fmac_f32 v3, s12, v7
	global_store_b128 v[8:9], v[0:3], off
.LBB19_23:
	s_endpgm
	.section	.rodata,"a",@progbits
	.p2align	6, 0x0
	.amdhsa_kernel _ZN9rocsparseL19gebsrmvn_4xn_kernelILj128ELj5ELj64EfEEvi20rocsparse_direction_NS_24const_host_device_scalarIT2_EEPKiS6_PKS3_S8_S4_PS3_21rocsparse_index_base_b
		.amdhsa_group_segment_fixed_size 0
		.amdhsa_private_segment_fixed_size 0
		.amdhsa_kernarg_size 72
		.amdhsa_user_sgpr_count 2
		.amdhsa_user_sgpr_dispatch_ptr 0
		.amdhsa_user_sgpr_queue_ptr 0
		.amdhsa_user_sgpr_kernarg_segment_ptr 1
		.amdhsa_user_sgpr_dispatch_id 0
		.amdhsa_user_sgpr_private_segment_size 0
		.amdhsa_wavefront_size32 1
		.amdhsa_uses_dynamic_stack 0
		.amdhsa_enable_private_segment 0
		.amdhsa_system_sgpr_workgroup_id_x 1
		.amdhsa_system_sgpr_workgroup_id_y 0
		.amdhsa_system_sgpr_workgroup_id_z 0
		.amdhsa_system_sgpr_workgroup_info 0
		.amdhsa_system_vgpr_workitem_id 0
		.amdhsa_next_free_vgpr 41
		.amdhsa_next_free_sgpr 18
		.amdhsa_reserve_vcc 1
		.amdhsa_float_round_mode_32 0
		.amdhsa_float_round_mode_16_64 0
		.amdhsa_float_denorm_mode_32 3
		.amdhsa_float_denorm_mode_16_64 3
		.amdhsa_fp16_overflow 0
		.amdhsa_workgroup_processor_mode 1
		.amdhsa_memory_ordered 1
		.amdhsa_forward_progress 1
		.amdhsa_inst_pref_size 24
		.amdhsa_round_robin_scheduling 0
		.amdhsa_exception_fp_ieee_invalid_op 0
		.amdhsa_exception_fp_denorm_src 0
		.amdhsa_exception_fp_ieee_div_zero 0
		.amdhsa_exception_fp_ieee_overflow 0
		.amdhsa_exception_fp_ieee_underflow 0
		.amdhsa_exception_fp_ieee_inexact 0
		.amdhsa_exception_int_div_zero 0
	.end_amdhsa_kernel
	.section	.text._ZN9rocsparseL19gebsrmvn_4xn_kernelILj128ELj5ELj64EfEEvi20rocsparse_direction_NS_24const_host_device_scalarIT2_EEPKiS6_PKS3_S8_S4_PS3_21rocsparse_index_base_b,"axG",@progbits,_ZN9rocsparseL19gebsrmvn_4xn_kernelILj128ELj5ELj64EfEEvi20rocsparse_direction_NS_24const_host_device_scalarIT2_EEPKiS6_PKS3_S8_S4_PS3_21rocsparse_index_base_b,comdat
.Lfunc_end19:
	.size	_ZN9rocsparseL19gebsrmvn_4xn_kernelILj128ELj5ELj64EfEEvi20rocsparse_direction_NS_24const_host_device_scalarIT2_EEPKiS6_PKS3_S8_S4_PS3_21rocsparse_index_base_b, .Lfunc_end19-_ZN9rocsparseL19gebsrmvn_4xn_kernelILj128ELj5ELj64EfEEvi20rocsparse_direction_NS_24const_host_device_scalarIT2_EEPKiS6_PKS3_S8_S4_PS3_21rocsparse_index_base_b
                                        ; -- End function
	.set _ZN9rocsparseL19gebsrmvn_4xn_kernelILj128ELj5ELj64EfEEvi20rocsparse_direction_NS_24const_host_device_scalarIT2_EEPKiS6_PKS3_S8_S4_PS3_21rocsparse_index_base_b.num_vgpr, 41
	.set _ZN9rocsparseL19gebsrmvn_4xn_kernelILj128ELj5ELj64EfEEvi20rocsparse_direction_NS_24const_host_device_scalarIT2_EEPKiS6_PKS3_S8_S4_PS3_21rocsparse_index_base_b.num_agpr, 0
	.set _ZN9rocsparseL19gebsrmvn_4xn_kernelILj128ELj5ELj64EfEEvi20rocsparse_direction_NS_24const_host_device_scalarIT2_EEPKiS6_PKS3_S8_S4_PS3_21rocsparse_index_base_b.numbered_sgpr, 18
	.set _ZN9rocsparseL19gebsrmvn_4xn_kernelILj128ELj5ELj64EfEEvi20rocsparse_direction_NS_24const_host_device_scalarIT2_EEPKiS6_PKS3_S8_S4_PS3_21rocsparse_index_base_b.num_named_barrier, 0
	.set _ZN9rocsparseL19gebsrmvn_4xn_kernelILj128ELj5ELj64EfEEvi20rocsparse_direction_NS_24const_host_device_scalarIT2_EEPKiS6_PKS3_S8_S4_PS3_21rocsparse_index_base_b.private_seg_size, 0
	.set _ZN9rocsparseL19gebsrmvn_4xn_kernelILj128ELj5ELj64EfEEvi20rocsparse_direction_NS_24const_host_device_scalarIT2_EEPKiS6_PKS3_S8_S4_PS3_21rocsparse_index_base_b.uses_vcc, 1
	.set _ZN9rocsparseL19gebsrmvn_4xn_kernelILj128ELj5ELj64EfEEvi20rocsparse_direction_NS_24const_host_device_scalarIT2_EEPKiS6_PKS3_S8_S4_PS3_21rocsparse_index_base_b.uses_flat_scratch, 0
	.set _ZN9rocsparseL19gebsrmvn_4xn_kernelILj128ELj5ELj64EfEEvi20rocsparse_direction_NS_24const_host_device_scalarIT2_EEPKiS6_PKS3_S8_S4_PS3_21rocsparse_index_base_b.has_dyn_sized_stack, 0
	.set _ZN9rocsparseL19gebsrmvn_4xn_kernelILj128ELj5ELj64EfEEvi20rocsparse_direction_NS_24const_host_device_scalarIT2_EEPKiS6_PKS3_S8_S4_PS3_21rocsparse_index_base_b.has_recursion, 0
	.set _ZN9rocsparseL19gebsrmvn_4xn_kernelILj128ELj5ELj64EfEEvi20rocsparse_direction_NS_24const_host_device_scalarIT2_EEPKiS6_PKS3_S8_S4_PS3_21rocsparse_index_base_b.has_indirect_call, 0
	.section	.AMDGPU.csdata,"",@progbits
; Kernel info:
; codeLenInByte = 2992
; TotalNumSgprs: 20
; NumVgprs: 41
; ScratchSize: 0
; MemoryBound: 0
; FloatMode: 240
; IeeeMode: 1
; LDSByteSize: 0 bytes/workgroup (compile time only)
; SGPRBlocks: 0
; VGPRBlocks: 5
; NumSGPRsForWavesPerEU: 20
; NumVGPRsForWavesPerEU: 41
; Occupancy: 16
; WaveLimiterHint : 1
; COMPUTE_PGM_RSRC2:SCRATCH_EN: 0
; COMPUTE_PGM_RSRC2:USER_SGPR: 2
; COMPUTE_PGM_RSRC2:TRAP_HANDLER: 0
; COMPUTE_PGM_RSRC2:TGID_X_EN: 1
; COMPUTE_PGM_RSRC2:TGID_Y_EN: 0
; COMPUTE_PGM_RSRC2:TGID_Z_EN: 0
; COMPUTE_PGM_RSRC2:TIDIG_COMP_CNT: 0
	.section	.text._ZN9rocsparseL19gebsrmvn_4xn_kernelILj128ELj6ELj4EfEEvi20rocsparse_direction_NS_24const_host_device_scalarIT2_EEPKiS6_PKS3_S8_S4_PS3_21rocsparse_index_base_b,"axG",@progbits,_ZN9rocsparseL19gebsrmvn_4xn_kernelILj128ELj6ELj4EfEEvi20rocsparse_direction_NS_24const_host_device_scalarIT2_EEPKiS6_PKS3_S8_S4_PS3_21rocsparse_index_base_b,comdat
	.globl	_ZN9rocsparseL19gebsrmvn_4xn_kernelILj128ELj6ELj4EfEEvi20rocsparse_direction_NS_24const_host_device_scalarIT2_EEPKiS6_PKS3_S8_S4_PS3_21rocsparse_index_base_b ; -- Begin function _ZN9rocsparseL19gebsrmvn_4xn_kernelILj128ELj6ELj4EfEEvi20rocsparse_direction_NS_24const_host_device_scalarIT2_EEPKiS6_PKS3_S8_S4_PS3_21rocsparse_index_base_b
	.p2align	8
	.type	_ZN9rocsparseL19gebsrmvn_4xn_kernelILj128ELj6ELj4EfEEvi20rocsparse_direction_NS_24const_host_device_scalarIT2_EEPKiS6_PKS3_S8_S4_PS3_21rocsparse_index_base_b,@function
_ZN9rocsparseL19gebsrmvn_4xn_kernelILj128ELj6ELj4EfEEvi20rocsparse_direction_NS_24const_host_device_scalarIT2_EEPKiS6_PKS3_S8_S4_PS3_21rocsparse_index_base_b: ; @_ZN9rocsparseL19gebsrmvn_4xn_kernelILj128ELj6ELj4EfEEvi20rocsparse_direction_NS_24const_host_device_scalarIT2_EEPKiS6_PKS3_S8_S4_PS3_21rocsparse_index_base_b
; %bb.0:
	s_clause 0x2
	s_load_b64 s[16:17], s[0:1], 0x40
	s_load_b64 s[14:15], s[0:1], 0x8
	;; [unrolled: 1-line block ×3, first 2 shown]
	s_wait_kmcnt 0x0
	s_bitcmp1_b32 s17, 0
	s_cselect_b32 s2, -1, 0
	s_delay_alu instid0(SALU_CYCLE_1)
	s_and_b32 vcc_lo, exec_lo, s2
	s_xor_b32 s2, s2, -1
	s_cbranch_vccnz .LBB20_2
; %bb.1:
	s_load_b32 s14, s[14:15], 0x0
.LBB20_2:
	s_and_not1_b32 vcc_lo, exec_lo, s2
	s_cbranch_vccnz .LBB20_4
; %bb.3:
	s_load_b32 s12, s[12:13], 0x0
.LBB20_4:
	s_wait_kmcnt 0x0
	s_cmp_eq_f32 s14, 0
	s_cselect_b32 s2, -1, 0
	s_cmp_eq_f32 s12, 1.0
	s_cselect_b32 s3, -1, 0
	s_delay_alu instid0(SALU_CYCLE_1) | instskip(NEXT) | instid1(SALU_CYCLE_1)
	s_and_b32 s2, s2, s3
	s_and_b32 vcc_lo, exec_lo, s2
	s_cbranch_vccnz .LBB20_23
; %bb.5:
	s_load_b64 s[2:3], s[0:1], 0x0
	v_lshrrev_b32_e32 v1, 2, v0
	s_delay_alu instid0(VALU_DEP_1) | instskip(SKIP_1) | instid1(VALU_DEP_1)
	v_lshl_or_b32 v4, ttmp9, 5, v1
	s_wait_kmcnt 0x0
	v_cmp_gt_i32_e32 vcc_lo, s2, v4
	s_and_saveexec_b32 s2, vcc_lo
	s_cbranch_execz .LBB20_23
; %bb.6:
	s_load_b256 s[4:11], s[0:1], 0x10
	v_ashrrev_i32_e32 v5, 31, v4
	v_and_b32_e32 v9, 3, v0
	s_cmp_lg_u32 s3, 0
	s_delay_alu instid0(VALU_DEP_2) | instskip(SKIP_1) | instid1(VALU_DEP_1)
	v_lshlrev_b64_e32 v[1:2], 2, v[4:5]
	s_wait_kmcnt 0x0
	v_add_co_u32 v1, vcc_lo, s4, v1
	s_delay_alu instid0(VALU_DEP_1) | instskip(SKIP_4) | instid1(VALU_DEP_2)
	v_add_co_ci_u32_e64 v2, null, s5, v2, vcc_lo
	global_load_b64 v[1:2], v[1:2], off
	s_wait_loadcnt 0x0
	v_subrev_nc_u32_e32 v0, s16, v1
	v_subrev_nc_u32_e32 v14, s16, v2
	v_add_nc_u32_e32 v0, v0, v9
	s_delay_alu instid0(VALU_DEP_1)
	v_cmp_lt_i32_e64 s2, v0, v14
	s_cbranch_scc0 .LBB20_12
; %bb.7:
	v_dual_mov_b32 v10, 0 :: v_dual_mov_b32 v11, 0
	v_dual_mov_b32 v12, 0 :: v_dual_mov_b32 v13, 0
	s_and_saveexec_b32 s3, s2
	s_cbranch_execz .LBB20_11
; %bb.8:
	v_mad_co_u64_u32 v[1:2], null, v0, 24, 20
	v_dual_mov_b32 v6, 0 :: v_dual_mov_b32 v7, v0
	v_dual_mov_b32 v10, 0 :: v_dual_mov_b32 v11, 0
	;; [unrolled: 1-line block ×3, first 2 shown]
	s_mov_b32 s4, 0
.LBB20_9:                               ; =>This Inner Loop Header: Depth=1
	s_delay_alu instid0(VALU_DEP_3) | instskip(SKIP_1) | instid1(VALU_DEP_2)
	v_ashrrev_i32_e32 v8, 31, v7
	v_subrev_nc_u32_e32 v5, 20, v1
	v_lshlrev_b64_e32 v[2:3], 2, v[7:8]
	s_delay_alu instid0(VALU_DEP_2) | instskip(SKIP_2) | instid1(VALU_DEP_4)
	v_lshlrev_b64_e32 v[15:16], 2, v[5:6]
	v_add_nc_u32_e32 v5, -12, v1
	v_add_nc_u32_e32 v7, 4, v7
	v_add_co_u32 v2, vcc_lo, s6, v2
	s_wait_alu 0xfffd
	v_add_co_ci_u32_e64 v3, null, s7, v3, vcc_lo
	v_lshlrev_b64_e32 v[19:20], 2, v[5:6]
	v_add_co_u32 v21, vcc_lo, s8, v15
	global_load_b32 v8, v[2:3], off
	v_dual_mov_b32 v3, v6 :: v_dual_mov_b32 v2, v6
	s_wait_alu 0xfffd
	v_add_co_ci_u32_e64 v22, null, s9, v16, vcc_lo
	s_delay_alu instid0(VALU_DEP_2) | instskip(NEXT) | instid1(VALU_DEP_1)
	v_lshlrev_b64_e32 v[17:18], 2, v[1:2]
	v_add_co_u32 v35, vcc_lo, s8, v17
	s_wait_alu 0xfffd
	s_delay_alu instid0(VALU_DEP_2)
	v_add_co_ci_u32_e64 v36, null, s9, v18, vcc_lo
	v_add_co_u32 v23, vcc_lo, s8, v19
	s_wait_alu 0xfffd
	v_add_co_ci_u32_e64 v24, null, s9, v20, vcc_lo
	s_clause 0x2
	global_load_b128 v[15:18], v[21:22], off offset:16
	global_load_b128 v[19:22], v[21:22], off
	global_load_b128 v[23:26], v[23:24], off
	s_wait_loadcnt 0x3
	v_subrev_nc_u32_e32 v2, s16, v8
	s_delay_alu instid0(VALU_DEP_1) | instskip(NEXT) | instid1(VALU_DEP_1)
	v_mul_lo_u32 v2, v2, 6
	v_lshlrev_b64_e32 v[27:28], 2, v[2:3]
	s_delay_alu instid0(VALU_DEP_1) | instskip(SKIP_1) | instid1(VALU_DEP_2)
	v_add_co_u32 v27, vcc_lo, s10, v27
	s_wait_alu 0xfffd
	v_add_co_ci_u32_e64 v28, null, s11, v28, vcc_lo
	global_load_b64 v[39:40], v[27:28], off
	s_wait_loadcnt 0x0
	v_dual_fmac_f32 v12, v21, v39 :: v_dual_add_nc_u32 v5, 2, v2
	s_delay_alu instid0(VALU_DEP_1) | instskip(SKIP_1) | instid1(VALU_DEP_3)
	v_lshlrev_b64_e32 v[29:30], 2, v[5:6]
	v_dual_fmac_f32 v10, v19, v39 :: v_dual_add_nc_u32 v5, -8, v1
	v_fmac_f32_e32 v12, v17, v40
	s_delay_alu instid0(VALU_DEP_3) | instskip(SKIP_1) | instid1(VALU_DEP_4)
	v_add_co_u32 v27, vcc_lo, s10, v29
	s_wait_alu 0xfffd
	v_add_co_ci_u32_e64 v28, null, s11, v30, vcc_lo
	v_fmac_f32_e32 v10, v15, v40
	v_lshlrev_b64_e32 v[31:32], 2, v[5:6]
	v_add_nc_u32_e32 v5, -4, v1
	global_load_b64 v[41:42], v[27:28], off
	v_fmac_f32_e32 v13, v20, v39
	v_add_nc_u32_e32 v1, 0x60, v1
	v_lshlrev_b64_e32 v[33:34], 2, v[5:6]
	v_add_nc_u32_e32 v5, 4, v2
	v_add_co_u32 v2, vcc_lo, s8, v31
	s_wait_alu 0xfffd
	v_add_co_ci_u32_e64 v3, null, s9, v32, vcc_lo
	global_load_b128 v[27:30], v[2:3], off
	v_add_co_u32 v2, vcc_lo, s8, v33
	s_wait_alu 0xfffd
	v_add_co_ci_u32_e64 v3, null, s9, v34, vcc_lo
	s_wait_loadcnt 0x1
	v_fmac_f32_e32 v10, v23, v41
	v_lshlrev_b64_e32 v[31:32], 2, v[5:6]
	v_dual_fmac_f32 v11, v22, v39 :: v_dual_fmac_f32 v12, v25, v41
	v_fmac_f32_e32 v13, v16, v40
	s_delay_alu instid0(VALU_DEP_3) | instskip(SKIP_1) | instid1(VALU_DEP_4)
	v_add_co_u32 v37, vcc_lo, s10, v31
	s_wait_alu 0xfffd
	v_add_co_ci_u32_e64 v38, null, s11, v32, vcc_lo
	global_load_b128 v[31:34], v[2:3], off
	global_load_b64 v[2:3], v[37:38], off
	global_load_b128 v[35:38], v[35:36], off
	s_wait_loadcnt 0x3
	v_dual_fmac_f32 v10, v27, v42 :: v_dual_fmac_f32 v11, v18, v40
	v_dual_fmac_f32 v12, v29, v42 :: v_dual_fmac_f32 v13, v24, v41
	v_cmp_ge_i32_e32 vcc_lo, v7, v14
	s_wait_alu 0xfffe
	s_or_b32 s4, vcc_lo, s4
	s_wait_loadcnt 0x1
	v_dual_fmac_f32 v10, v31, v2 :: v_dual_fmac_f32 v11, v26, v41
	v_fmac_f32_e32 v12, v33, v2
	s_wait_loadcnt 0x0
	s_delay_alu instid0(VALU_DEP_2) | instskip(NEXT) | instid1(VALU_DEP_2)
	v_dual_fmac_f32 v13, v28, v42 :: v_dual_fmac_f32 v10, v35, v3
	v_dual_fmac_f32 v11, v30, v42 :: v_dual_fmac_f32 v12, v37, v3
	s_delay_alu instid0(VALU_DEP_2) | instskip(NEXT) | instid1(VALU_DEP_2)
	v_fmac_f32_e32 v13, v32, v2
	v_fmac_f32_e32 v11, v34, v2
	s_delay_alu instid0(VALU_DEP_2) | instskip(NEXT) | instid1(VALU_DEP_2)
	v_fmac_f32_e32 v13, v36, v3
	v_fmac_f32_e32 v11, v38, v3
	s_wait_alu 0xfffe
	s_and_not1_b32 exec_lo, exec_lo, s4
	s_cbranch_execnz .LBB20_9
; %bb.10:
	s_or_b32 exec_lo, exec_lo, s4
.LBB20_11:
	s_wait_alu 0xfffe
	s_or_b32 exec_lo, exec_lo, s3
	s_cbranch_execz .LBB20_13
	s_branch .LBB20_18
.LBB20_12:
                                        ; implicit-def: $vgpr10
                                        ; implicit-def: $vgpr11
                                        ; implicit-def: $vgpr12
                                        ; implicit-def: $vgpr13
.LBB20_13:
	v_dual_mov_b32 v10, 0 :: v_dual_mov_b32 v11, 0
	v_dual_mov_b32 v12, 0 :: v_dual_mov_b32 v13, 0
	s_and_saveexec_b32 s3, s2
	s_cbranch_execz .LBB20_17
; %bb.14:
	v_mad_co_u64_u32 v[2:3], null, v0, 24, 23
	v_dual_mov_b32 v6, 0 :: v_dual_mov_b32 v11, 0
	v_dual_mov_b32 v10, 0 :: v_dual_mov_b32 v13, 0
	v_mov_b32_e32 v12, 0
	s_mov_b32 s2, 0
.LBB20_15:                              ; =>This Inner Loop Header: Depth=1
	v_ashrrev_i32_e32 v1, 31, v0
	v_subrev_nc_u32_e32 v5, 23, v2
	v_dual_mov_b32 v16, v6 :: v_dual_add_nc_u32 v15, -5, v2
	v_mov_b32_e32 v3, v6
	s_delay_alu instid0(VALU_DEP_4) | instskip(NEXT) | instid1(VALU_DEP_4)
	v_lshlrev_b64_e32 v[7:8], 2, v[0:1]
	v_lshlrev_b64_e32 v[17:18], 2, v[5:6]
	v_mov_b32_e32 v24, v6
	v_add_nc_u32_e32 v0, 4, v0
	v_lshlrev_b64_e32 v[19:20], 2, v[2:3]
	v_add_co_u32 v7, vcc_lo, s6, v7
	s_wait_alu 0xfffd
	v_add_co_ci_u32_e64 v8, null, s7, v8, vcc_lo
	v_add_co_u32 v21, vcc_lo, s8, v17
	s_wait_alu 0xfffd
	v_add_co_ci_u32_e64 v22, null, s9, v18, vcc_lo
	global_load_b32 v1, v[7:8], off
	v_dual_mov_b32 v8, v6 :: v_dual_add_nc_u32 v7, -11, v2
	v_lshlrev_b64_e32 v[15:16], 2, v[15:16]
	s_delay_alu instid0(VALU_DEP_2) | instskip(NEXT) | instid1(VALU_DEP_1)
	v_lshlrev_b64_e32 v[7:8], 2, v[7:8]
	v_add_co_u32 v7, vcc_lo, s8, v7
	s_wait_alu 0xfffd
	s_delay_alu instid0(VALU_DEP_2) | instskip(NEXT) | instid1(VALU_DEP_4)
	v_add_co_ci_u32_e64 v8, null, s9, v8, vcc_lo
	v_add_co_u32 v27, vcc_lo, s8, v15
	s_wait_alu 0xfffd
	v_add_co_ci_u32_e64 v28, null, s9, v16, vcc_lo
	v_add_co_u32 v29, vcc_lo, s8, v19
	s_wait_alu 0xfffd
	v_add_co_ci_u32_e64 v30, null, s9, v20, vcc_lo
	s_clause 0x3
	global_load_b128 v[15:18], v[21:22], off offset:16
	global_load_b128 v[19:22], v[21:22], off
	global_load_b32 v3, v[7:8], off
	global_load_b32 v28, v[27:28], off
	v_add_nc_u32_e32 v5, -10, v2
	s_delay_alu instid0(VALU_DEP_1) | instskip(SKIP_1) | instid1(VALU_DEP_1)
	v_lshlrev_b64_e32 v[25:26], 2, v[5:6]
	v_add_nc_u32_e32 v5, -4, v2
	v_lshlrev_b64_e32 v[31:32], 2, v[5:6]
	s_delay_alu instid0(VALU_DEP_3) | instskip(SKIP_1) | instid1(VALU_DEP_4)
	v_add_co_u32 v7, vcc_lo, s8, v25
	s_wait_alu 0xfffd
	v_add_co_ci_u32_e64 v8, null, s9, v26, vcc_lo
	s_delay_alu instid0(VALU_DEP_3)
	v_add_co_u32 v25, vcc_lo, s8, v31
	s_wait_alu 0xfffd
	v_add_co_ci_u32_e64 v26, null, s9, v32, vcc_lo
	s_clause 0x1
	global_load_b32 v37, v[7:8], off
	global_load_b32 v38, v[25:26], off
	s_wait_loadcnt 0x6
	v_subrev_nc_u32_e32 v1, s16, v1
	s_delay_alu instid0(VALU_DEP_1) | instskip(NEXT) | instid1(VALU_DEP_1)
	v_mul_lo_u32 v23, v1, 6
	v_lshlrev_b64_e32 v[7:8], 2, v[23:24]
	s_delay_alu instid0(VALU_DEP_1) | instskip(SKIP_1) | instid1(VALU_DEP_2)
	v_add_co_u32 v7, vcc_lo, s10, v7
	s_wait_alu 0xfffd
	v_add_co_ci_u32_e64 v8, null, s11, v8, vcc_lo
	global_load_b64 v[7:8], v[7:8], off
	v_add_nc_u32_e32 v5, 2, v23
	s_delay_alu instid0(VALU_DEP_1) | instskip(NEXT) | instid1(VALU_DEP_1)
	v_lshlrev_b64_e32 v[24:25], 2, v[5:6]
	v_add_co_u32 v24, vcc_lo, s10, v24
	s_wait_alu 0xfffd
	s_delay_alu instid0(VALU_DEP_2)
	v_add_co_ci_u32_e64 v25, null, s11, v25, vcc_lo
	global_load_b64 v[24:25], v[24:25], off
	s_wait_loadcnt 0x1
	v_fmac_f32_e32 v10, v19, v7
	v_dual_fmac_f32 v12, v3, v7 :: v_dual_add_nc_u32 v5, -15, v2
	v_fmac_f32_e32 v13, v17, v7
	v_fmac_f32_e32 v11, v28, v7
	s_delay_alu instid0(VALU_DEP_4) | instskip(NEXT) | instid1(VALU_DEP_4)
	v_fmac_f32_e32 v10, v20, v8
	v_fmac_f32_e32 v12, v37, v8
	v_lshlrev_b64_e32 v[26:27], 2, v[5:6]
	v_add_nc_u32_e32 v5, -9, v2
	v_fmac_f32_e32 v13, v18, v8
	s_delay_alu instid0(VALU_DEP_3) | instskip(SKIP_1) | instid1(VALU_DEP_4)
	v_add_co_u32 v26, vcc_lo, s8, v26
	s_wait_alu 0xfffd
	v_add_co_ci_u32_e64 v27, null, s9, v27, vcc_lo
	s_wait_loadcnt 0x0
	v_fmac_f32_e32 v10, v21, v24
	v_lshlrev_b64_e32 v[31:32], 2, v[5:6]
	global_load_b32 v1, v[26:27], off
	v_fmac_f32_e32 v10, v22, v25
	v_add_co_u32 v31, vcc_lo, s8, v31
	s_wait_alu 0xfffd
	v_add_co_ci_u32_e64 v32, null, s9, v32, vcc_lo
	global_load_b32 v39, v[31:32], off
	v_add_nc_u32_e32 v5, -3, v2
	s_wait_loadcnt 0x1
	v_fmac_f32_e32 v13, v1, v24
	s_wait_loadcnt 0x0
	v_fmac_f32_e32 v12, v39, v24
	v_lshlrev_b64_e32 v[33:34], 2, v[5:6]
	v_add_nc_u32_e32 v5, -14, v2
	s_delay_alu instid0(VALU_DEP_1) | instskip(SKIP_1) | instid1(VALU_DEP_4)
	v_lshlrev_b64_e32 v[26:27], 2, v[5:6]
	v_add_nc_u32_e32 v5, -8, v2
	v_add_co_u32 v31, vcc_lo, s8, v33
	s_wait_alu 0xfffd
	v_add_co_ci_u32_e64 v32, null, s9, v34, vcc_lo
	s_delay_alu instid0(VALU_DEP_4)
	v_add_co_u32 v26, vcc_lo, s8, v26
	v_lshlrev_b64_e32 v[33:34], 2, v[5:6]
	v_add_nc_u32_e32 v5, -2, v2
	s_wait_alu 0xfffd
	v_add_co_ci_u32_e64 v27, null, s9, v27, vcc_lo
	global_load_b32 v40, v[31:32], off
	v_lshlrev_b64_e32 v[31:32], 2, v[5:6]
	v_add_nc_u32_e32 v5, 4, v23
	global_load_b32 v23, v[26:27], off
	v_add_co_u32 v26, vcc_lo, s8, v33
	s_wait_alu 0xfffd
	v_add_co_ci_u32_e64 v27, null, s9, v34, vcc_lo
	v_add_co_u32 v31, vcc_lo, s8, v31
	v_lshlrev_b64_e32 v[33:34], 2, v[5:6]
	global_load_b32 v41, v[26:27], off
	s_wait_alu 0xfffd
	v_add_co_ci_u32_e64 v32, null, s9, v32, vcc_lo
	global_load_b32 v42, v[31:32], off
	v_add_co_u32 v31, vcc_lo, s10, v33
	s_wait_alu 0xfffd
	v_add_co_ci_u32_e64 v32, null, s11, v34, vcc_lo
	global_load_b64 v[31:32], v[31:32], off
	s_wait_loadcnt 0x3
	v_fmac_f32_e32 v13, v23, v25
	s_wait_loadcnt 0x2
	v_dual_fmac_f32 v12, v41, v25 :: v_dual_add_nc_u32 v5, -13, v2
	s_delay_alu instid0(VALU_DEP_1) | instskip(SKIP_1) | instid1(VALU_DEP_1)
	v_lshlrev_b64_e32 v[26:27], 2, v[5:6]
	v_add_nc_u32_e32 v5, -7, v2
	v_lshlrev_b64_e32 v[33:34], 2, v[5:6]
	v_add_nc_u32_e32 v5, -1, v2
	s_delay_alu instid0(VALU_DEP_4) | instskip(SKIP_2) | instid1(VALU_DEP_3)
	v_add_co_u32 v26, vcc_lo, s8, v26
	s_wait_alu 0xfffd
	v_add_co_ci_u32_e64 v27, null, s9, v27, vcc_lo
	v_lshlrev_b64_e32 v[35:36], 2, v[5:6]
	s_wait_loadcnt 0x0
	v_dual_fmac_f32 v10, v15, v31 :: v_dual_add_nc_u32 v5, -12, v2
	global_load_b32 v43, v[26:27], off
	v_add_co_u32 v26, vcc_lo, s8, v33
	s_wait_alu 0xfffd
	v_add_co_ci_u32_e64 v27, null, s9, v34, vcc_lo
	v_lshlrev_b64_e32 v[33:34], 2, v[5:6]
	v_add_nc_u32_e32 v5, -6, v2
	v_add_co_u32 v35, vcc_lo, s8, v35
	global_load_b32 v44, v[26:27], off
	s_wait_alu 0xfffd
	v_add_co_ci_u32_e64 v36, null, s9, v36, vcc_lo
	v_lshlrev_b64_e32 v[26:27], 2, v[5:6]
	v_add_co_u32 v33, vcc_lo, s8, v33
	s_wait_alu 0xfffd
	v_add_co_ci_u32_e64 v34, null, s9, v34, vcc_lo
	global_load_b32 v5, v[35:36], off
	v_add_co_u32 v26, vcc_lo, s8, v26
	s_wait_alu 0xfffd
	v_add_co_ci_u32_e64 v27, null, s9, v27, vcc_lo
	s_clause 0x2
	global_load_b32 v33, v[33:34], off
	global_load_b32 v26, v[26:27], off
	;; [unrolled: 1-line block ×3, first 2 shown]
	v_dual_fmac_f32 v11, v38, v8 :: v_dual_add_nc_u32 v2, 0x60, v2
	v_cmp_ge_i32_e32 vcc_lo, v0, v14
	v_fmac_f32_e32 v10, v16, v32
	s_delay_alu instid0(VALU_DEP_3) | instskip(SKIP_2) | instid1(VALU_DEP_1)
	v_fmac_f32_e32 v11, v40, v24
	s_wait_alu 0xfffe
	s_or_b32 s2, vcc_lo, s2
	v_fmac_f32_e32 v11, v42, v25
	s_wait_loadcnt 0x5
	v_fmac_f32_e32 v13, v43, v31
	s_wait_loadcnt 0x4
	;; [unrolled: 2-line block ×6, first 2 shown]
	v_fmac_f32_e32 v11, v27, v32
	s_wait_alu 0xfffe
	s_and_not1_b32 exec_lo, exec_lo, s2
	s_cbranch_execnz .LBB20_15
; %bb.16:
	s_or_b32 exec_lo, exec_lo, s2
.LBB20_17:
	s_wait_alu 0xfffe
	s_or_b32 exec_lo, exec_lo, s3
.LBB20_18:
	v_mbcnt_lo_u32_b32 v0, -1, 0
	s_mov_b32 s2, -1
	s_delay_alu instid0(VALU_DEP_1) | instskip(NEXT) | instid1(VALU_DEP_1)
	v_xor_b32_e32 v1, 2, v0
	v_cmp_gt_i32_e32 vcc_lo, 32, v1
	s_wait_alu 0xfffd
	v_cndmask_b32_e32 v1, v0, v1, vcc_lo
	s_delay_alu instid0(VALU_DEP_1)
	v_lshlrev_b32_e32 v1, 2, v1
	ds_bpermute_b32 v2, v1, v10
	ds_bpermute_b32 v3, v1, v13
	;; [unrolled: 1-line block ×4, first 2 shown]
	v_xor_b32_e32 v1, 1, v0
	s_delay_alu instid0(VALU_DEP_1) | instskip(SKIP_4) | instid1(VALU_DEP_2)
	v_cmp_gt_i32_e32 vcc_lo, 32, v1
	s_wait_alu 0xfffd
	v_cndmask_b32_e32 v0, v0, v1, vcc_lo
	v_cmp_eq_u32_e32 vcc_lo, 3, v9
	s_wait_dscnt 0x2
	v_dual_add_f32 v1, v13, v3 :: v_dual_lshlrev_b32 v8, 2, v0
	v_add_f32_e32 v0, v10, v2
	s_wait_dscnt 0x0
	v_dual_add_f32 v2, v12, v5 :: v_dual_add_f32 v3, v11, v6
	ds_bpermute_b32 v6, v8, v1
	ds_bpermute_b32 v5, v8, v0
	;; [unrolled: 1-line block ×4, first 2 shown]
	s_and_b32 exec_lo, exec_lo, vcc_lo
	s_cbranch_execz .LBB20_23
; %bb.19:
	s_load_b64 s[0:1], s[0:1], 0x38
	s_wait_dscnt 0x2
	v_dual_add_f32 v0, v0, v5 :: v_dual_add_f32 v1, v1, v6
	s_wait_dscnt 0x0
	v_dual_add_f32 v2, v2, v7 :: v_dual_add_f32 v3, v3, v8
	v_lshlrev_b32_e32 v4, 2, v4
	s_delay_alu instid0(VALU_DEP_3) | instskip(NEXT) | instid1(VALU_DEP_3)
	v_dual_mul_f32 v0, s14, v0 :: v_dual_mul_f32 v1, s14, v1
	v_dual_mul_f32 v2, s14, v2 :: v_dual_mul_f32 v3, s14, v3
	s_cmp_eq_f32 s12, 0
	s_cbranch_scc0 .LBB20_21
; %bb.20:
	v_ashrrev_i32_e32 v5, 31, v4
	s_mov_b32 s2, 0
	s_delay_alu instid0(VALU_DEP_1) | instskip(SKIP_1) | instid1(VALU_DEP_1)
	v_lshlrev_b64_e32 v[5:6], 2, v[4:5]
	s_wait_kmcnt 0x0
	v_add_co_u32 v5, vcc_lo, s0, v5
	s_wait_alu 0xfffd
	s_delay_alu instid0(VALU_DEP_2)
	v_add_co_ci_u32_e64 v6, null, s1, v6, vcc_lo
	global_store_b128 v[5:6], v[0:3], off
.LBB20_21:
	s_wait_alu 0xfffe
	s_and_not1_b32 vcc_lo, exec_lo, s2
	s_wait_alu 0xfffe
	s_cbranch_vccnz .LBB20_23
; %bb.22:
	v_ashrrev_i32_e32 v5, 31, v4
	s_delay_alu instid0(VALU_DEP_1) | instskip(SKIP_1) | instid1(VALU_DEP_1)
	v_lshlrev_b64_e32 v[4:5], 2, v[4:5]
	s_wait_kmcnt 0x0
	v_add_co_u32 v8, vcc_lo, s0, v4
	s_wait_alu 0xfffd
	s_delay_alu instid0(VALU_DEP_2)
	v_add_co_ci_u32_e64 v9, null, s1, v5, vcc_lo
	global_load_b128 v[4:7], v[8:9], off
	s_wait_loadcnt 0x0
	v_dual_fmac_f32 v0, s12, v4 :: v_dual_fmac_f32 v1, s12, v5
	v_dual_fmac_f32 v2, s12, v6 :: v_dual_fmac_f32 v3, s12, v7
	global_store_b128 v[8:9], v[0:3], off
.LBB20_23:
	s_endpgm
	.section	.rodata,"a",@progbits
	.p2align	6, 0x0
	.amdhsa_kernel _ZN9rocsparseL19gebsrmvn_4xn_kernelILj128ELj6ELj4EfEEvi20rocsparse_direction_NS_24const_host_device_scalarIT2_EEPKiS6_PKS3_S8_S4_PS3_21rocsparse_index_base_b
		.amdhsa_group_segment_fixed_size 0
		.amdhsa_private_segment_fixed_size 0
		.amdhsa_kernarg_size 72
		.amdhsa_user_sgpr_count 2
		.amdhsa_user_sgpr_dispatch_ptr 0
		.amdhsa_user_sgpr_queue_ptr 0
		.amdhsa_user_sgpr_kernarg_segment_ptr 1
		.amdhsa_user_sgpr_dispatch_id 0
		.amdhsa_user_sgpr_private_segment_size 0
		.amdhsa_wavefront_size32 1
		.amdhsa_uses_dynamic_stack 0
		.amdhsa_enable_private_segment 0
		.amdhsa_system_sgpr_workgroup_id_x 1
		.amdhsa_system_sgpr_workgroup_id_y 0
		.amdhsa_system_sgpr_workgroup_id_z 0
		.amdhsa_system_sgpr_workgroup_info 0
		.amdhsa_system_vgpr_workitem_id 0
		.amdhsa_next_free_vgpr 45
		.amdhsa_next_free_sgpr 18
		.amdhsa_reserve_vcc 1
		.amdhsa_float_round_mode_32 0
		.amdhsa_float_round_mode_16_64 0
		.amdhsa_float_denorm_mode_32 3
		.amdhsa_float_denorm_mode_16_64 3
		.amdhsa_fp16_overflow 0
		.amdhsa_workgroup_processor_mode 1
		.amdhsa_memory_ordered 1
		.amdhsa_forward_progress 1
		.amdhsa_inst_pref_size 20
		.amdhsa_round_robin_scheduling 0
		.amdhsa_exception_fp_ieee_invalid_op 0
		.amdhsa_exception_fp_denorm_src 0
		.amdhsa_exception_fp_ieee_div_zero 0
		.amdhsa_exception_fp_ieee_overflow 0
		.amdhsa_exception_fp_ieee_underflow 0
		.amdhsa_exception_fp_ieee_inexact 0
		.amdhsa_exception_int_div_zero 0
	.end_amdhsa_kernel
	.section	.text._ZN9rocsparseL19gebsrmvn_4xn_kernelILj128ELj6ELj4EfEEvi20rocsparse_direction_NS_24const_host_device_scalarIT2_EEPKiS6_PKS3_S8_S4_PS3_21rocsparse_index_base_b,"axG",@progbits,_ZN9rocsparseL19gebsrmvn_4xn_kernelILj128ELj6ELj4EfEEvi20rocsparse_direction_NS_24const_host_device_scalarIT2_EEPKiS6_PKS3_S8_S4_PS3_21rocsparse_index_base_b,comdat
.Lfunc_end20:
	.size	_ZN9rocsparseL19gebsrmvn_4xn_kernelILj128ELj6ELj4EfEEvi20rocsparse_direction_NS_24const_host_device_scalarIT2_EEPKiS6_PKS3_S8_S4_PS3_21rocsparse_index_base_b, .Lfunc_end20-_ZN9rocsparseL19gebsrmvn_4xn_kernelILj128ELj6ELj4EfEEvi20rocsparse_direction_NS_24const_host_device_scalarIT2_EEPKiS6_PKS3_S8_S4_PS3_21rocsparse_index_base_b
                                        ; -- End function
	.set _ZN9rocsparseL19gebsrmvn_4xn_kernelILj128ELj6ELj4EfEEvi20rocsparse_direction_NS_24const_host_device_scalarIT2_EEPKiS6_PKS3_S8_S4_PS3_21rocsparse_index_base_b.num_vgpr, 45
	.set _ZN9rocsparseL19gebsrmvn_4xn_kernelILj128ELj6ELj4EfEEvi20rocsparse_direction_NS_24const_host_device_scalarIT2_EEPKiS6_PKS3_S8_S4_PS3_21rocsparse_index_base_b.num_agpr, 0
	.set _ZN9rocsparseL19gebsrmvn_4xn_kernelILj128ELj6ELj4EfEEvi20rocsparse_direction_NS_24const_host_device_scalarIT2_EEPKiS6_PKS3_S8_S4_PS3_21rocsparse_index_base_b.numbered_sgpr, 18
	.set _ZN9rocsparseL19gebsrmvn_4xn_kernelILj128ELj6ELj4EfEEvi20rocsparse_direction_NS_24const_host_device_scalarIT2_EEPKiS6_PKS3_S8_S4_PS3_21rocsparse_index_base_b.num_named_barrier, 0
	.set _ZN9rocsparseL19gebsrmvn_4xn_kernelILj128ELj6ELj4EfEEvi20rocsparse_direction_NS_24const_host_device_scalarIT2_EEPKiS6_PKS3_S8_S4_PS3_21rocsparse_index_base_b.private_seg_size, 0
	.set _ZN9rocsparseL19gebsrmvn_4xn_kernelILj128ELj6ELj4EfEEvi20rocsparse_direction_NS_24const_host_device_scalarIT2_EEPKiS6_PKS3_S8_S4_PS3_21rocsparse_index_base_b.uses_vcc, 1
	.set _ZN9rocsparseL19gebsrmvn_4xn_kernelILj128ELj6ELj4EfEEvi20rocsparse_direction_NS_24const_host_device_scalarIT2_EEPKiS6_PKS3_S8_S4_PS3_21rocsparse_index_base_b.uses_flat_scratch, 0
	.set _ZN9rocsparseL19gebsrmvn_4xn_kernelILj128ELj6ELj4EfEEvi20rocsparse_direction_NS_24const_host_device_scalarIT2_EEPKiS6_PKS3_S8_S4_PS3_21rocsparse_index_base_b.has_dyn_sized_stack, 0
	.set _ZN9rocsparseL19gebsrmvn_4xn_kernelILj128ELj6ELj4EfEEvi20rocsparse_direction_NS_24const_host_device_scalarIT2_EEPKiS6_PKS3_S8_S4_PS3_21rocsparse_index_base_b.has_recursion, 0
	.set _ZN9rocsparseL19gebsrmvn_4xn_kernelILj128ELj6ELj4EfEEvi20rocsparse_direction_NS_24const_host_device_scalarIT2_EEPKiS6_PKS3_S8_S4_PS3_21rocsparse_index_base_b.has_indirect_call, 0
	.section	.AMDGPU.csdata,"",@progbits
; Kernel info:
; codeLenInByte = 2520
; TotalNumSgprs: 20
; NumVgprs: 45
; ScratchSize: 0
; MemoryBound: 0
; FloatMode: 240
; IeeeMode: 1
; LDSByteSize: 0 bytes/workgroup (compile time only)
; SGPRBlocks: 0
; VGPRBlocks: 5
; NumSGPRsForWavesPerEU: 20
; NumVGPRsForWavesPerEU: 45
; Occupancy: 16
; WaveLimiterHint : 1
; COMPUTE_PGM_RSRC2:SCRATCH_EN: 0
; COMPUTE_PGM_RSRC2:USER_SGPR: 2
; COMPUTE_PGM_RSRC2:TRAP_HANDLER: 0
; COMPUTE_PGM_RSRC2:TGID_X_EN: 1
; COMPUTE_PGM_RSRC2:TGID_Y_EN: 0
; COMPUTE_PGM_RSRC2:TGID_Z_EN: 0
; COMPUTE_PGM_RSRC2:TIDIG_COMP_CNT: 0
	.section	.text._ZN9rocsparseL19gebsrmvn_4xn_kernelILj128ELj6ELj8EfEEvi20rocsparse_direction_NS_24const_host_device_scalarIT2_EEPKiS6_PKS3_S8_S4_PS3_21rocsparse_index_base_b,"axG",@progbits,_ZN9rocsparseL19gebsrmvn_4xn_kernelILj128ELj6ELj8EfEEvi20rocsparse_direction_NS_24const_host_device_scalarIT2_EEPKiS6_PKS3_S8_S4_PS3_21rocsparse_index_base_b,comdat
	.globl	_ZN9rocsparseL19gebsrmvn_4xn_kernelILj128ELj6ELj8EfEEvi20rocsparse_direction_NS_24const_host_device_scalarIT2_EEPKiS6_PKS3_S8_S4_PS3_21rocsparse_index_base_b ; -- Begin function _ZN9rocsparseL19gebsrmvn_4xn_kernelILj128ELj6ELj8EfEEvi20rocsparse_direction_NS_24const_host_device_scalarIT2_EEPKiS6_PKS3_S8_S4_PS3_21rocsparse_index_base_b
	.p2align	8
	.type	_ZN9rocsparseL19gebsrmvn_4xn_kernelILj128ELj6ELj8EfEEvi20rocsparse_direction_NS_24const_host_device_scalarIT2_EEPKiS6_PKS3_S8_S4_PS3_21rocsparse_index_base_b,@function
_ZN9rocsparseL19gebsrmvn_4xn_kernelILj128ELj6ELj8EfEEvi20rocsparse_direction_NS_24const_host_device_scalarIT2_EEPKiS6_PKS3_S8_S4_PS3_21rocsparse_index_base_b: ; @_ZN9rocsparseL19gebsrmvn_4xn_kernelILj128ELj6ELj8EfEEvi20rocsparse_direction_NS_24const_host_device_scalarIT2_EEPKiS6_PKS3_S8_S4_PS3_21rocsparse_index_base_b
; %bb.0:
	s_clause 0x2
	s_load_b64 s[16:17], s[0:1], 0x40
	s_load_b64 s[14:15], s[0:1], 0x8
	;; [unrolled: 1-line block ×3, first 2 shown]
	s_wait_kmcnt 0x0
	s_bitcmp1_b32 s17, 0
	s_cselect_b32 s2, -1, 0
	s_delay_alu instid0(SALU_CYCLE_1)
	s_and_b32 vcc_lo, exec_lo, s2
	s_xor_b32 s2, s2, -1
	s_cbranch_vccnz .LBB21_2
; %bb.1:
	s_load_b32 s14, s[14:15], 0x0
.LBB21_2:
	s_and_not1_b32 vcc_lo, exec_lo, s2
	s_cbranch_vccnz .LBB21_4
; %bb.3:
	s_load_b32 s12, s[12:13], 0x0
.LBB21_4:
	s_wait_kmcnt 0x0
	s_cmp_eq_f32 s14, 0
	s_cselect_b32 s2, -1, 0
	s_cmp_eq_f32 s12, 1.0
	s_cselect_b32 s3, -1, 0
	s_delay_alu instid0(SALU_CYCLE_1) | instskip(NEXT) | instid1(SALU_CYCLE_1)
	s_and_b32 s2, s2, s3
	s_and_b32 vcc_lo, exec_lo, s2
	s_cbranch_vccnz .LBB21_23
; %bb.5:
	s_load_b64 s[2:3], s[0:1], 0x0
	v_lshrrev_b32_e32 v1, 3, v0
	s_delay_alu instid0(VALU_DEP_1) | instskip(SKIP_1) | instid1(VALU_DEP_1)
	v_lshl_or_b32 v4, ttmp9, 4, v1
	s_wait_kmcnt 0x0
	v_cmp_gt_i32_e32 vcc_lo, s2, v4
	s_and_saveexec_b32 s2, vcc_lo
	s_cbranch_execz .LBB21_23
; %bb.6:
	s_load_b256 s[4:11], s[0:1], 0x10
	v_ashrrev_i32_e32 v5, 31, v4
	v_and_b32_e32 v9, 7, v0
	s_cmp_lg_u32 s3, 0
	s_delay_alu instid0(VALU_DEP_2) | instskip(SKIP_1) | instid1(VALU_DEP_1)
	v_lshlrev_b64_e32 v[1:2], 2, v[4:5]
	s_wait_kmcnt 0x0
	v_add_co_u32 v1, vcc_lo, s4, v1
	s_delay_alu instid0(VALU_DEP_1) | instskip(SKIP_4) | instid1(VALU_DEP_2)
	v_add_co_ci_u32_e64 v2, null, s5, v2, vcc_lo
	global_load_b64 v[1:2], v[1:2], off
	s_wait_loadcnt 0x0
	v_subrev_nc_u32_e32 v0, s16, v1
	v_subrev_nc_u32_e32 v14, s16, v2
	v_add_nc_u32_e32 v0, v0, v9
	s_delay_alu instid0(VALU_DEP_1)
	v_cmp_lt_i32_e64 s2, v0, v14
	s_cbranch_scc0 .LBB21_12
; %bb.7:
	v_dual_mov_b32 v10, 0 :: v_dual_mov_b32 v11, 0
	v_dual_mov_b32 v12, 0 :: v_dual_mov_b32 v13, 0
	s_and_saveexec_b32 s3, s2
	s_cbranch_execz .LBB21_11
; %bb.8:
	v_mad_co_u64_u32 v[1:2], null, v0, 24, 20
	v_dual_mov_b32 v6, 0 :: v_dual_mov_b32 v7, v0
	v_dual_mov_b32 v10, 0 :: v_dual_mov_b32 v11, 0
	;; [unrolled: 1-line block ×3, first 2 shown]
	s_mov_b32 s4, 0
.LBB21_9:                               ; =>This Inner Loop Header: Depth=1
	s_delay_alu instid0(VALU_DEP_3) | instskip(SKIP_1) | instid1(VALU_DEP_2)
	v_ashrrev_i32_e32 v8, 31, v7
	v_subrev_nc_u32_e32 v5, 20, v1
	v_lshlrev_b64_e32 v[2:3], 2, v[7:8]
	s_delay_alu instid0(VALU_DEP_2) | instskip(SKIP_2) | instid1(VALU_DEP_4)
	v_lshlrev_b64_e32 v[15:16], 2, v[5:6]
	v_add_nc_u32_e32 v5, -12, v1
	v_add_nc_u32_e32 v7, 8, v7
	v_add_co_u32 v2, vcc_lo, s6, v2
	s_wait_alu 0xfffd
	v_add_co_ci_u32_e64 v3, null, s7, v3, vcc_lo
	v_lshlrev_b64_e32 v[19:20], 2, v[5:6]
	v_add_co_u32 v21, vcc_lo, s8, v15
	global_load_b32 v8, v[2:3], off
	v_dual_mov_b32 v3, v6 :: v_dual_mov_b32 v2, v6
	s_wait_alu 0xfffd
	v_add_co_ci_u32_e64 v22, null, s9, v16, vcc_lo
	s_delay_alu instid0(VALU_DEP_2) | instskip(NEXT) | instid1(VALU_DEP_1)
	v_lshlrev_b64_e32 v[17:18], 2, v[1:2]
	v_add_co_u32 v35, vcc_lo, s8, v17
	s_wait_alu 0xfffd
	s_delay_alu instid0(VALU_DEP_2)
	v_add_co_ci_u32_e64 v36, null, s9, v18, vcc_lo
	v_add_co_u32 v23, vcc_lo, s8, v19
	s_wait_alu 0xfffd
	v_add_co_ci_u32_e64 v24, null, s9, v20, vcc_lo
	s_clause 0x2
	global_load_b128 v[15:18], v[21:22], off offset:16
	global_load_b128 v[19:22], v[21:22], off
	global_load_b128 v[23:26], v[23:24], off
	s_wait_loadcnt 0x3
	v_subrev_nc_u32_e32 v2, s16, v8
	s_delay_alu instid0(VALU_DEP_1) | instskip(NEXT) | instid1(VALU_DEP_1)
	v_mul_lo_u32 v2, v2, 6
	v_lshlrev_b64_e32 v[27:28], 2, v[2:3]
	s_delay_alu instid0(VALU_DEP_1) | instskip(SKIP_1) | instid1(VALU_DEP_2)
	v_add_co_u32 v27, vcc_lo, s10, v27
	s_wait_alu 0xfffd
	v_add_co_ci_u32_e64 v28, null, s11, v28, vcc_lo
	global_load_b64 v[39:40], v[27:28], off
	s_wait_loadcnt 0x0
	v_dual_fmac_f32 v12, v21, v39 :: v_dual_add_nc_u32 v5, 2, v2
	s_delay_alu instid0(VALU_DEP_1) | instskip(SKIP_1) | instid1(VALU_DEP_3)
	v_lshlrev_b64_e32 v[29:30], 2, v[5:6]
	v_dual_fmac_f32 v10, v19, v39 :: v_dual_add_nc_u32 v5, -8, v1
	v_fmac_f32_e32 v12, v17, v40
	s_delay_alu instid0(VALU_DEP_3) | instskip(SKIP_1) | instid1(VALU_DEP_4)
	v_add_co_u32 v27, vcc_lo, s10, v29
	s_wait_alu 0xfffd
	v_add_co_ci_u32_e64 v28, null, s11, v30, vcc_lo
	v_fmac_f32_e32 v10, v15, v40
	v_lshlrev_b64_e32 v[31:32], 2, v[5:6]
	v_add_nc_u32_e32 v5, -4, v1
	global_load_b64 v[41:42], v[27:28], off
	v_fmac_f32_e32 v13, v20, v39
	v_add_nc_u32_e32 v1, 0xc0, v1
	v_lshlrev_b64_e32 v[33:34], 2, v[5:6]
	v_add_nc_u32_e32 v5, 4, v2
	v_add_co_u32 v2, vcc_lo, s8, v31
	s_wait_alu 0xfffd
	v_add_co_ci_u32_e64 v3, null, s9, v32, vcc_lo
	global_load_b128 v[27:30], v[2:3], off
	v_add_co_u32 v2, vcc_lo, s8, v33
	s_wait_alu 0xfffd
	v_add_co_ci_u32_e64 v3, null, s9, v34, vcc_lo
	s_wait_loadcnt 0x1
	v_fmac_f32_e32 v10, v23, v41
	v_lshlrev_b64_e32 v[31:32], 2, v[5:6]
	v_dual_fmac_f32 v11, v22, v39 :: v_dual_fmac_f32 v12, v25, v41
	v_fmac_f32_e32 v13, v16, v40
	s_delay_alu instid0(VALU_DEP_3) | instskip(SKIP_1) | instid1(VALU_DEP_4)
	v_add_co_u32 v37, vcc_lo, s10, v31
	s_wait_alu 0xfffd
	v_add_co_ci_u32_e64 v38, null, s11, v32, vcc_lo
	global_load_b128 v[31:34], v[2:3], off
	global_load_b64 v[2:3], v[37:38], off
	global_load_b128 v[35:38], v[35:36], off
	s_wait_loadcnt 0x3
	v_dual_fmac_f32 v10, v27, v42 :: v_dual_fmac_f32 v11, v18, v40
	v_dual_fmac_f32 v12, v29, v42 :: v_dual_fmac_f32 v13, v24, v41
	v_cmp_ge_i32_e32 vcc_lo, v7, v14
	s_wait_alu 0xfffe
	s_or_b32 s4, vcc_lo, s4
	s_wait_loadcnt 0x1
	v_dual_fmac_f32 v10, v31, v2 :: v_dual_fmac_f32 v11, v26, v41
	v_fmac_f32_e32 v12, v33, v2
	s_wait_loadcnt 0x0
	s_delay_alu instid0(VALU_DEP_2) | instskip(NEXT) | instid1(VALU_DEP_2)
	v_dual_fmac_f32 v13, v28, v42 :: v_dual_fmac_f32 v10, v35, v3
	v_dual_fmac_f32 v11, v30, v42 :: v_dual_fmac_f32 v12, v37, v3
	s_delay_alu instid0(VALU_DEP_2) | instskip(NEXT) | instid1(VALU_DEP_2)
	v_fmac_f32_e32 v13, v32, v2
	v_fmac_f32_e32 v11, v34, v2
	s_delay_alu instid0(VALU_DEP_2) | instskip(NEXT) | instid1(VALU_DEP_2)
	v_fmac_f32_e32 v13, v36, v3
	v_fmac_f32_e32 v11, v38, v3
	s_wait_alu 0xfffe
	s_and_not1_b32 exec_lo, exec_lo, s4
	s_cbranch_execnz .LBB21_9
; %bb.10:
	s_or_b32 exec_lo, exec_lo, s4
.LBB21_11:
	s_wait_alu 0xfffe
	s_or_b32 exec_lo, exec_lo, s3
	s_cbranch_execz .LBB21_13
	s_branch .LBB21_18
.LBB21_12:
                                        ; implicit-def: $vgpr10
                                        ; implicit-def: $vgpr11
                                        ; implicit-def: $vgpr12
                                        ; implicit-def: $vgpr13
.LBB21_13:
	v_dual_mov_b32 v10, 0 :: v_dual_mov_b32 v11, 0
	v_dual_mov_b32 v12, 0 :: v_dual_mov_b32 v13, 0
	s_and_saveexec_b32 s3, s2
	s_cbranch_execz .LBB21_17
; %bb.14:
	v_mad_co_u64_u32 v[2:3], null, v0, 24, 23
	v_dual_mov_b32 v6, 0 :: v_dual_mov_b32 v11, 0
	v_dual_mov_b32 v10, 0 :: v_dual_mov_b32 v13, 0
	v_mov_b32_e32 v12, 0
	s_mov_b32 s2, 0
.LBB21_15:                              ; =>This Inner Loop Header: Depth=1
	v_ashrrev_i32_e32 v1, 31, v0
	v_subrev_nc_u32_e32 v5, 23, v2
	v_dual_mov_b32 v16, v6 :: v_dual_add_nc_u32 v15, -5, v2
	v_mov_b32_e32 v3, v6
	s_delay_alu instid0(VALU_DEP_4) | instskip(NEXT) | instid1(VALU_DEP_4)
	v_lshlrev_b64_e32 v[7:8], 2, v[0:1]
	v_lshlrev_b64_e32 v[17:18], 2, v[5:6]
	v_mov_b32_e32 v24, v6
	v_add_nc_u32_e32 v0, 8, v0
	v_lshlrev_b64_e32 v[19:20], 2, v[2:3]
	v_add_co_u32 v7, vcc_lo, s6, v7
	s_wait_alu 0xfffd
	v_add_co_ci_u32_e64 v8, null, s7, v8, vcc_lo
	v_add_co_u32 v21, vcc_lo, s8, v17
	s_wait_alu 0xfffd
	v_add_co_ci_u32_e64 v22, null, s9, v18, vcc_lo
	global_load_b32 v1, v[7:8], off
	v_dual_mov_b32 v8, v6 :: v_dual_add_nc_u32 v7, -11, v2
	v_lshlrev_b64_e32 v[15:16], 2, v[15:16]
	s_delay_alu instid0(VALU_DEP_2) | instskip(NEXT) | instid1(VALU_DEP_1)
	v_lshlrev_b64_e32 v[7:8], 2, v[7:8]
	v_add_co_u32 v7, vcc_lo, s8, v7
	s_wait_alu 0xfffd
	s_delay_alu instid0(VALU_DEP_2) | instskip(NEXT) | instid1(VALU_DEP_4)
	v_add_co_ci_u32_e64 v8, null, s9, v8, vcc_lo
	v_add_co_u32 v27, vcc_lo, s8, v15
	s_wait_alu 0xfffd
	v_add_co_ci_u32_e64 v28, null, s9, v16, vcc_lo
	v_add_co_u32 v29, vcc_lo, s8, v19
	s_wait_alu 0xfffd
	v_add_co_ci_u32_e64 v30, null, s9, v20, vcc_lo
	s_clause 0x3
	global_load_b128 v[15:18], v[21:22], off offset:16
	global_load_b128 v[19:22], v[21:22], off
	global_load_b32 v3, v[7:8], off
	global_load_b32 v28, v[27:28], off
	v_add_nc_u32_e32 v5, -10, v2
	s_delay_alu instid0(VALU_DEP_1) | instskip(SKIP_1) | instid1(VALU_DEP_1)
	v_lshlrev_b64_e32 v[25:26], 2, v[5:6]
	v_add_nc_u32_e32 v5, -4, v2
	v_lshlrev_b64_e32 v[31:32], 2, v[5:6]
	s_delay_alu instid0(VALU_DEP_3) | instskip(SKIP_1) | instid1(VALU_DEP_4)
	v_add_co_u32 v7, vcc_lo, s8, v25
	s_wait_alu 0xfffd
	v_add_co_ci_u32_e64 v8, null, s9, v26, vcc_lo
	s_delay_alu instid0(VALU_DEP_3)
	v_add_co_u32 v25, vcc_lo, s8, v31
	s_wait_alu 0xfffd
	v_add_co_ci_u32_e64 v26, null, s9, v32, vcc_lo
	s_clause 0x1
	global_load_b32 v37, v[7:8], off
	global_load_b32 v38, v[25:26], off
	s_wait_loadcnt 0x6
	v_subrev_nc_u32_e32 v1, s16, v1
	s_delay_alu instid0(VALU_DEP_1) | instskip(NEXT) | instid1(VALU_DEP_1)
	v_mul_lo_u32 v23, v1, 6
	v_lshlrev_b64_e32 v[7:8], 2, v[23:24]
	s_delay_alu instid0(VALU_DEP_1) | instskip(SKIP_1) | instid1(VALU_DEP_2)
	v_add_co_u32 v7, vcc_lo, s10, v7
	s_wait_alu 0xfffd
	v_add_co_ci_u32_e64 v8, null, s11, v8, vcc_lo
	global_load_b64 v[7:8], v[7:8], off
	v_add_nc_u32_e32 v5, 2, v23
	s_delay_alu instid0(VALU_DEP_1) | instskip(NEXT) | instid1(VALU_DEP_1)
	v_lshlrev_b64_e32 v[24:25], 2, v[5:6]
	v_add_co_u32 v24, vcc_lo, s10, v24
	s_wait_alu 0xfffd
	s_delay_alu instid0(VALU_DEP_2)
	v_add_co_ci_u32_e64 v25, null, s11, v25, vcc_lo
	global_load_b64 v[24:25], v[24:25], off
	s_wait_loadcnt 0x1
	v_fmac_f32_e32 v10, v19, v7
	v_dual_fmac_f32 v12, v3, v7 :: v_dual_add_nc_u32 v5, -15, v2
	v_fmac_f32_e32 v13, v17, v7
	v_fmac_f32_e32 v11, v28, v7
	s_delay_alu instid0(VALU_DEP_4) | instskip(NEXT) | instid1(VALU_DEP_4)
	v_fmac_f32_e32 v10, v20, v8
	v_fmac_f32_e32 v12, v37, v8
	v_lshlrev_b64_e32 v[26:27], 2, v[5:6]
	v_add_nc_u32_e32 v5, -9, v2
	v_fmac_f32_e32 v13, v18, v8
	s_delay_alu instid0(VALU_DEP_3) | instskip(SKIP_1) | instid1(VALU_DEP_4)
	v_add_co_u32 v26, vcc_lo, s8, v26
	s_wait_alu 0xfffd
	v_add_co_ci_u32_e64 v27, null, s9, v27, vcc_lo
	s_wait_loadcnt 0x0
	v_fmac_f32_e32 v10, v21, v24
	v_lshlrev_b64_e32 v[31:32], 2, v[5:6]
	global_load_b32 v1, v[26:27], off
	v_fmac_f32_e32 v10, v22, v25
	v_add_co_u32 v31, vcc_lo, s8, v31
	s_wait_alu 0xfffd
	v_add_co_ci_u32_e64 v32, null, s9, v32, vcc_lo
	global_load_b32 v39, v[31:32], off
	v_add_nc_u32_e32 v5, -3, v2
	s_wait_loadcnt 0x1
	v_fmac_f32_e32 v13, v1, v24
	s_wait_loadcnt 0x0
	v_fmac_f32_e32 v12, v39, v24
	v_lshlrev_b64_e32 v[33:34], 2, v[5:6]
	v_add_nc_u32_e32 v5, -14, v2
	s_delay_alu instid0(VALU_DEP_1) | instskip(SKIP_1) | instid1(VALU_DEP_4)
	v_lshlrev_b64_e32 v[26:27], 2, v[5:6]
	v_add_nc_u32_e32 v5, -8, v2
	v_add_co_u32 v31, vcc_lo, s8, v33
	s_wait_alu 0xfffd
	v_add_co_ci_u32_e64 v32, null, s9, v34, vcc_lo
	s_delay_alu instid0(VALU_DEP_4)
	v_add_co_u32 v26, vcc_lo, s8, v26
	v_lshlrev_b64_e32 v[33:34], 2, v[5:6]
	v_add_nc_u32_e32 v5, -2, v2
	s_wait_alu 0xfffd
	v_add_co_ci_u32_e64 v27, null, s9, v27, vcc_lo
	global_load_b32 v40, v[31:32], off
	v_lshlrev_b64_e32 v[31:32], 2, v[5:6]
	v_add_nc_u32_e32 v5, 4, v23
	global_load_b32 v23, v[26:27], off
	v_add_co_u32 v26, vcc_lo, s8, v33
	s_wait_alu 0xfffd
	v_add_co_ci_u32_e64 v27, null, s9, v34, vcc_lo
	v_add_co_u32 v31, vcc_lo, s8, v31
	v_lshlrev_b64_e32 v[33:34], 2, v[5:6]
	global_load_b32 v41, v[26:27], off
	s_wait_alu 0xfffd
	v_add_co_ci_u32_e64 v32, null, s9, v32, vcc_lo
	global_load_b32 v42, v[31:32], off
	v_add_co_u32 v31, vcc_lo, s10, v33
	s_wait_alu 0xfffd
	v_add_co_ci_u32_e64 v32, null, s11, v34, vcc_lo
	global_load_b64 v[31:32], v[31:32], off
	s_wait_loadcnt 0x3
	v_fmac_f32_e32 v13, v23, v25
	s_wait_loadcnt 0x2
	v_dual_fmac_f32 v12, v41, v25 :: v_dual_add_nc_u32 v5, -13, v2
	s_delay_alu instid0(VALU_DEP_1) | instskip(SKIP_1) | instid1(VALU_DEP_1)
	v_lshlrev_b64_e32 v[26:27], 2, v[5:6]
	v_add_nc_u32_e32 v5, -7, v2
	v_lshlrev_b64_e32 v[33:34], 2, v[5:6]
	v_add_nc_u32_e32 v5, -1, v2
	s_delay_alu instid0(VALU_DEP_4) | instskip(SKIP_2) | instid1(VALU_DEP_3)
	v_add_co_u32 v26, vcc_lo, s8, v26
	s_wait_alu 0xfffd
	v_add_co_ci_u32_e64 v27, null, s9, v27, vcc_lo
	v_lshlrev_b64_e32 v[35:36], 2, v[5:6]
	s_wait_loadcnt 0x0
	v_dual_fmac_f32 v10, v15, v31 :: v_dual_add_nc_u32 v5, -12, v2
	global_load_b32 v43, v[26:27], off
	v_add_co_u32 v26, vcc_lo, s8, v33
	s_wait_alu 0xfffd
	v_add_co_ci_u32_e64 v27, null, s9, v34, vcc_lo
	v_lshlrev_b64_e32 v[33:34], 2, v[5:6]
	v_add_nc_u32_e32 v5, -6, v2
	v_add_co_u32 v35, vcc_lo, s8, v35
	global_load_b32 v44, v[26:27], off
	s_wait_alu 0xfffd
	v_add_co_ci_u32_e64 v36, null, s9, v36, vcc_lo
	v_lshlrev_b64_e32 v[26:27], 2, v[5:6]
	v_add_co_u32 v33, vcc_lo, s8, v33
	s_wait_alu 0xfffd
	v_add_co_ci_u32_e64 v34, null, s9, v34, vcc_lo
	global_load_b32 v5, v[35:36], off
	v_add_co_u32 v26, vcc_lo, s8, v26
	s_wait_alu 0xfffd
	v_add_co_ci_u32_e64 v27, null, s9, v27, vcc_lo
	s_clause 0x2
	global_load_b32 v33, v[33:34], off
	global_load_b32 v26, v[26:27], off
	;; [unrolled: 1-line block ×3, first 2 shown]
	v_dual_fmac_f32 v11, v38, v8 :: v_dual_add_nc_u32 v2, 0xc0, v2
	v_cmp_ge_i32_e32 vcc_lo, v0, v14
	v_fmac_f32_e32 v10, v16, v32
	s_delay_alu instid0(VALU_DEP_3) | instskip(SKIP_2) | instid1(VALU_DEP_1)
	v_fmac_f32_e32 v11, v40, v24
	s_wait_alu 0xfffe
	s_or_b32 s2, vcc_lo, s2
	v_fmac_f32_e32 v11, v42, v25
	s_wait_loadcnt 0x5
	v_fmac_f32_e32 v13, v43, v31
	s_wait_loadcnt 0x4
	;; [unrolled: 2-line block ×6, first 2 shown]
	v_fmac_f32_e32 v11, v27, v32
	s_wait_alu 0xfffe
	s_and_not1_b32 exec_lo, exec_lo, s2
	s_cbranch_execnz .LBB21_15
; %bb.16:
	s_or_b32 exec_lo, exec_lo, s2
.LBB21_17:
	s_wait_alu 0xfffe
	s_or_b32 exec_lo, exec_lo, s3
.LBB21_18:
	v_mbcnt_lo_u32_b32 v0, -1, 0
	s_mov_b32 s2, -1
	s_delay_alu instid0(VALU_DEP_1) | instskip(SKIP_1) | instid1(VALU_DEP_2)
	v_xor_b32_e32 v1, 4, v0
	v_xor_b32_e32 v6, 2, v0
	v_cmp_gt_i32_e32 vcc_lo, 32, v1
	s_wait_alu 0xfffd
	v_cndmask_b32_e32 v1, v0, v1, vcc_lo
	s_delay_alu instid0(VALU_DEP_3) | instskip(SKIP_2) | instid1(VALU_DEP_1)
	v_cmp_gt_i32_e32 vcc_lo, 32, v6
	s_wait_alu 0xfffd
	v_cndmask_b32_e32 v6, v0, v6, vcc_lo
	v_lshlrev_b32_e32 v6, 2, v6
	v_lshlrev_b32_e32 v1, 2, v1
	ds_bpermute_b32 v2, v1, v10
	s_wait_dscnt 0x0
	v_add_f32_e32 v2, v10, v2
	ds_bpermute_b32 v3, v1, v13
	ds_bpermute_b32 v5, v1, v12
	;; [unrolled: 1-line block ×3, first 2 shown]
	s_wait_dscnt 0x2
	v_add_f32_e32 v3, v13, v3
	s_wait_dscnt 0x1
	v_add_f32_e32 v5, v12, v5
	;; [unrolled: 2-line block ×3, first 2 shown]
	v_xor_b32_e32 v11, 1, v0
	ds_bpermute_b32 v1, v6, v2
	ds_bpermute_b32 v8, v6, v3
	ds_bpermute_b32 v10, v6, v5
	v_cmp_gt_i32_e32 vcc_lo, 32, v11
	s_wait_alu 0xfffd
	v_cndmask_b32_e32 v0, v0, v11, vcc_lo
	ds_bpermute_b32 v6, v6, v7
	v_cmp_eq_u32_e32 vcc_lo, 7, v9
	s_wait_dscnt 0x3
	v_dual_add_f32 v0, v2, v1 :: v_dual_lshlrev_b32 v11, 2, v0
	s_wait_dscnt 0x1
	v_dual_add_f32 v1, v3, v8 :: v_dual_add_f32 v2, v5, v10
	ds_bpermute_b32 v5, v11, v0
	s_wait_dscnt 0x1
	v_add_f32_e32 v3, v7, v6
	ds_bpermute_b32 v6, v11, v1
	ds_bpermute_b32 v7, v11, v2
	;; [unrolled: 1-line block ×3, first 2 shown]
	s_and_b32 exec_lo, exec_lo, vcc_lo
	s_cbranch_execz .LBB21_23
; %bb.19:
	s_load_b64 s[0:1], s[0:1], 0x38
	s_wait_dscnt 0x2
	v_dual_add_f32 v0, v0, v5 :: v_dual_add_f32 v1, v1, v6
	s_wait_dscnt 0x0
	v_dual_add_f32 v2, v2, v7 :: v_dual_add_f32 v3, v3, v8
	v_lshlrev_b32_e32 v4, 2, v4
	s_delay_alu instid0(VALU_DEP_3) | instskip(NEXT) | instid1(VALU_DEP_3)
	v_dual_mul_f32 v0, s14, v0 :: v_dual_mul_f32 v1, s14, v1
	v_dual_mul_f32 v2, s14, v2 :: v_dual_mul_f32 v3, s14, v3
	s_cmp_eq_f32 s12, 0
	s_cbranch_scc0 .LBB21_21
; %bb.20:
	v_ashrrev_i32_e32 v5, 31, v4
	s_mov_b32 s2, 0
	s_delay_alu instid0(VALU_DEP_1) | instskip(SKIP_1) | instid1(VALU_DEP_1)
	v_lshlrev_b64_e32 v[5:6], 2, v[4:5]
	s_wait_kmcnt 0x0
	v_add_co_u32 v5, vcc_lo, s0, v5
	s_wait_alu 0xfffd
	s_delay_alu instid0(VALU_DEP_2)
	v_add_co_ci_u32_e64 v6, null, s1, v6, vcc_lo
	global_store_b128 v[5:6], v[0:3], off
.LBB21_21:
	s_wait_alu 0xfffe
	s_and_not1_b32 vcc_lo, exec_lo, s2
	s_wait_alu 0xfffe
	s_cbranch_vccnz .LBB21_23
; %bb.22:
	v_ashrrev_i32_e32 v5, 31, v4
	s_delay_alu instid0(VALU_DEP_1) | instskip(SKIP_1) | instid1(VALU_DEP_1)
	v_lshlrev_b64_e32 v[4:5], 2, v[4:5]
	s_wait_kmcnt 0x0
	v_add_co_u32 v8, vcc_lo, s0, v4
	s_wait_alu 0xfffd
	s_delay_alu instid0(VALU_DEP_2)
	v_add_co_ci_u32_e64 v9, null, s1, v5, vcc_lo
	global_load_b128 v[4:7], v[8:9], off
	s_wait_loadcnt 0x0
	v_dual_fmac_f32 v0, s12, v4 :: v_dual_fmac_f32 v1, s12, v5
	v_dual_fmac_f32 v2, s12, v6 :: v_dual_fmac_f32 v3, s12, v7
	global_store_b128 v[8:9], v[0:3], off
.LBB21_23:
	s_endpgm
	.section	.rodata,"a",@progbits
	.p2align	6, 0x0
	.amdhsa_kernel _ZN9rocsparseL19gebsrmvn_4xn_kernelILj128ELj6ELj8EfEEvi20rocsparse_direction_NS_24const_host_device_scalarIT2_EEPKiS6_PKS3_S8_S4_PS3_21rocsparse_index_base_b
		.amdhsa_group_segment_fixed_size 0
		.amdhsa_private_segment_fixed_size 0
		.amdhsa_kernarg_size 72
		.amdhsa_user_sgpr_count 2
		.amdhsa_user_sgpr_dispatch_ptr 0
		.amdhsa_user_sgpr_queue_ptr 0
		.amdhsa_user_sgpr_kernarg_segment_ptr 1
		.amdhsa_user_sgpr_dispatch_id 0
		.amdhsa_user_sgpr_private_segment_size 0
		.amdhsa_wavefront_size32 1
		.amdhsa_uses_dynamic_stack 0
		.amdhsa_enable_private_segment 0
		.amdhsa_system_sgpr_workgroup_id_x 1
		.amdhsa_system_sgpr_workgroup_id_y 0
		.amdhsa_system_sgpr_workgroup_id_z 0
		.amdhsa_system_sgpr_workgroup_info 0
		.amdhsa_system_vgpr_workitem_id 0
		.amdhsa_next_free_vgpr 45
		.amdhsa_next_free_sgpr 18
		.amdhsa_reserve_vcc 1
		.amdhsa_float_round_mode_32 0
		.amdhsa_float_round_mode_16_64 0
		.amdhsa_float_denorm_mode_32 3
		.amdhsa_float_denorm_mode_16_64 3
		.amdhsa_fp16_overflow 0
		.amdhsa_workgroup_processor_mode 1
		.amdhsa_memory_ordered 1
		.amdhsa_forward_progress 1
		.amdhsa_inst_pref_size 21
		.amdhsa_round_robin_scheduling 0
		.amdhsa_exception_fp_ieee_invalid_op 0
		.amdhsa_exception_fp_denorm_src 0
		.amdhsa_exception_fp_ieee_div_zero 0
		.amdhsa_exception_fp_ieee_overflow 0
		.amdhsa_exception_fp_ieee_underflow 0
		.amdhsa_exception_fp_ieee_inexact 0
		.amdhsa_exception_int_div_zero 0
	.end_amdhsa_kernel
	.section	.text._ZN9rocsparseL19gebsrmvn_4xn_kernelILj128ELj6ELj8EfEEvi20rocsparse_direction_NS_24const_host_device_scalarIT2_EEPKiS6_PKS3_S8_S4_PS3_21rocsparse_index_base_b,"axG",@progbits,_ZN9rocsparseL19gebsrmvn_4xn_kernelILj128ELj6ELj8EfEEvi20rocsparse_direction_NS_24const_host_device_scalarIT2_EEPKiS6_PKS3_S8_S4_PS3_21rocsparse_index_base_b,comdat
.Lfunc_end21:
	.size	_ZN9rocsparseL19gebsrmvn_4xn_kernelILj128ELj6ELj8EfEEvi20rocsparse_direction_NS_24const_host_device_scalarIT2_EEPKiS6_PKS3_S8_S4_PS3_21rocsparse_index_base_b, .Lfunc_end21-_ZN9rocsparseL19gebsrmvn_4xn_kernelILj128ELj6ELj8EfEEvi20rocsparse_direction_NS_24const_host_device_scalarIT2_EEPKiS6_PKS3_S8_S4_PS3_21rocsparse_index_base_b
                                        ; -- End function
	.set _ZN9rocsparseL19gebsrmvn_4xn_kernelILj128ELj6ELj8EfEEvi20rocsparse_direction_NS_24const_host_device_scalarIT2_EEPKiS6_PKS3_S8_S4_PS3_21rocsparse_index_base_b.num_vgpr, 45
	.set _ZN9rocsparseL19gebsrmvn_4xn_kernelILj128ELj6ELj8EfEEvi20rocsparse_direction_NS_24const_host_device_scalarIT2_EEPKiS6_PKS3_S8_S4_PS3_21rocsparse_index_base_b.num_agpr, 0
	.set _ZN9rocsparseL19gebsrmvn_4xn_kernelILj128ELj6ELj8EfEEvi20rocsparse_direction_NS_24const_host_device_scalarIT2_EEPKiS6_PKS3_S8_S4_PS3_21rocsparse_index_base_b.numbered_sgpr, 18
	.set _ZN9rocsparseL19gebsrmvn_4xn_kernelILj128ELj6ELj8EfEEvi20rocsparse_direction_NS_24const_host_device_scalarIT2_EEPKiS6_PKS3_S8_S4_PS3_21rocsparse_index_base_b.num_named_barrier, 0
	.set _ZN9rocsparseL19gebsrmvn_4xn_kernelILj128ELj6ELj8EfEEvi20rocsparse_direction_NS_24const_host_device_scalarIT2_EEPKiS6_PKS3_S8_S4_PS3_21rocsparse_index_base_b.private_seg_size, 0
	.set _ZN9rocsparseL19gebsrmvn_4xn_kernelILj128ELj6ELj8EfEEvi20rocsparse_direction_NS_24const_host_device_scalarIT2_EEPKiS6_PKS3_S8_S4_PS3_21rocsparse_index_base_b.uses_vcc, 1
	.set _ZN9rocsparseL19gebsrmvn_4xn_kernelILj128ELj6ELj8EfEEvi20rocsparse_direction_NS_24const_host_device_scalarIT2_EEPKiS6_PKS3_S8_S4_PS3_21rocsparse_index_base_b.uses_flat_scratch, 0
	.set _ZN9rocsparseL19gebsrmvn_4xn_kernelILj128ELj6ELj8EfEEvi20rocsparse_direction_NS_24const_host_device_scalarIT2_EEPKiS6_PKS3_S8_S4_PS3_21rocsparse_index_base_b.has_dyn_sized_stack, 0
	.set _ZN9rocsparseL19gebsrmvn_4xn_kernelILj128ELj6ELj8EfEEvi20rocsparse_direction_NS_24const_host_device_scalarIT2_EEPKiS6_PKS3_S8_S4_PS3_21rocsparse_index_base_b.has_recursion, 0
	.set _ZN9rocsparseL19gebsrmvn_4xn_kernelILj128ELj6ELj8EfEEvi20rocsparse_direction_NS_24const_host_device_scalarIT2_EEPKiS6_PKS3_S8_S4_PS3_21rocsparse_index_base_b.has_indirect_call, 0
	.section	.AMDGPU.csdata,"",@progbits
; Kernel info:
; codeLenInByte = 2604
; TotalNumSgprs: 20
; NumVgprs: 45
; ScratchSize: 0
; MemoryBound: 0
; FloatMode: 240
; IeeeMode: 1
; LDSByteSize: 0 bytes/workgroup (compile time only)
; SGPRBlocks: 0
; VGPRBlocks: 5
; NumSGPRsForWavesPerEU: 20
; NumVGPRsForWavesPerEU: 45
; Occupancy: 16
; WaveLimiterHint : 1
; COMPUTE_PGM_RSRC2:SCRATCH_EN: 0
; COMPUTE_PGM_RSRC2:USER_SGPR: 2
; COMPUTE_PGM_RSRC2:TRAP_HANDLER: 0
; COMPUTE_PGM_RSRC2:TGID_X_EN: 1
; COMPUTE_PGM_RSRC2:TGID_Y_EN: 0
; COMPUTE_PGM_RSRC2:TGID_Z_EN: 0
; COMPUTE_PGM_RSRC2:TIDIG_COMP_CNT: 0
	.section	.text._ZN9rocsparseL19gebsrmvn_4xn_kernelILj128ELj6ELj16EfEEvi20rocsparse_direction_NS_24const_host_device_scalarIT2_EEPKiS6_PKS3_S8_S4_PS3_21rocsparse_index_base_b,"axG",@progbits,_ZN9rocsparseL19gebsrmvn_4xn_kernelILj128ELj6ELj16EfEEvi20rocsparse_direction_NS_24const_host_device_scalarIT2_EEPKiS6_PKS3_S8_S4_PS3_21rocsparse_index_base_b,comdat
	.globl	_ZN9rocsparseL19gebsrmvn_4xn_kernelILj128ELj6ELj16EfEEvi20rocsparse_direction_NS_24const_host_device_scalarIT2_EEPKiS6_PKS3_S8_S4_PS3_21rocsparse_index_base_b ; -- Begin function _ZN9rocsparseL19gebsrmvn_4xn_kernelILj128ELj6ELj16EfEEvi20rocsparse_direction_NS_24const_host_device_scalarIT2_EEPKiS6_PKS3_S8_S4_PS3_21rocsparse_index_base_b
	.p2align	8
	.type	_ZN9rocsparseL19gebsrmvn_4xn_kernelILj128ELj6ELj16EfEEvi20rocsparse_direction_NS_24const_host_device_scalarIT2_EEPKiS6_PKS3_S8_S4_PS3_21rocsparse_index_base_b,@function
_ZN9rocsparseL19gebsrmvn_4xn_kernelILj128ELj6ELj16EfEEvi20rocsparse_direction_NS_24const_host_device_scalarIT2_EEPKiS6_PKS3_S8_S4_PS3_21rocsparse_index_base_b: ; @_ZN9rocsparseL19gebsrmvn_4xn_kernelILj128ELj6ELj16EfEEvi20rocsparse_direction_NS_24const_host_device_scalarIT2_EEPKiS6_PKS3_S8_S4_PS3_21rocsparse_index_base_b
; %bb.0:
	s_clause 0x2
	s_load_b64 s[16:17], s[0:1], 0x40
	s_load_b64 s[14:15], s[0:1], 0x8
	;; [unrolled: 1-line block ×3, first 2 shown]
	s_wait_kmcnt 0x0
	s_bitcmp1_b32 s17, 0
	s_cselect_b32 s2, -1, 0
	s_delay_alu instid0(SALU_CYCLE_1)
	s_and_b32 vcc_lo, exec_lo, s2
	s_xor_b32 s2, s2, -1
	s_cbranch_vccnz .LBB22_2
; %bb.1:
	s_load_b32 s14, s[14:15], 0x0
.LBB22_2:
	s_and_not1_b32 vcc_lo, exec_lo, s2
	s_cbranch_vccnz .LBB22_4
; %bb.3:
	s_load_b32 s12, s[12:13], 0x0
.LBB22_4:
	s_wait_kmcnt 0x0
	s_cmp_eq_f32 s14, 0
	s_cselect_b32 s2, -1, 0
	s_cmp_eq_f32 s12, 1.0
	s_cselect_b32 s3, -1, 0
	s_delay_alu instid0(SALU_CYCLE_1) | instskip(NEXT) | instid1(SALU_CYCLE_1)
	s_and_b32 s2, s2, s3
	s_and_b32 vcc_lo, exec_lo, s2
	s_cbranch_vccnz .LBB22_23
; %bb.5:
	s_load_b64 s[2:3], s[0:1], 0x0
	v_lshrrev_b32_e32 v1, 4, v0
	s_delay_alu instid0(VALU_DEP_1) | instskip(SKIP_1) | instid1(VALU_DEP_1)
	v_lshl_or_b32 v4, ttmp9, 3, v1
	s_wait_kmcnt 0x0
	v_cmp_gt_i32_e32 vcc_lo, s2, v4
	s_and_saveexec_b32 s2, vcc_lo
	s_cbranch_execz .LBB22_23
; %bb.6:
	s_load_b256 s[4:11], s[0:1], 0x10
	v_ashrrev_i32_e32 v5, 31, v4
	v_and_b32_e32 v9, 15, v0
	s_cmp_lg_u32 s3, 0
	s_delay_alu instid0(VALU_DEP_2) | instskip(SKIP_1) | instid1(VALU_DEP_1)
	v_lshlrev_b64_e32 v[1:2], 2, v[4:5]
	s_wait_kmcnt 0x0
	v_add_co_u32 v1, vcc_lo, s4, v1
	s_delay_alu instid0(VALU_DEP_1) | instskip(SKIP_4) | instid1(VALU_DEP_2)
	v_add_co_ci_u32_e64 v2, null, s5, v2, vcc_lo
	global_load_b64 v[1:2], v[1:2], off
	s_wait_loadcnt 0x0
	v_subrev_nc_u32_e32 v0, s16, v1
	v_subrev_nc_u32_e32 v14, s16, v2
	v_add_nc_u32_e32 v0, v0, v9
	s_delay_alu instid0(VALU_DEP_1)
	v_cmp_lt_i32_e64 s2, v0, v14
	s_cbranch_scc0 .LBB22_12
; %bb.7:
	v_dual_mov_b32 v10, 0 :: v_dual_mov_b32 v11, 0
	v_dual_mov_b32 v12, 0 :: v_dual_mov_b32 v13, 0
	s_and_saveexec_b32 s3, s2
	s_cbranch_execz .LBB22_11
; %bb.8:
	v_mad_co_u64_u32 v[1:2], null, v0, 24, 20
	v_dual_mov_b32 v6, 0 :: v_dual_mov_b32 v7, v0
	v_dual_mov_b32 v10, 0 :: v_dual_mov_b32 v11, 0
	;; [unrolled: 1-line block ×3, first 2 shown]
	s_mov_b32 s4, 0
.LBB22_9:                               ; =>This Inner Loop Header: Depth=1
	s_delay_alu instid0(VALU_DEP_3) | instskip(SKIP_1) | instid1(VALU_DEP_2)
	v_ashrrev_i32_e32 v8, 31, v7
	v_subrev_nc_u32_e32 v5, 20, v1
	v_lshlrev_b64_e32 v[2:3], 2, v[7:8]
	s_delay_alu instid0(VALU_DEP_2) | instskip(SKIP_2) | instid1(VALU_DEP_4)
	v_lshlrev_b64_e32 v[15:16], 2, v[5:6]
	v_add_nc_u32_e32 v5, -12, v1
	v_add_nc_u32_e32 v7, 16, v7
	v_add_co_u32 v2, vcc_lo, s6, v2
	s_wait_alu 0xfffd
	v_add_co_ci_u32_e64 v3, null, s7, v3, vcc_lo
	v_lshlrev_b64_e32 v[19:20], 2, v[5:6]
	v_add_co_u32 v21, vcc_lo, s8, v15
	global_load_b32 v8, v[2:3], off
	v_dual_mov_b32 v3, v6 :: v_dual_mov_b32 v2, v6
	s_wait_alu 0xfffd
	v_add_co_ci_u32_e64 v22, null, s9, v16, vcc_lo
	s_delay_alu instid0(VALU_DEP_2) | instskip(NEXT) | instid1(VALU_DEP_1)
	v_lshlrev_b64_e32 v[17:18], 2, v[1:2]
	v_add_co_u32 v35, vcc_lo, s8, v17
	s_wait_alu 0xfffd
	s_delay_alu instid0(VALU_DEP_2)
	v_add_co_ci_u32_e64 v36, null, s9, v18, vcc_lo
	v_add_co_u32 v23, vcc_lo, s8, v19
	s_wait_alu 0xfffd
	v_add_co_ci_u32_e64 v24, null, s9, v20, vcc_lo
	s_clause 0x2
	global_load_b128 v[15:18], v[21:22], off offset:16
	global_load_b128 v[19:22], v[21:22], off
	global_load_b128 v[23:26], v[23:24], off
	s_wait_loadcnt 0x3
	v_subrev_nc_u32_e32 v2, s16, v8
	s_delay_alu instid0(VALU_DEP_1) | instskip(NEXT) | instid1(VALU_DEP_1)
	v_mul_lo_u32 v2, v2, 6
	v_lshlrev_b64_e32 v[27:28], 2, v[2:3]
	s_delay_alu instid0(VALU_DEP_1) | instskip(SKIP_1) | instid1(VALU_DEP_2)
	v_add_co_u32 v27, vcc_lo, s10, v27
	s_wait_alu 0xfffd
	v_add_co_ci_u32_e64 v28, null, s11, v28, vcc_lo
	global_load_b64 v[39:40], v[27:28], off
	s_wait_loadcnt 0x0
	v_dual_fmac_f32 v12, v21, v39 :: v_dual_add_nc_u32 v5, 2, v2
	s_delay_alu instid0(VALU_DEP_1) | instskip(SKIP_1) | instid1(VALU_DEP_3)
	v_lshlrev_b64_e32 v[29:30], 2, v[5:6]
	v_dual_fmac_f32 v10, v19, v39 :: v_dual_add_nc_u32 v5, -8, v1
	v_fmac_f32_e32 v12, v17, v40
	s_delay_alu instid0(VALU_DEP_3) | instskip(SKIP_1) | instid1(VALU_DEP_4)
	v_add_co_u32 v27, vcc_lo, s10, v29
	s_wait_alu 0xfffd
	v_add_co_ci_u32_e64 v28, null, s11, v30, vcc_lo
	v_fmac_f32_e32 v10, v15, v40
	v_lshlrev_b64_e32 v[31:32], 2, v[5:6]
	v_add_nc_u32_e32 v5, -4, v1
	global_load_b64 v[41:42], v[27:28], off
	v_fmac_f32_e32 v13, v20, v39
	v_add_nc_u32_e32 v1, 0x180, v1
	v_lshlrev_b64_e32 v[33:34], 2, v[5:6]
	v_add_nc_u32_e32 v5, 4, v2
	v_add_co_u32 v2, vcc_lo, s8, v31
	s_wait_alu 0xfffd
	v_add_co_ci_u32_e64 v3, null, s9, v32, vcc_lo
	global_load_b128 v[27:30], v[2:3], off
	v_add_co_u32 v2, vcc_lo, s8, v33
	s_wait_alu 0xfffd
	v_add_co_ci_u32_e64 v3, null, s9, v34, vcc_lo
	s_wait_loadcnt 0x1
	v_fmac_f32_e32 v10, v23, v41
	v_lshlrev_b64_e32 v[31:32], 2, v[5:6]
	v_dual_fmac_f32 v11, v22, v39 :: v_dual_fmac_f32 v12, v25, v41
	v_fmac_f32_e32 v13, v16, v40
	s_delay_alu instid0(VALU_DEP_3) | instskip(SKIP_1) | instid1(VALU_DEP_4)
	v_add_co_u32 v37, vcc_lo, s10, v31
	s_wait_alu 0xfffd
	v_add_co_ci_u32_e64 v38, null, s11, v32, vcc_lo
	global_load_b128 v[31:34], v[2:3], off
	global_load_b64 v[2:3], v[37:38], off
	global_load_b128 v[35:38], v[35:36], off
	s_wait_loadcnt 0x3
	v_dual_fmac_f32 v10, v27, v42 :: v_dual_fmac_f32 v11, v18, v40
	v_dual_fmac_f32 v12, v29, v42 :: v_dual_fmac_f32 v13, v24, v41
	v_cmp_ge_i32_e32 vcc_lo, v7, v14
	s_wait_alu 0xfffe
	s_or_b32 s4, vcc_lo, s4
	s_wait_loadcnt 0x1
	v_dual_fmac_f32 v10, v31, v2 :: v_dual_fmac_f32 v11, v26, v41
	v_fmac_f32_e32 v12, v33, v2
	s_wait_loadcnt 0x0
	s_delay_alu instid0(VALU_DEP_2) | instskip(NEXT) | instid1(VALU_DEP_2)
	v_dual_fmac_f32 v13, v28, v42 :: v_dual_fmac_f32 v10, v35, v3
	v_dual_fmac_f32 v11, v30, v42 :: v_dual_fmac_f32 v12, v37, v3
	s_delay_alu instid0(VALU_DEP_2) | instskip(NEXT) | instid1(VALU_DEP_2)
	v_fmac_f32_e32 v13, v32, v2
	v_fmac_f32_e32 v11, v34, v2
	s_delay_alu instid0(VALU_DEP_2) | instskip(NEXT) | instid1(VALU_DEP_2)
	v_fmac_f32_e32 v13, v36, v3
	v_fmac_f32_e32 v11, v38, v3
	s_wait_alu 0xfffe
	s_and_not1_b32 exec_lo, exec_lo, s4
	s_cbranch_execnz .LBB22_9
; %bb.10:
	s_or_b32 exec_lo, exec_lo, s4
.LBB22_11:
	s_wait_alu 0xfffe
	s_or_b32 exec_lo, exec_lo, s3
	s_cbranch_execz .LBB22_13
	s_branch .LBB22_18
.LBB22_12:
                                        ; implicit-def: $vgpr10
                                        ; implicit-def: $vgpr11
                                        ; implicit-def: $vgpr12
                                        ; implicit-def: $vgpr13
.LBB22_13:
	v_dual_mov_b32 v10, 0 :: v_dual_mov_b32 v11, 0
	v_dual_mov_b32 v12, 0 :: v_dual_mov_b32 v13, 0
	s_and_saveexec_b32 s3, s2
	s_cbranch_execz .LBB22_17
; %bb.14:
	v_mad_co_u64_u32 v[2:3], null, v0, 24, 23
	v_dual_mov_b32 v6, 0 :: v_dual_mov_b32 v11, 0
	v_dual_mov_b32 v10, 0 :: v_dual_mov_b32 v13, 0
	v_mov_b32_e32 v12, 0
	s_mov_b32 s2, 0
.LBB22_15:                              ; =>This Inner Loop Header: Depth=1
	v_ashrrev_i32_e32 v1, 31, v0
	v_subrev_nc_u32_e32 v5, 23, v2
	v_dual_mov_b32 v16, v6 :: v_dual_add_nc_u32 v15, -5, v2
	v_mov_b32_e32 v3, v6
	s_delay_alu instid0(VALU_DEP_4) | instskip(NEXT) | instid1(VALU_DEP_4)
	v_lshlrev_b64_e32 v[7:8], 2, v[0:1]
	v_lshlrev_b64_e32 v[17:18], 2, v[5:6]
	v_mov_b32_e32 v24, v6
	v_add_nc_u32_e32 v0, 16, v0
	v_lshlrev_b64_e32 v[19:20], 2, v[2:3]
	v_add_co_u32 v7, vcc_lo, s6, v7
	s_wait_alu 0xfffd
	v_add_co_ci_u32_e64 v8, null, s7, v8, vcc_lo
	v_add_co_u32 v21, vcc_lo, s8, v17
	s_wait_alu 0xfffd
	v_add_co_ci_u32_e64 v22, null, s9, v18, vcc_lo
	global_load_b32 v1, v[7:8], off
	v_dual_mov_b32 v8, v6 :: v_dual_add_nc_u32 v7, -11, v2
	v_lshlrev_b64_e32 v[15:16], 2, v[15:16]
	s_delay_alu instid0(VALU_DEP_2) | instskip(NEXT) | instid1(VALU_DEP_1)
	v_lshlrev_b64_e32 v[7:8], 2, v[7:8]
	v_add_co_u32 v7, vcc_lo, s8, v7
	s_wait_alu 0xfffd
	s_delay_alu instid0(VALU_DEP_2) | instskip(NEXT) | instid1(VALU_DEP_4)
	v_add_co_ci_u32_e64 v8, null, s9, v8, vcc_lo
	v_add_co_u32 v27, vcc_lo, s8, v15
	s_wait_alu 0xfffd
	v_add_co_ci_u32_e64 v28, null, s9, v16, vcc_lo
	v_add_co_u32 v29, vcc_lo, s8, v19
	s_wait_alu 0xfffd
	v_add_co_ci_u32_e64 v30, null, s9, v20, vcc_lo
	s_clause 0x3
	global_load_b128 v[15:18], v[21:22], off offset:16
	global_load_b128 v[19:22], v[21:22], off
	global_load_b32 v3, v[7:8], off
	global_load_b32 v28, v[27:28], off
	v_add_nc_u32_e32 v5, -10, v2
	s_delay_alu instid0(VALU_DEP_1) | instskip(SKIP_1) | instid1(VALU_DEP_1)
	v_lshlrev_b64_e32 v[25:26], 2, v[5:6]
	v_add_nc_u32_e32 v5, -4, v2
	v_lshlrev_b64_e32 v[31:32], 2, v[5:6]
	s_delay_alu instid0(VALU_DEP_3) | instskip(SKIP_1) | instid1(VALU_DEP_4)
	v_add_co_u32 v7, vcc_lo, s8, v25
	s_wait_alu 0xfffd
	v_add_co_ci_u32_e64 v8, null, s9, v26, vcc_lo
	s_delay_alu instid0(VALU_DEP_3)
	v_add_co_u32 v25, vcc_lo, s8, v31
	s_wait_alu 0xfffd
	v_add_co_ci_u32_e64 v26, null, s9, v32, vcc_lo
	s_clause 0x1
	global_load_b32 v37, v[7:8], off
	global_load_b32 v38, v[25:26], off
	s_wait_loadcnt 0x6
	v_subrev_nc_u32_e32 v1, s16, v1
	s_delay_alu instid0(VALU_DEP_1) | instskip(NEXT) | instid1(VALU_DEP_1)
	v_mul_lo_u32 v23, v1, 6
	v_lshlrev_b64_e32 v[7:8], 2, v[23:24]
	s_delay_alu instid0(VALU_DEP_1) | instskip(SKIP_1) | instid1(VALU_DEP_2)
	v_add_co_u32 v7, vcc_lo, s10, v7
	s_wait_alu 0xfffd
	v_add_co_ci_u32_e64 v8, null, s11, v8, vcc_lo
	global_load_b64 v[7:8], v[7:8], off
	v_add_nc_u32_e32 v5, 2, v23
	s_delay_alu instid0(VALU_DEP_1) | instskip(NEXT) | instid1(VALU_DEP_1)
	v_lshlrev_b64_e32 v[24:25], 2, v[5:6]
	v_add_co_u32 v24, vcc_lo, s10, v24
	s_wait_alu 0xfffd
	s_delay_alu instid0(VALU_DEP_2)
	v_add_co_ci_u32_e64 v25, null, s11, v25, vcc_lo
	global_load_b64 v[24:25], v[24:25], off
	s_wait_loadcnt 0x1
	v_fmac_f32_e32 v10, v19, v7
	v_dual_fmac_f32 v12, v3, v7 :: v_dual_add_nc_u32 v5, -15, v2
	v_fmac_f32_e32 v13, v17, v7
	v_fmac_f32_e32 v11, v28, v7
	s_delay_alu instid0(VALU_DEP_4) | instskip(NEXT) | instid1(VALU_DEP_4)
	v_fmac_f32_e32 v10, v20, v8
	v_fmac_f32_e32 v12, v37, v8
	v_lshlrev_b64_e32 v[26:27], 2, v[5:6]
	v_add_nc_u32_e32 v5, -9, v2
	v_fmac_f32_e32 v13, v18, v8
	s_delay_alu instid0(VALU_DEP_3) | instskip(SKIP_1) | instid1(VALU_DEP_4)
	v_add_co_u32 v26, vcc_lo, s8, v26
	s_wait_alu 0xfffd
	v_add_co_ci_u32_e64 v27, null, s9, v27, vcc_lo
	s_wait_loadcnt 0x0
	v_fmac_f32_e32 v10, v21, v24
	v_lshlrev_b64_e32 v[31:32], 2, v[5:6]
	global_load_b32 v1, v[26:27], off
	v_fmac_f32_e32 v10, v22, v25
	v_add_co_u32 v31, vcc_lo, s8, v31
	s_wait_alu 0xfffd
	v_add_co_ci_u32_e64 v32, null, s9, v32, vcc_lo
	global_load_b32 v39, v[31:32], off
	v_add_nc_u32_e32 v5, -3, v2
	s_wait_loadcnt 0x1
	v_fmac_f32_e32 v13, v1, v24
	s_wait_loadcnt 0x0
	v_fmac_f32_e32 v12, v39, v24
	v_lshlrev_b64_e32 v[33:34], 2, v[5:6]
	v_add_nc_u32_e32 v5, -14, v2
	s_delay_alu instid0(VALU_DEP_1) | instskip(SKIP_1) | instid1(VALU_DEP_4)
	v_lshlrev_b64_e32 v[26:27], 2, v[5:6]
	v_add_nc_u32_e32 v5, -8, v2
	v_add_co_u32 v31, vcc_lo, s8, v33
	s_wait_alu 0xfffd
	v_add_co_ci_u32_e64 v32, null, s9, v34, vcc_lo
	s_delay_alu instid0(VALU_DEP_4)
	v_add_co_u32 v26, vcc_lo, s8, v26
	v_lshlrev_b64_e32 v[33:34], 2, v[5:6]
	v_add_nc_u32_e32 v5, -2, v2
	s_wait_alu 0xfffd
	v_add_co_ci_u32_e64 v27, null, s9, v27, vcc_lo
	global_load_b32 v40, v[31:32], off
	v_lshlrev_b64_e32 v[31:32], 2, v[5:6]
	v_add_nc_u32_e32 v5, 4, v23
	global_load_b32 v23, v[26:27], off
	v_add_co_u32 v26, vcc_lo, s8, v33
	s_wait_alu 0xfffd
	v_add_co_ci_u32_e64 v27, null, s9, v34, vcc_lo
	v_add_co_u32 v31, vcc_lo, s8, v31
	v_lshlrev_b64_e32 v[33:34], 2, v[5:6]
	global_load_b32 v41, v[26:27], off
	s_wait_alu 0xfffd
	v_add_co_ci_u32_e64 v32, null, s9, v32, vcc_lo
	global_load_b32 v42, v[31:32], off
	v_add_co_u32 v31, vcc_lo, s10, v33
	s_wait_alu 0xfffd
	v_add_co_ci_u32_e64 v32, null, s11, v34, vcc_lo
	global_load_b64 v[31:32], v[31:32], off
	s_wait_loadcnt 0x3
	v_fmac_f32_e32 v13, v23, v25
	s_wait_loadcnt 0x2
	v_dual_fmac_f32 v12, v41, v25 :: v_dual_add_nc_u32 v5, -13, v2
	s_delay_alu instid0(VALU_DEP_1) | instskip(SKIP_1) | instid1(VALU_DEP_1)
	v_lshlrev_b64_e32 v[26:27], 2, v[5:6]
	v_add_nc_u32_e32 v5, -7, v2
	v_lshlrev_b64_e32 v[33:34], 2, v[5:6]
	v_add_nc_u32_e32 v5, -1, v2
	s_delay_alu instid0(VALU_DEP_4) | instskip(SKIP_2) | instid1(VALU_DEP_3)
	v_add_co_u32 v26, vcc_lo, s8, v26
	s_wait_alu 0xfffd
	v_add_co_ci_u32_e64 v27, null, s9, v27, vcc_lo
	v_lshlrev_b64_e32 v[35:36], 2, v[5:6]
	s_wait_loadcnt 0x0
	v_dual_fmac_f32 v10, v15, v31 :: v_dual_add_nc_u32 v5, -12, v2
	global_load_b32 v43, v[26:27], off
	v_add_co_u32 v26, vcc_lo, s8, v33
	s_wait_alu 0xfffd
	v_add_co_ci_u32_e64 v27, null, s9, v34, vcc_lo
	v_lshlrev_b64_e32 v[33:34], 2, v[5:6]
	v_add_nc_u32_e32 v5, -6, v2
	v_add_co_u32 v35, vcc_lo, s8, v35
	global_load_b32 v44, v[26:27], off
	s_wait_alu 0xfffd
	v_add_co_ci_u32_e64 v36, null, s9, v36, vcc_lo
	v_lshlrev_b64_e32 v[26:27], 2, v[5:6]
	v_add_co_u32 v33, vcc_lo, s8, v33
	s_wait_alu 0xfffd
	v_add_co_ci_u32_e64 v34, null, s9, v34, vcc_lo
	global_load_b32 v5, v[35:36], off
	v_add_co_u32 v26, vcc_lo, s8, v26
	s_wait_alu 0xfffd
	v_add_co_ci_u32_e64 v27, null, s9, v27, vcc_lo
	s_clause 0x2
	global_load_b32 v33, v[33:34], off
	global_load_b32 v26, v[26:27], off
	;; [unrolled: 1-line block ×3, first 2 shown]
	v_dual_fmac_f32 v11, v38, v8 :: v_dual_add_nc_u32 v2, 0x180, v2
	v_cmp_ge_i32_e32 vcc_lo, v0, v14
	v_fmac_f32_e32 v10, v16, v32
	s_delay_alu instid0(VALU_DEP_3) | instskip(SKIP_2) | instid1(VALU_DEP_1)
	v_fmac_f32_e32 v11, v40, v24
	s_wait_alu 0xfffe
	s_or_b32 s2, vcc_lo, s2
	v_fmac_f32_e32 v11, v42, v25
	s_wait_loadcnt 0x5
	v_fmac_f32_e32 v13, v43, v31
	s_wait_loadcnt 0x4
	v_fmac_f32_e32 v12, v44, v31
	s_wait_loadcnt 0x3
	v_fmac_f32_e32 v11, v5, v31
	s_wait_loadcnt 0x2
	v_fmac_f32_e32 v13, v33, v32
	s_wait_loadcnt 0x1
	v_fmac_f32_e32 v12, v26, v32
	s_wait_loadcnt 0x0
	v_fmac_f32_e32 v11, v27, v32
	s_wait_alu 0xfffe
	s_and_not1_b32 exec_lo, exec_lo, s2
	s_cbranch_execnz .LBB22_15
; %bb.16:
	s_or_b32 exec_lo, exec_lo, s2
.LBB22_17:
	s_wait_alu 0xfffe
	s_or_b32 exec_lo, exec_lo, s3
.LBB22_18:
	v_mbcnt_lo_u32_b32 v0, -1, 0
	s_mov_b32 s2, -1
	s_delay_alu instid0(VALU_DEP_1) | instskip(SKIP_1) | instid1(VALU_DEP_2)
	v_xor_b32_e32 v1, 8, v0
	v_xor_b32_e32 v6, 4, v0
	v_cmp_gt_i32_e32 vcc_lo, 32, v1
	s_wait_alu 0xfffd
	v_cndmask_b32_e32 v1, v0, v1, vcc_lo
	s_delay_alu instid0(VALU_DEP_3) | instskip(SKIP_2) | instid1(VALU_DEP_1)
	v_cmp_gt_i32_e32 vcc_lo, 32, v6
	s_wait_alu 0xfffd
	v_cndmask_b32_e32 v6, v0, v6, vcc_lo
	v_lshlrev_b32_e32 v6, 2, v6
	v_lshlrev_b32_e32 v1, 2, v1
	ds_bpermute_b32 v2, v1, v10
	s_wait_dscnt 0x0
	v_add_f32_e32 v2, v10, v2
	ds_bpermute_b32 v3, v1, v13
	ds_bpermute_b32 v5, v1, v12
	;; [unrolled: 1-line block ×4, first 2 shown]
	s_wait_dscnt 0x3
	v_add_f32_e32 v3, v13, v3
	s_wait_dscnt 0x2
	v_add_f32_e32 v5, v12, v5
	;; [unrolled: 2-line block ×3, first 2 shown]
	v_xor_b32_e32 v11, 2, v0
	s_wait_dscnt 0x0
	v_add_f32_e32 v2, v2, v7
	ds_bpermute_b32 v8, v6, v3
	ds_bpermute_b32 v10, v6, v5
	;; [unrolled: 1-line block ×3, first 2 shown]
	v_cmp_gt_i32_e32 vcc_lo, 32, v11
	s_wait_alu 0xfffd
	v_cndmask_b32_e32 v11, v0, v11, vcc_lo
	s_wait_dscnt 0x2
	v_add_f32_e32 v3, v3, v8
	s_wait_dscnt 0x1
	v_add_f32_e32 v5, v5, v10
	s_wait_dscnt 0x0
	v_dual_add_f32 v6, v1, v6 :: v_dual_lshlrev_b32 v11, 2, v11
	ds_bpermute_b32 v1, v11, v2
	ds_bpermute_b32 v7, v11, v3
	;; [unrolled: 1-line block ×4, first 2 shown]
	v_xor_b32_e32 v11, 1, v0
	s_delay_alu instid0(VALU_DEP_1) | instskip(SKIP_4) | instid1(VALU_DEP_2)
	v_cmp_gt_i32_e32 vcc_lo, 32, v11
	s_wait_alu 0xfffd
	v_cndmask_b32_e32 v0, v0, v11, vcc_lo
	v_cmp_eq_u32_e32 vcc_lo, 15, v9
	s_wait_dscnt 0x3
	v_dual_add_f32 v0, v2, v1 :: v_dual_lshlrev_b32 v11, 2, v0
	s_wait_dscnt 0x1
	v_dual_add_f32 v1, v3, v7 :: v_dual_add_f32 v2, v5, v8
	s_wait_dscnt 0x0
	v_add_f32_e32 v3, v6, v10
	ds_bpermute_b32 v5, v11, v0
	ds_bpermute_b32 v6, v11, v1
	;; [unrolled: 1-line block ×4, first 2 shown]
	s_and_b32 exec_lo, exec_lo, vcc_lo
	s_cbranch_execz .LBB22_23
; %bb.19:
	s_load_b64 s[0:1], s[0:1], 0x38
	s_wait_dscnt 0x2
	v_dual_add_f32 v0, v0, v5 :: v_dual_add_f32 v1, v1, v6
	s_wait_dscnt 0x0
	v_dual_add_f32 v2, v2, v7 :: v_dual_add_f32 v3, v3, v8
	v_lshlrev_b32_e32 v4, 2, v4
	s_delay_alu instid0(VALU_DEP_3) | instskip(NEXT) | instid1(VALU_DEP_3)
	v_dual_mul_f32 v0, s14, v0 :: v_dual_mul_f32 v1, s14, v1
	v_dual_mul_f32 v2, s14, v2 :: v_dual_mul_f32 v3, s14, v3
	s_cmp_eq_f32 s12, 0
	s_cbranch_scc0 .LBB22_21
; %bb.20:
	v_ashrrev_i32_e32 v5, 31, v4
	s_mov_b32 s2, 0
	s_delay_alu instid0(VALU_DEP_1) | instskip(SKIP_1) | instid1(VALU_DEP_1)
	v_lshlrev_b64_e32 v[5:6], 2, v[4:5]
	s_wait_kmcnt 0x0
	v_add_co_u32 v5, vcc_lo, s0, v5
	s_wait_alu 0xfffd
	s_delay_alu instid0(VALU_DEP_2)
	v_add_co_ci_u32_e64 v6, null, s1, v6, vcc_lo
	global_store_b128 v[5:6], v[0:3], off
.LBB22_21:
	s_wait_alu 0xfffe
	s_and_not1_b32 vcc_lo, exec_lo, s2
	s_wait_alu 0xfffe
	s_cbranch_vccnz .LBB22_23
; %bb.22:
	v_ashrrev_i32_e32 v5, 31, v4
	s_delay_alu instid0(VALU_DEP_1) | instskip(SKIP_1) | instid1(VALU_DEP_1)
	v_lshlrev_b64_e32 v[4:5], 2, v[4:5]
	s_wait_kmcnt 0x0
	v_add_co_u32 v8, vcc_lo, s0, v4
	s_wait_alu 0xfffd
	s_delay_alu instid0(VALU_DEP_2)
	v_add_co_ci_u32_e64 v9, null, s1, v5, vcc_lo
	global_load_b128 v[4:7], v[8:9], off
	s_wait_loadcnt 0x0
	v_dual_fmac_f32 v0, s12, v4 :: v_dual_fmac_f32 v1, s12, v5
	v_dual_fmac_f32 v2, s12, v6 :: v_dual_fmac_f32 v3, s12, v7
	global_store_b128 v[8:9], v[0:3], off
.LBB22_23:
	s_endpgm
	.section	.rodata,"a",@progbits
	.p2align	6, 0x0
	.amdhsa_kernel _ZN9rocsparseL19gebsrmvn_4xn_kernelILj128ELj6ELj16EfEEvi20rocsparse_direction_NS_24const_host_device_scalarIT2_EEPKiS6_PKS3_S8_S4_PS3_21rocsparse_index_base_b
		.amdhsa_group_segment_fixed_size 0
		.amdhsa_private_segment_fixed_size 0
		.amdhsa_kernarg_size 72
		.amdhsa_user_sgpr_count 2
		.amdhsa_user_sgpr_dispatch_ptr 0
		.amdhsa_user_sgpr_queue_ptr 0
		.amdhsa_user_sgpr_kernarg_segment_ptr 1
		.amdhsa_user_sgpr_dispatch_id 0
		.amdhsa_user_sgpr_private_segment_size 0
		.amdhsa_wavefront_size32 1
		.amdhsa_uses_dynamic_stack 0
		.amdhsa_enable_private_segment 0
		.amdhsa_system_sgpr_workgroup_id_x 1
		.amdhsa_system_sgpr_workgroup_id_y 0
		.amdhsa_system_sgpr_workgroup_id_z 0
		.amdhsa_system_sgpr_workgroup_info 0
		.amdhsa_system_vgpr_workitem_id 0
		.amdhsa_next_free_vgpr 45
		.amdhsa_next_free_sgpr 18
		.amdhsa_reserve_vcc 1
		.amdhsa_float_round_mode_32 0
		.amdhsa_float_round_mode_16_64 0
		.amdhsa_float_denorm_mode_32 3
		.amdhsa_float_denorm_mode_16_64 3
		.amdhsa_fp16_overflow 0
		.amdhsa_workgroup_processor_mode 1
		.amdhsa_memory_ordered 1
		.amdhsa_forward_progress 1
		.amdhsa_inst_pref_size 22
		.amdhsa_round_robin_scheduling 0
		.amdhsa_exception_fp_ieee_invalid_op 0
		.amdhsa_exception_fp_denorm_src 0
		.amdhsa_exception_fp_ieee_div_zero 0
		.amdhsa_exception_fp_ieee_overflow 0
		.amdhsa_exception_fp_ieee_underflow 0
		.amdhsa_exception_fp_ieee_inexact 0
		.amdhsa_exception_int_div_zero 0
	.end_amdhsa_kernel
	.section	.text._ZN9rocsparseL19gebsrmvn_4xn_kernelILj128ELj6ELj16EfEEvi20rocsparse_direction_NS_24const_host_device_scalarIT2_EEPKiS6_PKS3_S8_S4_PS3_21rocsparse_index_base_b,"axG",@progbits,_ZN9rocsparseL19gebsrmvn_4xn_kernelILj128ELj6ELj16EfEEvi20rocsparse_direction_NS_24const_host_device_scalarIT2_EEPKiS6_PKS3_S8_S4_PS3_21rocsparse_index_base_b,comdat
.Lfunc_end22:
	.size	_ZN9rocsparseL19gebsrmvn_4xn_kernelILj128ELj6ELj16EfEEvi20rocsparse_direction_NS_24const_host_device_scalarIT2_EEPKiS6_PKS3_S8_S4_PS3_21rocsparse_index_base_b, .Lfunc_end22-_ZN9rocsparseL19gebsrmvn_4xn_kernelILj128ELj6ELj16EfEEvi20rocsparse_direction_NS_24const_host_device_scalarIT2_EEPKiS6_PKS3_S8_S4_PS3_21rocsparse_index_base_b
                                        ; -- End function
	.set _ZN9rocsparseL19gebsrmvn_4xn_kernelILj128ELj6ELj16EfEEvi20rocsparse_direction_NS_24const_host_device_scalarIT2_EEPKiS6_PKS3_S8_S4_PS3_21rocsparse_index_base_b.num_vgpr, 45
	.set _ZN9rocsparseL19gebsrmvn_4xn_kernelILj128ELj6ELj16EfEEvi20rocsparse_direction_NS_24const_host_device_scalarIT2_EEPKiS6_PKS3_S8_S4_PS3_21rocsparse_index_base_b.num_agpr, 0
	.set _ZN9rocsparseL19gebsrmvn_4xn_kernelILj128ELj6ELj16EfEEvi20rocsparse_direction_NS_24const_host_device_scalarIT2_EEPKiS6_PKS3_S8_S4_PS3_21rocsparse_index_base_b.numbered_sgpr, 18
	.set _ZN9rocsparseL19gebsrmvn_4xn_kernelILj128ELj6ELj16EfEEvi20rocsparse_direction_NS_24const_host_device_scalarIT2_EEPKiS6_PKS3_S8_S4_PS3_21rocsparse_index_base_b.num_named_barrier, 0
	.set _ZN9rocsparseL19gebsrmvn_4xn_kernelILj128ELj6ELj16EfEEvi20rocsparse_direction_NS_24const_host_device_scalarIT2_EEPKiS6_PKS3_S8_S4_PS3_21rocsparse_index_base_b.private_seg_size, 0
	.set _ZN9rocsparseL19gebsrmvn_4xn_kernelILj128ELj6ELj16EfEEvi20rocsparse_direction_NS_24const_host_device_scalarIT2_EEPKiS6_PKS3_S8_S4_PS3_21rocsparse_index_base_b.uses_vcc, 1
	.set _ZN9rocsparseL19gebsrmvn_4xn_kernelILj128ELj6ELj16EfEEvi20rocsparse_direction_NS_24const_host_device_scalarIT2_EEPKiS6_PKS3_S8_S4_PS3_21rocsparse_index_base_b.uses_flat_scratch, 0
	.set _ZN9rocsparseL19gebsrmvn_4xn_kernelILj128ELj6ELj16EfEEvi20rocsparse_direction_NS_24const_host_device_scalarIT2_EEPKiS6_PKS3_S8_S4_PS3_21rocsparse_index_base_b.has_dyn_sized_stack, 0
	.set _ZN9rocsparseL19gebsrmvn_4xn_kernelILj128ELj6ELj16EfEEvi20rocsparse_direction_NS_24const_host_device_scalarIT2_EEPKiS6_PKS3_S8_S4_PS3_21rocsparse_index_base_b.has_recursion, 0
	.set _ZN9rocsparseL19gebsrmvn_4xn_kernelILj128ELj6ELj16EfEEvi20rocsparse_direction_NS_24const_host_device_scalarIT2_EEPKiS6_PKS3_S8_S4_PS3_21rocsparse_index_base_b.has_indirect_call, 0
	.section	.AMDGPU.csdata,"",@progbits
; Kernel info:
; codeLenInByte = 2692
; TotalNumSgprs: 20
; NumVgprs: 45
; ScratchSize: 0
; MemoryBound: 0
; FloatMode: 240
; IeeeMode: 1
; LDSByteSize: 0 bytes/workgroup (compile time only)
; SGPRBlocks: 0
; VGPRBlocks: 5
; NumSGPRsForWavesPerEU: 20
; NumVGPRsForWavesPerEU: 45
; Occupancy: 16
; WaveLimiterHint : 1
; COMPUTE_PGM_RSRC2:SCRATCH_EN: 0
; COMPUTE_PGM_RSRC2:USER_SGPR: 2
; COMPUTE_PGM_RSRC2:TRAP_HANDLER: 0
; COMPUTE_PGM_RSRC2:TGID_X_EN: 1
; COMPUTE_PGM_RSRC2:TGID_Y_EN: 0
; COMPUTE_PGM_RSRC2:TGID_Z_EN: 0
; COMPUTE_PGM_RSRC2:TIDIG_COMP_CNT: 0
	.section	.text._ZN9rocsparseL19gebsrmvn_4xn_kernelILj128ELj6ELj32EfEEvi20rocsparse_direction_NS_24const_host_device_scalarIT2_EEPKiS6_PKS3_S8_S4_PS3_21rocsparse_index_base_b,"axG",@progbits,_ZN9rocsparseL19gebsrmvn_4xn_kernelILj128ELj6ELj32EfEEvi20rocsparse_direction_NS_24const_host_device_scalarIT2_EEPKiS6_PKS3_S8_S4_PS3_21rocsparse_index_base_b,comdat
	.globl	_ZN9rocsparseL19gebsrmvn_4xn_kernelILj128ELj6ELj32EfEEvi20rocsparse_direction_NS_24const_host_device_scalarIT2_EEPKiS6_PKS3_S8_S4_PS3_21rocsparse_index_base_b ; -- Begin function _ZN9rocsparseL19gebsrmvn_4xn_kernelILj128ELj6ELj32EfEEvi20rocsparse_direction_NS_24const_host_device_scalarIT2_EEPKiS6_PKS3_S8_S4_PS3_21rocsparse_index_base_b
	.p2align	8
	.type	_ZN9rocsparseL19gebsrmvn_4xn_kernelILj128ELj6ELj32EfEEvi20rocsparse_direction_NS_24const_host_device_scalarIT2_EEPKiS6_PKS3_S8_S4_PS3_21rocsparse_index_base_b,@function
_ZN9rocsparseL19gebsrmvn_4xn_kernelILj128ELj6ELj32EfEEvi20rocsparse_direction_NS_24const_host_device_scalarIT2_EEPKiS6_PKS3_S8_S4_PS3_21rocsparse_index_base_b: ; @_ZN9rocsparseL19gebsrmvn_4xn_kernelILj128ELj6ELj32EfEEvi20rocsparse_direction_NS_24const_host_device_scalarIT2_EEPKiS6_PKS3_S8_S4_PS3_21rocsparse_index_base_b
; %bb.0:
	s_clause 0x2
	s_load_b64 s[16:17], s[0:1], 0x40
	s_load_b64 s[14:15], s[0:1], 0x8
	;; [unrolled: 1-line block ×3, first 2 shown]
	s_wait_kmcnt 0x0
	s_bitcmp1_b32 s17, 0
	s_cselect_b32 s2, -1, 0
	s_delay_alu instid0(SALU_CYCLE_1)
	s_and_b32 vcc_lo, exec_lo, s2
	s_xor_b32 s2, s2, -1
	s_cbranch_vccnz .LBB23_2
; %bb.1:
	s_load_b32 s14, s[14:15], 0x0
.LBB23_2:
	s_and_not1_b32 vcc_lo, exec_lo, s2
	s_cbranch_vccnz .LBB23_4
; %bb.3:
	s_load_b32 s12, s[12:13], 0x0
.LBB23_4:
	s_wait_kmcnt 0x0
	s_cmp_eq_f32 s14, 0
	s_cselect_b32 s2, -1, 0
	s_cmp_eq_f32 s12, 1.0
	s_cselect_b32 s3, -1, 0
	s_delay_alu instid0(SALU_CYCLE_1) | instskip(NEXT) | instid1(SALU_CYCLE_1)
	s_and_b32 s2, s2, s3
	s_and_b32 vcc_lo, exec_lo, s2
	s_cbranch_vccnz .LBB23_23
; %bb.5:
	s_load_b64 s[2:3], s[0:1], 0x0
	v_lshrrev_b32_e32 v1, 5, v0
	s_delay_alu instid0(VALU_DEP_1) | instskip(SKIP_1) | instid1(VALU_DEP_1)
	v_lshl_or_b32 v4, ttmp9, 2, v1
	s_wait_kmcnt 0x0
	v_cmp_gt_i32_e32 vcc_lo, s2, v4
	s_and_saveexec_b32 s2, vcc_lo
	s_cbranch_execz .LBB23_23
; %bb.6:
	s_load_b256 s[4:11], s[0:1], 0x10
	v_ashrrev_i32_e32 v5, 31, v4
	v_and_b32_e32 v9, 31, v0
	s_cmp_lg_u32 s3, 0
	s_delay_alu instid0(VALU_DEP_2) | instskip(SKIP_1) | instid1(VALU_DEP_1)
	v_lshlrev_b64_e32 v[1:2], 2, v[4:5]
	s_wait_kmcnt 0x0
	v_add_co_u32 v1, vcc_lo, s4, v1
	s_delay_alu instid0(VALU_DEP_1) | instskip(SKIP_4) | instid1(VALU_DEP_2)
	v_add_co_ci_u32_e64 v2, null, s5, v2, vcc_lo
	global_load_b64 v[1:2], v[1:2], off
	s_wait_loadcnt 0x0
	v_subrev_nc_u32_e32 v0, s16, v1
	v_subrev_nc_u32_e32 v14, s16, v2
	v_add_nc_u32_e32 v0, v0, v9
	s_delay_alu instid0(VALU_DEP_1)
	v_cmp_lt_i32_e64 s2, v0, v14
	s_cbranch_scc0 .LBB23_12
; %bb.7:
	v_dual_mov_b32 v10, 0 :: v_dual_mov_b32 v11, 0
	v_dual_mov_b32 v12, 0 :: v_dual_mov_b32 v13, 0
	s_and_saveexec_b32 s3, s2
	s_cbranch_execz .LBB23_11
; %bb.8:
	v_mad_co_u64_u32 v[1:2], null, v0, 24, 20
	v_dual_mov_b32 v6, 0 :: v_dual_mov_b32 v7, v0
	v_dual_mov_b32 v10, 0 :: v_dual_mov_b32 v11, 0
	;; [unrolled: 1-line block ×3, first 2 shown]
	s_mov_b32 s4, 0
.LBB23_9:                               ; =>This Inner Loop Header: Depth=1
	s_delay_alu instid0(VALU_DEP_3) | instskip(SKIP_1) | instid1(VALU_DEP_2)
	v_ashrrev_i32_e32 v8, 31, v7
	v_subrev_nc_u32_e32 v5, 20, v1
	v_lshlrev_b64_e32 v[2:3], 2, v[7:8]
	s_delay_alu instid0(VALU_DEP_2) | instskip(SKIP_2) | instid1(VALU_DEP_4)
	v_lshlrev_b64_e32 v[15:16], 2, v[5:6]
	v_add_nc_u32_e32 v5, -12, v1
	v_add_nc_u32_e32 v7, 32, v7
	v_add_co_u32 v2, vcc_lo, s6, v2
	s_wait_alu 0xfffd
	v_add_co_ci_u32_e64 v3, null, s7, v3, vcc_lo
	v_lshlrev_b64_e32 v[19:20], 2, v[5:6]
	v_add_co_u32 v21, vcc_lo, s8, v15
	global_load_b32 v8, v[2:3], off
	v_dual_mov_b32 v3, v6 :: v_dual_mov_b32 v2, v6
	s_wait_alu 0xfffd
	v_add_co_ci_u32_e64 v22, null, s9, v16, vcc_lo
	s_delay_alu instid0(VALU_DEP_2) | instskip(NEXT) | instid1(VALU_DEP_1)
	v_lshlrev_b64_e32 v[17:18], 2, v[1:2]
	v_add_co_u32 v35, vcc_lo, s8, v17
	s_wait_alu 0xfffd
	s_delay_alu instid0(VALU_DEP_2)
	v_add_co_ci_u32_e64 v36, null, s9, v18, vcc_lo
	v_add_co_u32 v23, vcc_lo, s8, v19
	s_wait_alu 0xfffd
	v_add_co_ci_u32_e64 v24, null, s9, v20, vcc_lo
	s_clause 0x2
	global_load_b128 v[15:18], v[21:22], off offset:16
	global_load_b128 v[19:22], v[21:22], off
	global_load_b128 v[23:26], v[23:24], off
	s_wait_loadcnt 0x3
	v_subrev_nc_u32_e32 v2, s16, v8
	s_delay_alu instid0(VALU_DEP_1) | instskip(NEXT) | instid1(VALU_DEP_1)
	v_mul_lo_u32 v2, v2, 6
	v_lshlrev_b64_e32 v[27:28], 2, v[2:3]
	s_delay_alu instid0(VALU_DEP_1) | instskip(SKIP_1) | instid1(VALU_DEP_2)
	v_add_co_u32 v27, vcc_lo, s10, v27
	s_wait_alu 0xfffd
	v_add_co_ci_u32_e64 v28, null, s11, v28, vcc_lo
	global_load_b64 v[39:40], v[27:28], off
	s_wait_loadcnt 0x0
	v_dual_fmac_f32 v12, v21, v39 :: v_dual_add_nc_u32 v5, 2, v2
	s_delay_alu instid0(VALU_DEP_1) | instskip(SKIP_1) | instid1(VALU_DEP_3)
	v_lshlrev_b64_e32 v[29:30], 2, v[5:6]
	v_dual_fmac_f32 v10, v19, v39 :: v_dual_add_nc_u32 v5, -8, v1
	v_fmac_f32_e32 v12, v17, v40
	s_delay_alu instid0(VALU_DEP_3) | instskip(SKIP_1) | instid1(VALU_DEP_4)
	v_add_co_u32 v27, vcc_lo, s10, v29
	s_wait_alu 0xfffd
	v_add_co_ci_u32_e64 v28, null, s11, v30, vcc_lo
	v_fmac_f32_e32 v10, v15, v40
	v_lshlrev_b64_e32 v[31:32], 2, v[5:6]
	v_add_nc_u32_e32 v5, -4, v1
	global_load_b64 v[41:42], v[27:28], off
	v_fmac_f32_e32 v13, v20, v39
	v_add_nc_u32_e32 v1, 0x300, v1
	v_lshlrev_b64_e32 v[33:34], 2, v[5:6]
	v_add_nc_u32_e32 v5, 4, v2
	v_add_co_u32 v2, vcc_lo, s8, v31
	s_wait_alu 0xfffd
	v_add_co_ci_u32_e64 v3, null, s9, v32, vcc_lo
	global_load_b128 v[27:30], v[2:3], off
	v_add_co_u32 v2, vcc_lo, s8, v33
	s_wait_alu 0xfffd
	v_add_co_ci_u32_e64 v3, null, s9, v34, vcc_lo
	s_wait_loadcnt 0x1
	v_fmac_f32_e32 v10, v23, v41
	v_lshlrev_b64_e32 v[31:32], 2, v[5:6]
	v_dual_fmac_f32 v11, v22, v39 :: v_dual_fmac_f32 v12, v25, v41
	v_fmac_f32_e32 v13, v16, v40
	s_delay_alu instid0(VALU_DEP_3) | instskip(SKIP_1) | instid1(VALU_DEP_4)
	v_add_co_u32 v37, vcc_lo, s10, v31
	s_wait_alu 0xfffd
	v_add_co_ci_u32_e64 v38, null, s11, v32, vcc_lo
	global_load_b128 v[31:34], v[2:3], off
	global_load_b64 v[2:3], v[37:38], off
	global_load_b128 v[35:38], v[35:36], off
	s_wait_loadcnt 0x3
	v_dual_fmac_f32 v10, v27, v42 :: v_dual_fmac_f32 v11, v18, v40
	v_dual_fmac_f32 v12, v29, v42 :: v_dual_fmac_f32 v13, v24, v41
	v_cmp_ge_i32_e32 vcc_lo, v7, v14
	s_wait_alu 0xfffe
	s_or_b32 s4, vcc_lo, s4
	s_wait_loadcnt 0x1
	v_dual_fmac_f32 v10, v31, v2 :: v_dual_fmac_f32 v11, v26, v41
	v_fmac_f32_e32 v12, v33, v2
	s_wait_loadcnt 0x0
	s_delay_alu instid0(VALU_DEP_2) | instskip(NEXT) | instid1(VALU_DEP_2)
	v_dual_fmac_f32 v13, v28, v42 :: v_dual_fmac_f32 v10, v35, v3
	v_dual_fmac_f32 v11, v30, v42 :: v_dual_fmac_f32 v12, v37, v3
	s_delay_alu instid0(VALU_DEP_2) | instskip(NEXT) | instid1(VALU_DEP_2)
	v_fmac_f32_e32 v13, v32, v2
	v_fmac_f32_e32 v11, v34, v2
	s_delay_alu instid0(VALU_DEP_2) | instskip(NEXT) | instid1(VALU_DEP_2)
	v_fmac_f32_e32 v13, v36, v3
	v_fmac_f32_e32 v11, v38, v3
	s_wait_alu 0xfffe
	s_and_not1_b32 exec_lo, exec_lo, s4
	s_cbranch_execnz .LBB23_9
; %bb.10:
	s_or_b32 exec_lo, exec_lo, s4
.LBB23_11:
	s_wait_alu 0xfffe
	s_or_b32 exec_lo, exec_lo, s3
	s_cbranch_execz .LBB23_13
	s_branch .LBB23_18
.LBB23_12:
                                        ; implicit-def: $vgpr10
                                        ; implicit-def: $vgpr11
                                        ; implicit-def: $vgpr12
                                        ; implicit-def: $vgpr13
.LBB23_13:
	v_dual_mov_b32 v10, 0 :: v_dual_mov_b32 v11, 0
	v_dual_mov_b32 v12, 0 :: v_dual_mov_b32 v13, 0
	s_and_saveexec_b32 s3, s2
	s_cbranch_execz .LBB23_17
; %bb.14:
	v_mad_co_u64_u32 v[2:3], null, v0, 24, 23
	v_dual_mov_b32 v6, 0 :: v_dual_mov_b32 v11, 0
	v_dual_mov_b32 v10, 0 :: v_dual_mov_b32 v13, 0
	v_mov_b32_e32 v12, 0
	s_mov_b32 s2, 0
.LBB23_15:                              ; =>This Inner Loop Header: Depth=1
	v_ashrrev_i32_e32 v1, 31, v0
	v_subrev_nc_u32_e32 v5, 23, v2
	v_dual_mov_b32 v16, v6 :: v_dual_add_nc_u32 v15, -5, v2
	v_mov_b32_e32 v3, v6
	s_delay_alu instid0(VALU_DEP_4) | instskip(NEXT) | instid1(VALU_DEP_4)
	v_lshlrev_b64_e32 v[7:8], 2, v[0:1]
	v_lshlrev_b64_e32 v[17:18], 2, v[5:6]
	v_mov_b32_e32 v24, v6
	v_add_nc_u32_e32 v0, 32, v0
	v_lshlrev_b64_e32 v[19:20], 2, v[2:3]
	v_add_co_u32 v7, vcc_lo, s6, v7
	s_wait_alu 0xfffd
	v_add_co_ci_u32_e64 v8, null, s7, v8, vcc_lo
	v_add_co_u32 v21, vcc_lo, s8, v17
	s_wait_alu 0xfffd
	v_add_co_ci_u32_e64 v22, null, s9, v18, vcc_lo
	global_load_b32 v1, v[7:8], off
	v_dual_mov_b32 v8, v6 :: v_dual_add_nc_u32 v7, -11, v2
	v_lshlrev_b64_e32 v[15:16], 2, v[15:16]
	s_delay_alu instid0(VALU_DEP_2) | instskip(NEXT) | instid1(VALU_DEP_1)
	v_lshlrev_b64_e32 v[7:8], 2, v[7:8]
	v_add_co_u32 v7, vcc_lo, s8, v7
	s_wait_alu 0xfffd
	s_delay_alu instid0(VALU_DEP_2) | instskip(NEXT) | instid1(VALU_DEP_4)
	v_add_co_ci_u32_e64 v8, null, s9, v8, vcc_lo
	v_add_co_u32 v27, vcc_lo, s8, v15
	s_wait_alu 0xfffd
	v_add_co_ci_u32_e64 v28, null, s9, v16, vcc_lo
	v_add_co_u32 v29, vcc_lo, s8, v19
	s_wait_alu 0xfffd
	v_add_co_ci_u32_e64 v30, null, s9, v20, vcc_lo
	s_clause 0x3
	global_load_b128 v[15:18], v[21:22], off offset:16
	global_load_b128 v[19:22], v[21:22], off
	global_load_b32 v3, v[7:8], off
	global_load_b32 v28, v[27:28], off
	v_add_nc_u32_e32 v5, -10, v2
	s_delay_alu instid0(VALU_DEP_1) | instskip(SKIP_1) | instid1(VALU_DEP_1)
	v_lshlrev_b64_e32 v[25:26], 2, v[5:6]
	v_add_nc_u32_e32 v5, -4, v2
	v_lshlrev_b64_e32 v[31:32], 2, v[5:6]
	s_delay_alu instid0(VALU_DEP_3) | instskip(SKIP_1) | instid1(VALU_DEP_4)
	v_add_co_u32 v7, vcc_lo, s8, v25
	s_wait_alu 0xfffd
	v_add_co_ci_u32_e64 v8, null, s9, v26, vcc_lo
	s_delay_alu instid0(VALU_DEP_3)
	v_add_co_u32 v25, vcc_lo, s8, v31
	s_wait_alu 0xfffd
	v_add_co_ci_u32_e64 v26, null, s9, v32, vcc_lo
	s_clause 0x1
	global_load_b32 v37, v[7:8], off
	global_load_b32 v38, v[25:26], off
	s_wait_loadcnt 0x6
	v_subrev_nc_u32_e32 v1, s16, v1
	s_delay_alu instid0(VALU_DEP_1) | instskip(NEXT) | instid1(VALU_DEP_1)
	v_mul_lo_u32 v23, v1, 6
	v_lshlrev_b64_e32 v[7:8], 2, v[23:24]
	s_delay_alu instid0(VALU_DEP_1) | instskip(SKIP_1) | instid1(VALU_DEP_2)
	v_add_co_u32 v7, vcc_lo, s10, v7
	s_wait_alu 0xfffd
	v_add_co_ci_u32_e64 v8, null, s11, v8, vcc_lo
	global_load_b64 v[7:8], v[7:8], off
	v_add_nc_u32_e32 v5, 2, v23
	s_delay_alu instid0(VALU_DEP_1) | instskip(NEXT) | instid1(VALU_DEP_1)
	v_lshlrev_b64_e32 v[24:25], 2, v[5:6]
	v_add_co_u32 v24, vcc_lo, s10, v24
	s_wait_alu 0xfffd
	s_delay_alu instid0(VALU_DEP_2)
	v_add_co_ci_u32_e64 v25, null, s11, v25, vcc_lo
	global_load_b64 v[24:25], v[24:25], off
	s_wait_loadcnt 0x1
	v_fmac_f32_e32 v10, v19, v7
	v_dual_fmac_f32 v12, v3, v7 :: v_dual_add_nc_u32 v5, -15, v2
	v_fmac_f32_e32 v13, v17, v7
	v_fmac_f32_e32 v11, v28, v7
	s_delay_alu instid0(VALU_DEP_4) | instskip(NEXT) | instid1(VALU_DEP_4)
	v_fmac_f32_e32 v10, v20, v8
	v_fmac_f32_e32 v12, v37, v8
	v_lshlrev_b64_e32 v[26:27], 2, v[5:6]
	v_add_nc_u32_e32 v5, -9, v2
	v_fmac_f32_e32 v13, v18, v8
	s_delay_alu instid0(VALU_DEP_3) | instskip(SKIP_1) | instid1(VALU_DEP_4)
	v_add_co_u32 v26, vcc_lo, s8, v26
	s_wait_alu 0xfffd
	v_add_co_ci_u32_e64 v27, null, s9, v27, vcc_lo
	s_wait_loadcnt 0x0
	v_fmac_f32_e32 v10, v21, v24
	v_lshlrev_b64_e32 v[31:32], 2, v[5:6]
	global_load_b32 v1, v[26:27], off
	v_fmac_f32_e32 v10, v22, v25
	v_add_co_u32 v31, vcc_lo, s8, v31
	s_wait_alu 0xfffd
	v_add_co_ci_u32_e64 v32, null, s9, v32, vcc_lo
	global_load_b32 v39, v[31:32], off
	v_add_nc_u32_e32 v5, -3, v2
	s_wait_loadcnt 0x1
	v_fmac_f32_e32 v13, v1, v24
	s_wait_loadcnt 0x0
	v_fmac_f32_e32 v12, v39, v24
	v_lshlrev_b64_e32 v[33:34], 2, v[5:6]
	v_add_nc_u32_e32 v5, -14, v2
	s_delay_alu instid0(VALU_DEP_1) | instskip(SKIP_1) | instid1(VALU_DEP_4)
	v_lshlrev_b64_e32 v[26:27], 2, v[5:6]
	v_add_nc_u32_e32 v5, -8, v2
	v_add_co_u32 v31, vcc_lo, s8, v33
	s_wait_alu 0xfffd
	v_add_co_ci_u32_e64 v32, null, s9, v34, vcc_lo
	s_delay_alu instid0(VALU_DEP_4)
	v_add_co_u32 v26, vcc_lo, s8, v26
	v_lshlrev_b64_e32 v[33:34], 2, v[5:6]
	v_add_nc_u32_e32 v5, -2, v2
	s_wait_alu 0xfffd
	v_add_co_ci_u32_e64 v27, null, s9, v27, vcc_lo
	global_load_b32 v40, v[31:32], off
	v_lshlrev_b64_e32 v[31:32], 2, v[5:6]
	v_add_nc_u32_e32 v5, 4, v23
	global_load_b32 v23, v[26:27], off
	v_add_co_u32 v26, vcc_lo, s8, v33
	s_wait_alu 0xfffd
	v_add_co_ci_u32_e64 v27, null, s9, v34, vcc_lo
	v_add_co_u32 v31, vcc_lo, s8, v31
	v_lshlrev_b64_e32 v[33:34], 2, v[5:6]
	global_load_b32 v41, v[26:27], off
	s_wait_alu 0xfffd
	v_add_co_ci_u32_e64 v32, null, s9, v32, vcc_lo
	global_load_b32 v42, v[31:32], off
	v_add_co_u32 v31, vcc_lo, s10, v33
	s_wait_alu 0xfffd
	v_add_co_ci_u32_e64 v32, null, s11, v34, vcc_lo
	global_load_b64 v[31:32], v[31:32], off
	s_wait_loadcnt 0x3
	v_fmac_f32_e32 v13, v23, v25
	s_wait_loadcnt 0x2
	v_dual_fmac_f32 v12, v41, v25 :: v_dual_add_nc_u32 v5, -13, v2
	s_delay_alu instid0(VALU_DEP_1) | instskip(SKIP_1) | instid1(VALU_DEP_1)
	v_lshlrev_b64_e32 v[26:27], 2, v[5:6]
	v_add_nc_u32_e32 v5, -7, v2
	v_lshlrev_b64_e32 v[33:34], 2, v[5:6]
	v_add_nc_u32_e32 v5, -1, v2
	s_delay_alu instid0(VALU_DEP_4) | instskip(SKIP_2) | instid1(VALU_DEP_3)
	v_add_co_u32 v26, vcc_lo, s8, v26
	s_wait_alu 0xfffd
	v_add_co_ci_u32_e64 v27, null, s9, v27, vcc_lo
	v_lshlrev_b64_e32 v[35:36], 2, v[5:6]
	s_wait_loadcnt 0x0
	v_dual_fmac_f32 v10, v15, v31 :: v_dual_add_nc_u32 v5, -12, v2
	global_load_b32 v43, v[26:27], off
	v_add_co_u32 v26, vcc_lo, s8, v33
	s_wait_alu 0xfffd
	v_add_co_ci_u32_e64 v27, null, s9, v34, vcc_lo
	v_lshlrev_b64_e32 v[33:34], 2, v[5:6]
	v_add_nc_u32_e32 v5, -6, v2
	v_add_co_u32 v35, vcc_lo, s8, v35
	global_load_b32 v44, v[26:27], off
	s_wait_alu 0xfffd
	v_add_co_ci_u32_e64 v36, null, s9, v36, vcc_lo
	v_lshlrev_b64_e32 v[26:27], 2, v[5:6]
	v_add_co_u32 v33, vcc_lo, s8, v33
	s_wait_alu 0xfffd
	v_add_co_ci_u32_e64 v34, null, s9, v34, vcc_lo
	global_load_b32 v5, v[35:36], off
	v_add_co_u32 v26, vcc_lo, s8, v26
	s_wait_alu 0xfffd
	v_add_co_ci_u32_e64 v27, null, s9, v27, vcc_lo
	s_clause 0x2
	global_load_b32 v33, v[33:34], off
	global_load_b32 v26, v[26:27], off
	;; [unrolled: 1-line block ×3, first 2 shown]
	v_dual_fmac_f32 v11, v38, v8 :: v_dual_add_nc_u32 v2, 0x300, v2
	v_cmp_ge_i32_e32 vcc_lo, v0, v14
	v_fmac_f32_e32 v10, v16, v32
	s_delay_alu instid0(VALU_DEP_3) | instskip(SKIP_2) | instid1(VALU_DEP_1)
	v_fmac_f32_e32 v11, v40, v24
	s_wait_alu 0xfffe
	s_or_b32 s2, vcc_lo, s2
	v_fmac_f32_e32 v11, v42, v25
	s_wait_loadcnt 0x5
	v_fmac_f32_e32 v13, v43, v31
	s_wait_loadcnt 0x4
	;; [unrolled: 2-line block ×6, first 2 shown]
	v_fmac_f32_e32 v11, v27, v32
	s_wait_alu 0xfffe
	s_and_not1_b32 exec_lo, exec_lo, s2
	s_cbranch_execnz .LBB23_15
; %bb.16:
	s_or_b32 exec_lo, exec_lo, s2
.LBB23_17:
	s_wait_alu 0xfffe
	s_or_b32 exec_lo, exec_lo, s3
.LBB23_18:
	v_mbcnt_lo_u32_b32 v0, -1, 0
	s_mov_b32 s2, -1
	s_delay_alu instid0(VALU_DEP_1) | instskip(SKIP_1) | instid1(VALU_DEP_2)
	v_xor_b32_e32 v1, 16, v0
	v_xor_b32_e32 v6, 8, v0
	v_cmp_gt_i32_e32 vcc_lo, 32, v1
	s_wait_alu 0xfffd
	v_cndmask_b32_e32 v1, v0, v1, vcc_lo
	s_delay_alu instid0(VALU_DEP_3) | instskip(SKIP_2) | instid1(VALU_DEP_1)
	v_cmp_gt_i32_e32 vcc_lo, 32, v6
	s_wait_alu 0xfffd
	v_cndmask_b32_e32 v6, v0, v6, vcc_lo
	v_lshlrev_b32_e32 v6, 2, v6
	v_lshlrev_b32_e32 v1, 2, v1
	ds_bpermute_b32 v2, v1, v10
	s_wait_dscnt 0x0
	v_add_f32_e32 v2, v10, v2
	ds_bpermute_b32 v3, v1, v13
	ds_bpermute_b32 v5, v1, v12
	;; [unrolled: 1-line block ×4, first 2 shown]
	s_wait_dscnt 0x3
	v_add_f32_e32 v3, v13, v3
	s_wait_dscnt 0x0
	v_dual_add_f32 v5, v12, v5 :: v_dual_add_f32 v2, v2, v7
	v_add_f32_e32 v1, v11, v1
	ds_bpermute_b32 v8, v6, v3
	ds_bpermute_b32 v10, v6, v5
	v_xor_b32_e32 v11, 4, v0
	ds_bpermute_b32 v6, v6, v1
	v_cmp_gt_i32_e32 vcc_lo, 32, v11
	s_wait_dscnt 0x2
	v_add_f32_e32 v3, v3, v8
	s_wait_dscnt 0x1
	v_add_f32_e32 v5, v5, v10
	;; [unrolled: 2-line block ×3, first 2 shown]
	s_wait_alu 0xfffd
	v_cndmask_b32_e32 v11, v0, v11, vcc_lo
	s_delay_alu instid0(VALU_DEP_1)
	v_lshlrev_b32_e32 v11, 2, v11
	ds_bpermute_b32 v8, v11, v5
	ds_bpermute_b32 v6, v11, v2
	ds_bpermute_b32 v7, v11, v3
	ds_bpermute_b32 v10, v11, v1
	v_xor_b32_e32 v11, 2, v0
	s_delay_alu instid0(VALU_DEP_1)
	v_cmp_gt_i32_e32 vcc_lo, 32, v11
	s_wait_dscnt 0x3
	v_add_f32_e32 v5, v5, v8
	s_wait_dscnt 0x2
	s_wait_alu 0xfffd
	v_dual_cndmask_b32 v11, v0, v11 :: v_dual_add_f32 v2, v2, v6
	s_wait_dscnt 0x0
	v_dual_add_f32 v3, v3, v7 :: v_dual_add_f32 v6, v1, v10
	s_delay_alu instid0(VALU_DEP_2)
	v_lshlrev_b32_e32 v11, 2, v11
	ds_bpermute_b32 v1, v11, v2
	ds_bpermute_b32 v7, v11, v3
	;; [unrolled: 1-line block ×4, first 2 shown]
	v_xor_b32_e32 v11, 1, v0
	s_delay_alu instid0(VALU_DEP_1) | instskip(SKIP_4) | instid1(VALU_DEP_2)
	v_cmp_gt_i32_e32 vcc_lo, 32, v11
	s_wait_alu 0xfffd
	v_cndmask_b32_e32 v0, v0, v11, vcc_lo
	v_cmp_eq_u32_e32 vcc_lo, 31, v9
	s_wait_dscnt 0x3
	v_dual_add_f32 v0, v2, v1 :: v_dual_lshlrev_b32 v11, 2, v0
	s_wait_dscnt 0x1
	v_dual_add_f32 v1, v3, v7 :: v_dual_add_f32 v2, v5, v8
	s_wait_dscnt 0x0
	v_add_f32_e32 v3, v6, v10
	ds_bpermute_b32 v5, v11, v0
	ds_bpermute_b32 v6, v11, v1
	;; [unrolled: 1-line block ×4, first 2 shown]
	s_and_b32 exec_lo, exec_lo, vcc_lo
	s_cbranch_execz .LBB23_23
; %bb.19:
	s_load_b64 s[0:1], s[0:1], 0x38
	s_wait_dscnt 0x2
	v_dual_add_f32 v0, v0, v5 :: v_dual_add_f32 v1, v1, v6
	s_wait_dscnt 0x0
	v_dual_add_f32 v2, v2, v7 :: v_dual_add_f32 v3, v3, v8
	v_lshlrev_b32_e32 v4, 2, v4
	s_delay_alu instid0(VALU_DEP_3) | instskip(NEXT) | instid1(VALU_DEP_3)
	v_dual_mul_f32 v0, s14, v0 :: v_dual_mul_f32 v1, s14, v1
	v_dual_mul_f32 v2, s14, v2 :: v_dual_mul_f32 v3, s14, v3
	s_cmp_eq_f32 s12, 0
	s_cbranch_scc0 .LBB23_21
; %bb.20:
	v_ashrrev_i32_e32 v5, 31, v4
	s_mov_b32 s2, 0
	s_delay_alu instid0(VALU_DEP_1) | instskip(SKIP_1) | instid1(VALU_DEP_1)
	v_lshlrev_b64_e32 v[5:6], 2, v[4:5]
	s_wait_kmcnt 0x0
	v_add_co_u32 v5, vcc_lo, s0, v5
	s_wait_alu 0xfffd
	s_delay_alu instid0(VALU_DEP_2)
	v_add_co_ci_u32_e64 v6, null, s1, v6, vcc_lo
	global_store_b128 v[5:6], v[0:3], off
.LBB23_21:
	s_wait_alu 0xfffe
	s_and_not1_b32 vcc_lo, exec_lo, s2
	s_wait_alu 0xfffe
	s_cbranch_vccnz .LBB23_23
; %bb.22:
	v_ashrrev_i32_e32 v5, 31, v4
	s_delay_alu instid0(VALU_DEP_1) | instskip(SKIP_1) | instid1(VALU_DEP_1)
	v_lshlrev_b64_e32 v[4:5], 2, v[4:5]
	s_wait_kmcnt 0x0
	v_add_co_u32 v8, vcc_lo, s0, v4
	s_wait_alu 0xfffd
	s_delay_alu instid0(VALU_DEP_2)
	v_add_co_ci_u32_e64 v9, null, s1, v5, vcc_lo
	global_load_b128 v[4:7], v[8:9], off
	s_wait_loadcnt 0x0
	v_dual_fmac_f32 v0, s12, v4 :: v_dual_fmac_f32 v1, s12, v5
	v_dual_fmac_f32 v2, s12, v6 :: v_dual_fmac_f32 v3, s12, v7
	global_store_b128 v[8:9], v[0:3], off
.LBB23_23:
	s_endpgm
	.section	.rodata,"a",@progbits
	.p2align	6, 0x0
	.amdhsa_kernel _ZN9rocsparseL19gebsrmvn_4xn_kernelILj128ELj6ELj32EfEEvi20rocsparse_direction_NS_24const_host_device_scalarIT2_EEPKiS6_PKS3_S8_S4_PS3_21rocsparse_index_base_b
		.amdhsa_group_segment_fixed_size 0
		.amdhsa_private_segment_fixed_size 0
		.amdhsa_kernarg_size 72
		.amdhsa_user_sgpr_count 2
		.amdhsa_user_sgpr_dispatch_ptr 0
		.amdhsa_user_sgpr_queue_ptr 0
		.amdhsa_user_sgpr_kernarg_segment_ptr 1
		.amdhsa_user_sgpr_dispatch_id 0
		.amdhsa_user_sgpr_private_segment_size 0
		.amdhsa_wavefront_size32 1
		.amdhsa_uses_dynamic_stack 0
		.amdhsa_enable_private_segment 0
		.amdhsa_system_sgpr_workgroup_id_x 1
		.amdhsa_system_sgpr_workgroup_id_y 0
		.amdhsa_system_sgpr_workgroup_id_z 0
		.amdhsa_system_sgpr_workgroup_info 0
		.amdhsa_system_vgpr_workitem_id 0
		.amdhsa_next_free_vgpr 45
		.amdhsa_next_free_sgpr 18
		.amdhsa_reserve_vcc 1
		.amdhsa_float_round_mode_32 0
		.amdhsa_float_round_mode_16_64 0
		.amdhsa_float_denorm_mode_32 3
		.amdhsa_float_denorm_mode_16_64 3
		.amdhsa_fp16_overflow 0
		.amdhsa_workgroup_processor_mode 1
		.amdhsa_memory_ordered 1
		.amdhsa_forward_progress 1
		.amdhsa_inst_pref_size 22
		.amdhsa_round_robin_scheduling 0
		.amdhsa_exception_fp_ieee_invalid_op 0
		.amdhsa_exception_fp_denorm_src 0
		.amdhsa_exception_fp_ieee_div_zero 0
		.amdhsa_exception_fp_ieee_overflow 0
		.amdhsa_exception_fp_ieee_underflow 0
		.amdhsa_exception_fp_ieee_inexact 0
		.amdhsa_exception_int_div_zero 0
	.end_amdhsa_kernel
	.section	.text._ZN9rocsparseL19gebsrmvn_4xn_kernelILj128ELj6ELj32EfEEvi20rocsparse_direction_NS_24const_host_device_scalarIT2_EEPKiS6_PKS3_S8_S4_PS3_21rocsparse_index_base_b,"axG",@progbits,_ZN9rocsparseL19gebsrmvn_4xn_kernelILj128ELj6ELj32EfEEvi20rocsparse_direction_NS_24const_host_device_scalarIT2_EEPKiS6_PKS3_S8_S4_PS3_21rocsparse_index_base_b,comdat
.Lfunc_end23:
	.size	_ZN9rocsparseL19gebsrmvn_4xn_kernelILj128ELj6ELj32EfEEvi20rocsparse_direction_NS_24const_host_device_scalarIT2_EEPKiS6_PKS3_S8_S4_PS3_21rocsparse_index_base_b, .Lfunc_end23-_ZN9rocsparseL19gebsrmvn_4xn_kernelILj128ELj6ELj32EfEEvi20rocsparse_direction_NS_24const_host_device_scalarIT2_EEPKiS6_PKS3_S8_S4_PS3_21rocsparse_index_base_b
                                        ; -- End function
	.set _ZN9rocsparseL19gebsrmvn_4xn_kernelILj128ELj6ELj32EfEEvi20rocsparse_direction_NS_24const_host_device_scalarIT2_EEPKiS6_PKS3_S8_S4_PS3_21rocsparse_index_base_b.num_vgpr, 45
	.set _ZN9rocsparseL19gebsrmvn_4xn_kernelILj128ELj6ELj32EfEEvi20rocsparse_direction_NS_24const_host_device_scalarIT2_EEPKiS6_PKS3_S8_S4_PS3_21rocsparse_index_base_b.num_agpr, 0
	.set _ZN9rocsparseL19gebsrmvn_4xn_kernelILj128ELj6ELj32EfEEvi20rocsparse_direction_NS_24const_host_device_scalarIT2_EEPKiS6_PKS3_S8_S4_PS3_21rocsparse_index_base_b.numbered_sgpr, 18
	.set _ZN9rocsparseL19gebsrmvn_4xn_kernelILj128ELj6ELj32EfEEvi20rocsparse_direction_NS_24const_host_device_scalarIT2_EEPKiS6_PKS3_S8_S4_PS3_21rocsparse_index_base_b.num_named_barrier, 0
	.set _ZN9rocsparseL19gebsrmvn_4xn_kernelILj128ELj6ELj32EfEEvi20rocsparse_direction_NS_24const_host_device_scalarIT2_EEPKiS6_PKS3_S8_S4_PS3_21rocsparse_index_base_b.private_seg_size, 0
	.set _ZN9rocsparseL19gebsrmvn_4xn_kernelILj128ELj6ELj32EfEEvi20rocsparse_direction_NS_24const_host_device_scalarIT2_EEPKiS6_PKS3_S8_S4_PS3_21rocsparse_index_base_b.uses_vcc, 1
	.set _ZN9rocsparseL19gebsrmvn_4xn_kernelILj128ELj6ELj32EfEEvi20rocsparse_direction_NS_24const_host_device_scalarIT2_EEPKiS6_PKS3_S8_S4_PS3_21rocsparse_index_base_b.uses_flat_scratch, 0
	.set _ZN9rocsparseL19gebsrmvn_4xn_kernelILj128ELj6ELj32EfEEvi20rocsparse_direction_NS_24const_host_device_scalarIT2_EEPKiS6_PKS3_S8_S4_PS3_21rocsparse_index_base_b.has_dyn_sized_stack, 0
	.set _ZN9rocsparseL19gebsrmvn_4xn_kernelILj128ELj6ELj32EfEEvi20rocsparse_direction_NS_24const_host_device_scalarIT2_EEPKiS6_PKS3_S8_S4_PS3_21rocsparse_index_base_b.has_recursion, 0
	.set _ZN9rocsparseL19gebsrmvn_4xn_kernelILj128ELj6ELj32EfEEvi20rocsparse_direction_NS_24const_host_device_scalarIT2_EEPKiS6_PKS3_S8_S4_PS3_21rocsparse_index_base_b.has_indirect_call, 0
	.section	.AMDGPU.csdata,"",@progbits
; Kernel info:
; codeLenInByte = 2776
; TotalNumSgprs: 20
; NumVgprs: 45
; ScratchSize: 0
; MemoryBound: 0
; FloatMode: 240
; IeeeMode: 1
; LDSByteSize: 0 bytes/workgroup (compile time only)
; SGPRBlocks: 0
; VGPRBlocks: 5
; NumSGPRsForWavesPerEU: 20
; NumVGPRsForWavesPerEU: 45
; Occupancy: 16
; WaveLimiterHint : 1
; COMPUTE_PGM_RSRC2:SCRATCH_EN: 0
; COMPUTE_PGM_RSRC2:USER_SGPR: 2
; COMPUTE_PGM_RSRC2:TRAP_HANDLER: 0
; COMPUTE_PGM_RSRC2:TGID_X_EN: 1
; COMPUTE_PGM_RSRC2:TGID_Y_EN: 0
; COMPUTE_PGM_RSRC2:TGID_Z_EN: 0
; COMPUTE_PGM_RSRC2:TIDIG_COMP_CNT: 0
	.section	.text._ZN9rocsparseL19gebsrmvn_4xn_kernelILj128ELj6ELj64EfEEvi20rocsparse_direction_NS_24const_host_device_scalarIT2_EEPKiS6_PKS3_S8_S4_PS3_21rocsparse_index_base_b,"axG",@progbits,_ZN9rocsparseL19gebsrmvn_4xn_kernelILj128ELj6ELj64EfEEvi20rocsparse_direction_NS_24const_host_device_scalarIT2_EEPKiS6_PKS3_S8_S4_PS3_21rocsparse_index_base_b,comdat
	.globl	_ZN9rocsparseL19gebsrmvn_4xn_kernelILj128ELj6ELj64EfEEvi20rocsparse_direction_NS_24const_host_device_scalarIT2_EEPKiS6_PKS3_S8_S4_PS3_21rocsparse_index_base_b ; -- Begin function _ZN9rocsparseL19gebsrmvn_4xn_kernelILj128ELj6ELj64EfEEvi20rocsparse_direction_NS_24const_host_device_scalarIT2_EEPKiS6_PKS3_S8_S4_PS3_21rocsparse_index_base_b
	.p2align	8
	.type	_ZN9rocsparseL19gebsrmvn_4xn_kernelILj128ELj6ELj64EfEEvi20rocsparse_direction_NS_24const_host_device_scalarIT2_EEPKiS6_PKS3_S8_S4_PS3_21rocsparse_index_base_b,@function
_ZN9rocsparseL19gebsrmvn_4xn_kernelILj128ELj6ELj64EfEEvi20rocsparse_direction_NS_24const_host_device_scalarIT2_EEPKiS6_PKS3_S8_S4_PS3_21rocsparse_index_base_b: ; @_ZN9rocsparseL19gebsrmvn_4xn_kernelILj128ELj6ELj64EfEEvi20rocsparse_direction_NS_24const_host_device_scalarIT2_EEPKiS6_PKS3_S8_S4_PS3_21rocsparse_index_base_b
; %bb.0:
	s_clause 0x2
	s_load_b64 s[16:17], s[0:1], 0x40
	s_load_b64 s[14:15], s[0:1], 0x8
	;; [unrolled: 1-line block ×3, first 2 shown]
	s_wait_kmcnt 0x0
	s_bitcmp1_b32 s17, 0
	s_cselect_b32 s2, -1, 0
	s_delay_alu instid0(SALU_CYCLE_1)
	s_and_b32 vcc_lo, exec_lo, s2
	s_xor_b32 s2, s2, -1
	s_cbranch_vccnz .LBB24_2
; %bb.1:
	s_load_b32 s14, s[14:15], 0x0
.LBB24_2:
	s_and_not1_b32 vcc_lo, exec_lo, s2
	s_cbranch_vccnz .LBB24_4
; %bb.3:
	s_load_b32 s12, s[12:13], 0x0
.LBB24_4:
	s_wait_kmcnt 0x0
	s_cmp_eq_f32 s14, 0
	s_cselect_b32 s2, -1, 0
	s_cmp_eq_f32 s12, 1.0
	s_cselect_b32 s3, -1, 0
	s_delay_alu instid0(SALU_CYCLE_1) | instskip(NEXT) | instid1(SALU_CYCLE_1)
	s_and_b32 s2, s2, s3
	s_and_b32 vcc_lo, exec_lo, s2
	s_cbranch_vccnz .LBB24_23
; %bb.5:
	s_load_b64 s[2:3], s[0:1], 0x0
	v_lshrrev_b32_e32 v1, 6, v0
	s_delay_alu instid0(VALU_DEP_1) | instskip(SKIP_1) | instid1(VALU_DEP_1)
	v_lshl_or_b32 v4, ttmp9, 1, v1
	s_wait_kmcnt 0x0
	v_cmp_gt_i32_e32 vcc_lo, s2, v4
	s_and_saveexec_b32 s2, vcc_lo
	s_cbranch_execz .LBB24_23
; %bb.6:
	s_load_b256 s[4:11], s[0:1], 0x10
	v_ashrrev_i32_e32 v5, 31, v4
	v_and_b32_e32 v9, 63, v0
	s_cmp_lg_u32 s3, 0
	s_delay_alu instid0(VALU_DEP_2) | instskip(SKIP_1) | instid1(VALU_DEP_1)
	v_lshlrev_b64_e32 v[1:2], 2, v[4:5]
	s_wait_kmcnt 0x0
	v_add_co_u32 v1, vcc_lo, s4, v1
	s_delay_alu instid0(VALU_DEP_1) | instskip(SKIP_4) | instid1(VALU_DEP_2)
	v_add_co_ci_u32_e64 v2, null, s5, v2, vcc_lo
	global_load_b64 v[1:2], v[1:2], off
	s_wait_loadcnt 0x0
	v_subrev_nc_u32_e32 v0, s16, v1
	v_subrev_nc_u32_e32 v14, s16, v2
	v_add_nc_u32_e32 v0, v0, v9
	s_delay_alu instid0(VALU_DEP_1)
	v_cmp_lt_i32_e64 s2, v0, v14
	s_cbranch_scc0 .LBB24_12
; %bb.7:
	v_dual_mov_b32 v10, 0 :: v_dual_mov_b32 v11, 0
	v_dual_mov_b32 v12, 0 :: v_dual_mov_b32 v13, 0
	s_and_saveexec_b32 s3, s2
	s_cbranch_execz .LBB24_11
; %bb.8:
	v_mad_co_u64_u32 v[1:2], null, v0, 24, 20
	v_dual_mov_b32 v6, 0 :: v_dual_mov_b32 v7, v0
	v_dual_mov_b32 v10, 0 :: v_dual_mov_b32 v11, 0
	;; [unrolled: 1-line block ×3, first 2 shown]
	s_mov_b32 s4, 0
.LBB24_9:                               ; =>This Inner Loop Header: Depth=1
	s_delay_alu instid0(VALU_DEP_3) | instskip(SKIP_1) | instid1(VALU_DEP_2)
	v_ashrrev_i32_e32 v8, 31, v7
	v_subrev_nc_u32_e32 v5, 20, v1
	v_lshlrev_b64_e32 v[2:3], 2, v[7:8]
	s_delay_alu instid0(VALU_DEP_2) | instskip(SKIP_2) | instid1(VALU_DEP_4)
	v_lshlrev_b64_e32 v[15:16], 2, v[5:6]
	v_add_nc_u32_e32 v5, -12, v1
	v_add_nc_u32_e32 v7, 64, v7
	v_add_co_u32 v2, vcc_lo, s6, v2
	s_wait_alu 0xfffd
	v_add_co_ci_u32_e64 v3, null, s7, v3, vcc_lo
	v_lshlrev_b64_e32 v[19:20], 2, v[5:6]
	v_add_co_u32 v21, vcc_lo, s8, v15
	global_load_b32 v8, v[2:3], off
	v_dual_mov_b32 v3, v6 :: v_dual_mov_b32 v2, v6
	s_wait_alu 0xfffd
	v_add_co_ci_u32_e64 v22, null, s9, v16, vcc_lo
	s_delay_alu instid0(VALU_DEP_2) | instskip(NEXT) | instid1(VALU_DEP_1)
	v_lshlrev_b64_e32 v[17:18], 2, v[1:2]
	v_add_co_u32 v35, vcc_lo, s8, v17
	s_wait_alu 0xfffd
	s_delay_alu instid0(VALU_DEP_2)
	v_add_co_ci_u32_e64 v36, null, s9, v18, vcc_lo
	v_add_co_u32 v23, vcc_lo, s8, v19
	s_wait_alu 0xfffd
	v_add_co_ci_u32_e64 v24, null, s9, v20, vcc_lo
	s_clause 0x2
	global_load_b128 v[15:18], v[21:22], off offset:16
	global_load_b128 v[19:22], v[21:22], off
	global_load_b128 v[23:26], v[23:24], off
	s_wait_loadcnt 0x3
	v_subrev_nc_u32_e32 v2, s16, v8
	s_delay_alu instid0(VALU_DEP_1) | instskip(NEXT) | instid1(VALU_DEP_1)
	v_mul_lo_u32 v2, v2, 6
	v_lshlrev_b64_e32 v[27:28], 2, v[2:3]
	s_delay_alu instid0(VALU_DEP_1) | instskip(SKIP_1) | instid1(VALU_DEP_2)
	v_add_co_u32 v27, vcc_lo, s10, v27
	s_wait_alu 0xfffd
	v_add_co_ci_u32_e64 v28, null, s11, v28, vcc_lo
	global_load_b64 v[39:40], v[27:28], off
	s_wait_loadcnt 0x0
	v_dual_fmac_f32 v12, v21, v39 :: v_dual_add_nc_u32 v5, 2, v2
	s_delay_alu instid0(VALU_DEP_1) | instskip(SKIP_1) | instid1(VALU_DEP_3)
	v_lshlrev_b64_e32 v[29:30], 2, v[5:6]
	v_dual_fmac_f32 v10, v19, v39 :: v_dual_add_nc_u32 v5, -8, v1
	v_fmac_f32_e32 v12, v17, v40
	s_delay_alu instid0(VALU_DEP_3) | instskip(SKIP_1) | instid1(VALU_DEP_4)
	v_add_co_u32 v27, vcc_lo, s10, v29
	s_wait_alu 0xfffd
	v_add_co_ci_u32_e64 v28, null, s11, v30, vcc_lo
	v_fmac_f32_e32 v10, v15, v40
	v_lshlrev_b64_e32 v[31:32], 2, v[5:6]
	v_add_nc_u32_e32 v5, -4, v1
	global_load_b64 v[41:42], v[27:28], off
	v_fmac_f32_e32 v13, v20, v39
	v_add_nc_u32_e32 v1, 0x600, v1
	v_lshlrev_b64_e32 v[33:34], 2, v[5:6]
	v_add_nc_u32_e32 v5, 4, v2
	v_add_co_u32 v2, vcc_lo, s8, v31
	s_wait_alu 0xfffd
	v_add_co_ci_u32_e64 v3, null, s9, v32, vcc_lo
	global_load_b128 v[27:30], v[2:3], off
	v_add_co_u32 v2, vcc_lo, s8, v33
	s_wait_alu 0xfffd
	v_add_co_ci_u32_e64 v3, null, s9, v34, vcc_lo
	s_wait_loadcnt 0x1
	v_fmac_f32_e32 v10, v23, v41
	v_lshlrev_b64_e32 v[31:32], 2, v[5:6]
	v_dual_fmac_f32 v11, v22, v39 :: v_dual_fmac_f32 v12, v25, v41
	v_fmac_f32_e32 v13, v16, v40
	s_delay_alu instid0(VALU_DEP_3) | instskip(SKIP_1) | instid1(VALU_DEP_4)
	v_add_co_u32 v37, vcc_lo, s10, v31
	s_wait_alu 0xfffd
	v_add_co_ci_u32_e64 v38, null, s11, v32, vcc_lo
	global_load_b128 v[31:34], v[2:3], off
	global_load_b64 v[2:3], v[37:38], off
	global_load_b128 v[35:38], v[35:36], off
	s_wait_loadcnt 0x3
	v_dual_fmac_f32 v10, v27, v42 :: v_dual_fmac_f32 v11, v18, v40
	v_dual_fmac_f32 v12, v29, v42 :: v_dual_fmac_f32 v13, v24, v41
	v_cmp_ge_i32_e32 vcc_lo, v7, v14
	s_wait_alu 0xfffe
	s_or_b32 s4, vcc_lo, s4
	s_wait_loadcnt 0x1
	v_dual_fmac_f32 v10, v31, v2 :: v_dual_fmac_f32 v11, v26, v41
	v_fmac_f32_e32 v12, v33, v2
	s_wait_loadcnt 0x0
	s_delay_alu instid0(VALU_DEP_2) | instskip(NEXT) | instid1(VALU_DEP_2)
	v_dual_fmac_f32 v13, v28, v42 :: v_dual_fmac_f32 v10, v35, v3
	v_dual_fmac_f32 v11, v30, v42 :: v_dual_fmac_f32 v12, v37, v3
	s_delay_alu instid0(VALU_DEP_2) | instskip(NEXT) | instid1(VALU_DEP_2)
	v_fmac_f32_e32 v13, v32, v2
	v_fmac_f32_e32 v11, v34, v2
	s_delay_alu instid0(VALU_DEP_2) | instskip(NEXT) | instid1(VALU_DEP_2)
	v_fmac_f32_e32 v13, v36, v3
	v_fmac_f32_e32 v11, v38, v3
	s_wait_alu 0xfffe
	s_and_not1_b32 exec_lo, exec_lo, s4
	s_cbranch_execnz .LBB24_9
; %bb.10:
	s_or_b32 exec_lo, exec_lo, s4
.LBB24_11:
	s_wait_alu 0xfffe
	s_or_b32 exec_lo, exec_lo, s3
	s_cbranch_execz .LBB24_13
	s_branch .LBB24_18
.LBB24_12:
                                        ; implicit-def: $vgpr10
                                        ; implicit-def: $vgpr11
                                        ; implicit-def: $vgpr12
                                        ; implicit-def: $vgpr13
.LBB24_13:
	v_dual_mov_b32 v10, 0 :: v_dual_mov_b32 v11, 0
	v_dual_mov_b32 v12, 0 :: v_dual_mov_b32 v13, 0
	s_and_saveexec_b32 s3, s2
	s_cbranch_execz .LBB24_17
; %bb.14:
	v_mad_co_u64_u32 v[2:3], null, v0, 24, 23
	v_dual_mov_b32 v6, 0 :: v_dual_mov_b32 v11, 0
	v_dual_mov_b32 v10, 0 :: v_dual_mov_b32 v13, 0
	v_mov_b32_e32 v12, 0
	s_mov_b32 s2, 0
.LBB24_15:                              ; =>This Inner Loop Header: Depth=1
	v_ashrrev_i32_e32 v1, 31, v0
	v_subrev_nc_u32_e32 v5, 23, v2
	v_dual_mov_b32 v16, v6 :: v_dual_add_nc_u32 v15, -5, v2
	v_mov_b32_e32 v3, v6
	s_delay_alu instid0(VALU_DEP_4) | instskip(NEXT) | instid1(VALU_DEP_4)
	v_lshlrev_b64_e32 v[7:8], 2, v[0:1]
	v_lshlrev_b64_e32 v[17:18], 2, v[5:6]
	v_mov_b32_e32 v24, v6
	v_add_nc_u32_e32 v0, 64, v0
	v_lshlrev_b64_e32 v[19:20], 2, v[2:3]
	v_add_co_u32 v7, vcc_lo, s6, v7
	s_wait_alu 0xfffd
	v_add_co_ci_u32_e64 v8, null, s7, v8, vcc_lo
	v_add_co_u32 v21, vcc_lo, s8, v17
	s_wait_alu 0xfffd
	v_add_co_ci_u32_e64 v22, null, s9, v18, vcc_lo
	global_load_b32 v1, v[7:8], off
	v_dual_mov_b32 v8, v6 :: v_dual_add_nc_u32 v7, -11, v2
	v_lshlrev_b64_e32 v[15:16], 2, v[15:16]
	s_delay_alu instid0(VALU_DEP_2) | instskip(NEXT) | instid1(VALU_DEP_1)
	v_lshlrev_b64_e32 v[7:8], 2, v[7:8]
	v_add_co_u32 v7, vcc_lo, s8, v7
	s_wait_alu 0xfffd
	s_delay_alu instid0(VALU_DEP_2) | instskip(NEXT) | instid1(VALU_DEP_4)
	v_add_co_ci_u32_e64 v8, null, s9, v8, vcc_lo
	v_add_co_u32 v27, vcc_lo, s8, v15
	s_wait_alu 0xfffd
	v_add_co_ci_u32_e64 v28, null, s9, v16, vcc_lo
	v_add_co_u32 v29, vcc_lo, s8, v19
	s_wait_alu 0xfffd
	v_add_co_ci_u32_e64 v30, null, s9, v20, vcc_lo
	s_clause 0x3
	global_load_b128 v[15:18], v[21:22], off offset:16
	global_load_b128 v[19:22], v[21:22], off
	global_load_b32 v3, v[7:8], off
	global_load_b32 v28, v[27:28], off
	v_add_nc_u32_e32 v5, -10, v2
	s_delay_alu instid0(VALU_DEP_1) | instskip(SKIP_1) | instid1(VALU_DEP_1)
	v_lshlrev_b64_e32 v[25:26], 2, v[5:6]
	v_add_nc_u32_e32 v5, -4, v2
	v_lshlrev_b64_e32 v[31:32], 2, v[5:6]
	s_delay_alu instid0(VALU_DEP_3) | instskip(SKIP_1) | instid1(VALU_DEP_4)
	v_add_co_u32 v7, vcc_lo, s8, v25
	s_wait_alu 0xfffd
	v_add_co_ci_u32_e64 v8, null, s9, v26, vcc_lo
	s_delay_alu instid0(VALU_DEP_3)
	v_add_co_u32 v25, vcc_lo, s8, v31
	s_wait_alu 0xfffd
	v_add_co_ci_u32_e64 v26, null, s9, v32, vcc_lo
	s_clause 0x1
	global_load_b32 v37, v[7:8], off
	global_load_b32 v38, v[25:26], off
	s_wait_loadcnt 0x6
	v_subrev_nc_u32_e32 v1, s16, v1
	s_delay_alu instid0(VALU_DEP_1) | instskip(NEXT) | instid1(VALU_DEP_1)
	v_mul_lo_u32 v23, v1, 6
	v_lshlrev_b64_e32 v[7:8], 2, v[23:24]
	s_delay_alu instid0(VALU_DEP_1) | instskip(SKIP_1) | instid1(VALU_DEP_2)
	v_add_co_u32 v7, vcc_lo, s10, v7
	s_wait_alu 0xfffd
	v_add_co_ci_u32_e64 v8, null, s11, v8, vcc_lo
	global_load_b64 v[7:8], v[7:8], off
	v_add_nc_u32_e32 v5, 2, v23
	s_delay_alu instid0(VALU_DEP_1) | instskip(NEXT) | instid1(VALU_DEP_1)
	v_lshlrev_b64_e32 v[24:25], 2, v[5:6]
	v_add_co_u32 v24, vcc_lo, s10, v24
	s_wait_alu 0xfffd
	s_delay_alu instid0(VALU_DEP_2)
	v_add_co_ci_u32_e64 v25, null, s11, v25, vcc_lo
	global_load_b64 v[24:25], v[24:25], off
	s_wait_loadcnt 0x1
	v_fmac_f32_e32 v10, v19, v7
	v_dual_fmac_f32 v12, v3, v7 :: v_dual_add_nc_u32 v5, -15, v2
	v_fmac_f32_e32 v13, v17, v7
	v_fmac_f32_e32 v11, v28, v7
	s_delay_alu instid0(VALU_DEP_4) | instskip(NEXT) | instid1(VALU_DEP_4)
	v_fmac_f32_e32 v10, v20, v8
	v_fmac_f32_e32 v12, v37, v8
	v_lshlrev_b64_e32 v[26:27], 2, v[5:6]
	v_add_nc_u32_e32 v5, -9, v2
	v_fmac_f32_e32 v13, v18, v8
	s_delay_alu instid0(VALU_DEP_3) | instskip(SKIP_1) | instid1(VALU_DEP_4)
	v_add_co_u32 v26, vcc_lo, s8, v26
	s_wait_alu 0xfffd
	v_add_co_ci_u32_e64 v27, null, s9, v27, vcc_lo
	s_wait_loadcnt 0x0
	v_fmac_f32_e32 v10, v21, v24
	v_lshlrev_b64_e32 v[31:32], 2, v[5:6]
	global_load_b32 v1, v[26:27], off
	v_fmac_f32_e32 v10, v22, v25
	v_add_co_u32 v31, vcc_lo, s8, v31
	s_wait_alu 0xfffd
	v_add_co_ci_u32_e64 v32, null, s9, v32, vcc_lo
	global_load_b32 v39, v[31:32], off
	v_add_nc_u32_e32 v5, -3, v2
	s_wait_loadcnt 0x1
	v_fmac_f32_e32 v13, v1, v24
	s_wait_loadcnt 0x0
	v_fmac_f32_e32 v12, v39, v24
	v_lshlrev_b64_e32 v[33:34], 2, v[5:6]
	v_add_nc_u32_e32 v5, -14, v2
	s_delay_alu instid0(VALU_DEP_1) | instskip(SKIP_1) | instid1(VALU_DEP_4)
	v_lshlrev_b64_e32 v[26:27], 2, v[5:6]
	v_add_nc_u32_e32 v5, -8, v2
	v_add_co_u32 v31, vcc_lo, s8, v33
	s_wait_alu 0xfffd
	v_add_co_ci_u32_e64 v32, null, s9, v34, vcc_lo
	s_delay_alu instid0(VALU_DEP_4)
	v_add_co_u32 v26, vcc_lo, s8, v26
	v_lshlrev_b64_e32 v[33:34], 2, v[5:6]
	v_add_nc_u32_e32 v5, -2, v2
	s_wait_alu 0xfffd
	v_add_co_ci_u32_e64 v27, null, s9, v27, vcc_lo
	global_load_b32 v40, v[31:32], off
	v_lshlrev_b64_e32 v[31:32], 2, v[5:6]
	v_add_nc_u32_e32 v5, 4, v23
	global_load_b32 v23, v[26:27], off
	v_add_co_u32 v26, vcc_lo, s8, v33
	s_wait_alu 0xfffd
	v_add_co_ci_u32_e64 v27, null, s9, v34, vcc_lo
	v_add_co_u32 v31, vcc_lo, s8, v31
	v_lshlrev_b64_e32 v[33:34], 2, v[5:6]
	global_load_b32 v41, v[26:27], off
	s_wait_alu 0xfffd
	v_add_co_ci_u32_e64 v32, null, s9, v32, vcc_lo
	global_load_b32 v42, v[31:32], off
	v_add_co_u32 v31, vcc_lo, s10, v33
	s_wait_alu 0xfffd
	v_add_co_ci_u32_e64 v32, null, s11, v34, vcc_lo
	global_load_b64 v[31:32], v[31:32], off
	s_wait_loadcnt 0x3
	v_fmac_f32_e32 v13, v23, v25
	s_wait_loadcnt 0x2
	v_dual_fmac_f32 v12, v41, v25 :: v_dual_add_nc_u32 v5, -13, v2
	s_delay_alu instid0(VALU_DEP_1) | instskip(SKIP_1) | instid1(VALU_DEP_1)
	v_lshlrev_b64_e32 v[26:27], 2, v[5:6]
	v_add_nc_u32_e32 v5, -7, v2
	v_lshlrev_b64_e32 v[33:34], 2, v[5:6]
	v_add_nc_u32_e32 v5, -1, v2
	s_delay_alu instid0(VALU_DEP_4) | instskip(SKIP_2) | instid1(VALU_DEP_3)
	v_add_co_u32 v26, vcc_lo, s8, v26
	s_wait_alu 0xfffd
	v_add_co_ci_u32_e64 v27, null, s9, v27, vcc_lo
	v_lshlrev_b64_e32 v[35:36], 2, v[5:6]
	s_wait_loadcnt 0x0
	v_dual_fmac_f32 v10, v15, v31 :: v_dual_add_nc_u32 v5, -12, v2
	global_load_b32 v43, v[26:27], off
	v_add_co_u32 v26, vcc_lo, s8, v33
	s_wait_alu 0xfffd
	v_add_co_ci_u32_e64 v27, null, s9, v34, vcc_lo
	v_lshlrev_b64_e32 v[33:34], 2, v[5:6]
	v_add_nc_u32_e32 v5, -6, v2
	v_add_co_u32 v35, vcc_lo, s8, v35
	global_load_b32 v44, v[26:27], off
	s_wait_alu 0xfffd
	v_add_co_ci_u32_e64 v36, null, s9, v36, vcc_lo
	v_lshlrev_b64_e32 v[26:27], 2, v[5:6]
	v_add_co_u32 v33, vcc_lo, s8, v33
	s_wait_alu 0xfffd
	v_add_co_ci_u32_e64 v34, null, s9, v34, vcc_lo
	global_load_b32 v5, v[35:36], off
	v_add_co_u32 v26, vcc_lo, s8, v26
	s_wait_alu 0xfffd
	v_add_co_ci_u32_e64 v27, null, s9, v27, vcc_lo
	s_clause 0x2
	global_load_b32 v33, v[33:34], off
	global_load_b32 v26, v[26:27], off
	;; [unrolled: 1-line block ×3, first 2 shown]
	v_dual_fmac_f32 v11, v38, v8 :: v_dual_add_nc_u32 v2, 0x600, v2
	v_cmp_ge_i32_e32 vcc_lo, v0, v14
	v_fmac_f32_e32 v10, v16, v32
	s_delay_alu instid0(VALU_DEP_3) | instskip(SKIP_2) | instid1(VALU_DEP_1)
	v_fmac_f32_e32 v11, v40, v24
	s_wait_alu 0xfffe
	s_or_b32 s2, vcc_lo, s2
	v_fmac_f32_e32 v11, v42, v25
	s_wait_loadcnt 0x5
	v_fmac_f32_e32 v13, v43, v31
	s_wait_loadcnt 0x4
	;; [unrolled: 2-line block ×6, first 2 shown]
	v_fmac_f32_e32 v11, v27, v32
	s_wait_alu 0xfffe
	s_and_not1_b32 exec_lo, exec_lo, s2
	s_cbranch_execnz .LBB24_15
; %bb.16:
	s_or_b32 exec_lo, exec_lo, s2
.LBB24_17:
	s_wait_alu 0xfffe
	s_or_b32 exec_lo, exec_lo, s3
.LBB24_18:
	v_mbcnt_lo_u32_b32 v0, -1, 0
	s_mov_b32 s2, -1
	s_delay_alu instid0(VALU_DEP_1) | instskip(SKIP_1) | instid1(VALU_DEP_2)
	v_or_b32_e32 v1, 32, v0
	v_xor_b32_e32 v6, 16, v0
	v_cmp_gt_i32_e32 vcc_lo, 32, v1
	s_wait_alu 0xfffd
	v_cndmask_b32_e32 v1, v0, v1, vcc_lo
	s_delay_alu instid0(VALU_DEP_3) | instskip(SKIP_2) | instid1(VALU_DEP_1)
	v_cmp_gt_i32_e32 vcc_lo, 32, v6
	s_wait_alu 0xfffd
	v_cndmask_b32_e32 v6, v0, v6, vcc_lo
	v_lshlrev_b32_e32 v6, 2, v6
	v_lshlrev_b32_e32 v1, 2, v1
	ds_bpermute_b32 v2, v1, v10
	s_wait_dscnt 0x0
	v_add_f32_e32 v2, v10, v2
	ds_bpermute_b32 v3, v1, v13
	ds_bpermute_b32 v5, v1, v12
	ds_bpermute_b32 v1, v1, v11
	ds_bpermute_b32 v7, v6, v2
	s_wait_dscnt 0x3
	v_add_f32_e32 v3, v13, v3
	s_wait_dscnt 0x0
	v_dual_add_f32 v5, v12, v5 :: v_dual_add_f32 v2, v2, v7
	v_add_f32_e32 v1, v11, v1
	ds_bpermute_b32 v8, v6, v3
	ds_bpermute_b32 v10, v6, v5
	v_xor_b32_e32 v11, 8, v0
	ds_bpermute_b32 v6, v6, v1
	v_cmp_gt_i32_e32 vcc_lo, 32, v11
	s_wait_alu 0xfffd
	v_cndmask_b32_e32 v11, v0, v11, vcc_lo
	s_delay_alu instid0(VALU_DEP_1)
	v_lshlrev_b32_e32 v11, 2, v11
	s_wait_dscnt 0x2
	v_add_f32_e32 v3, v3, v8
	s_wait_dscnt 0x1
	v_add_f32_e32 v5, v5, v10
	;; [unrolled: 2-line block ×3, first 2 shown]
	ds_bpermute_b32 v6, v11, v2
	ds_bpermute_b32 v7, v11, v3
	;; [unrolled: 1-line block ×4, first 2 shown]
	v_xor_b32_e32 v11, 4, v0
	s_delay_alu instid0(VALU_DEP_1) | instskip(SKIP_3) | instid1(VALU_DEP_1)
	v_cmp_gt_i32_e32 vcc_lo, 32, v11
	s_wait_alu 0xfffd
	v_cndmask_b32_e32 v11, v0, v11, vcc_lo
	s_wait_dscnt 0x3
	v_dual_add_f32 v2, v2, v6 :: v_dual_lshlrev_b32 v11, 2, v11
	s_wait_dscnt 0x2
	v_add_f32_e32 v3, v3, v7
	s_wait_dscnt 0x1
	v_add_f32_e32 v5, v5, v8
	;; [unrolled: 2-line block ×3, first 2 shown]
	ds_bpermute_b32 v6, v11, v2
	ds_bpermute_b32 v7, v11, v3
	;; [unrolled: 1-line block ×4, first 2 shown]
	v_xor_b32_e32 v11, 2, v0
	s_delay_alu instid0(VALU_DEP_1) | instskip(SKIP_3) | instid1(VALU_DEP_1)
	v_cmp_gt_i32_e32 vcc_lo, 32, v11
	s_wait_alu 0xfffd
	v_cndmask_b32_e32 v11, v0, v11, vcc_lo
	s_wait_dscnt 0x3
	v_dual_add_f32 v2, v2, v6 :: v_dual_lshlrev_b32 v11, 2, v11
	s_wait_dscnt 0x2
	v_add_f32_e32 v3, v3, v7
	s_wait_dscnt 0x1
	v_add_f32_e32 v5, v5, v8
	;; [unrolled: 2-line block ×3, first 2 shown]
	ds_bpermute_b32 v1, v11, v2
	ds_bpermute_b32 v7, v11, v3
	;; [unrolled: 1-line block ×4, first 2 shown]
	v_xor_b32_e32 v11, 1, v0
	s_delay_alu instid0(VALU_DEP_1) | instskip(SKIP_4) | instid1(VALU_DEP_2)
	v_cmp_gt_i32_e32 vcc_lo, 32, v11
	s_wait_alu 0xfffd
	v_cndmask_b32_e32 v0, v0, v11, vcc_lo
	v_cmp_eq_u32_e32 vcc_lo, 63, v9
	s_wait_dscnt 0x3
	v_dual_add_f32 v0, v2, v1 :: v_dual_lshlrev_b32 v11, 2, v0
	s_wait_dscnt 0x1
	v_dual_add_f32 v1, v3, v7 :: v_dual_add_f32 v2, v5, v8
	s_wait_dscnt 0x0
	v_add_f32_e32 v3, v6, v10
	ds_bpermute_b32 v5, v11, v0
	ds_bpermute_b32 v6, v11, v1
	;; [unrolled: 1-line block ×4, first 2 shown]
	s_and_b32 exec_lo, exec_lo, vcc_lo
	s_cbranch_execz .LBB24_23
; %bb.19:
	s_load_b64 s[0:1], s[0:1], 0x38
	s_wait_dscnt 0x2
	v_dual_add_f32 v0, v0, v5 :: v_dual_add_f32 v1, v1, v6
	s_wait_dscnt 0x0
	v_dual_add_f32 v2, v2, v7 :: v_dual_add_f32 v3, v3, v8
	v_lshlrev_b32_e32 v4, 2, v4
	s_delay_alu instid0(VALU_DEP_3) | instskip(NEXT) | instid1(VALU_DEP_3)
	v_dual_mul_f32 v0, s14, v0 :: v_dual_mul_f32 v1, s14, v1
	v_dual_mul_f32 v2, s14, v2 :: v_dual_mul_f32 v3, s14, v3
	s_cmp_eq_f32 s12, 0
	s_cbranch_scc0 .LBB24_21
; %bb.20:
	v_ashrrev_i32_e32 v5, 31, v4
	s_mov_b32 s2, 0
	s_delay_alu instid0(VALU_DEP_1) | instskip(SKIP_1) | instid1(VALU_DEP_1)
	v_lshlrev_b64_e32 v[5:6], 2, v[4:5]
	s_wait_kmcnt 0x0
	v_add_co_u32 v5, vcc_lo, s0, v5
	s_wait_alu 0xfffd
	s_delay_alu instid0(VALU_DEP_2)
	v_add_co_ci_u32_e64 v6, null, s1, v6, vcc_lo
	global_store_b128 v[5:6], v[0:3], off
.LBB24_21:
	s_wait_alu 0xfffe
	s_and_not1_b32 vcc_lo, exec_lo, s2
	s_wait_alu 0xfffe
	s_cbranch_vccnz .LBB24_23
; %bb.22:
	v_ashrrev_i32_e32 v5, 31, v4
	s_delay_alu instid0(VALU_DEP_1) | instskip(SKIP_1) | instid1(VALU_DEP_1)
	v_lshlrev_b64_e32 v[4:5], 2, v[4:5]
	s_wait_kmcnt 0x0
	v_add_co_u32 v8, vcc_lo, s0, v4
	s_wait_alu 0xfffd
	s_delay_alu instid0(VALU_DEP_2)
	v_add_co_ci_u32_e64 v9, null, s1, v5, vcc_lo
	global_load_b128 v[4:7], v[8:9], off
	s_wait_loadcnt 0x0
	v_dual_fmac_f32 v0, s12, v4 :: v_dual_fmac_f32 v1, s12, v5
	v_dual_fmac_f32 v2, s12, v6 :: v_dual_fmac_f32 v3, s12, v7
	global_store_b128 v[8:9], v[0:3], off
.LBB24_23:
	s_endpgm
	.section	.rodata,"a",@progbits
	.p2align	6, 0x0
	.amdhsa_kernel _ZN9rocsparseL19gebsrmvn_4xn_kernelILj128ELj6ELj64EfEEvi20rocsparse_direction_NS_24const_host_device_scalarIT2_EEPKiS6_PKS3_S8_S4_PS3_21rocsparse_index_base_b
		.amdhsa_group_segment_fixed_size 0
		.amdhsa_private_segment_fixed_size 0
		.amdhsa_kernarg_size 72
		.amdhsa_user_sgpr_count 2
		.amdhsa_user_sgpr_dispatch_ptr 0
		.amdhsa_user_sgpr_queue_ptr 0
		.amdhsa_user_sgpr_kernarg_segment_ptr 1
		.amdhsa_user_sgpr_dispatch_id 0
		.amdhsa_user_sgpr_private_segment_size 0
		.amdhsa_wavefront_size32 1
		.amdhsa_uses_dynamic_stack 0
		.amdhsa_enable_private_segment 0
		.amdhsa_system_sgpr_workgroup_id_x 1
		.amdhsa_system_sgpr_workgroup_id_y 0
		.amdhsa_system_sgpr_workgroup_id_z 0
		.amdhsa_system_sgpr_workgroup_info 0
		.amdhsa_system_vgpr_workitem_id 0
		.amdhsa_next_free_vgpr 45
		.amdhsa_next_free_sgpr 18
		.amdhsa_reserve_vcc 1
		.amdhsa_float_round_mode_32 0
		.amdhsa_float_round_mode_16_64 0
		.amdhsa_float_denorm_mode_32 3
		.amdhsa_float_denorm_mode_16_64 3
		.amdhsa_fp16_overflow 0
		.amdhsa_workgroup_processor_mode 1
		.amdhsa_memory_ordered 1
		.amdhsa_forward_progress 1
		.amdhsa_inst_pref_size 23
		.amdhsa_round_robin_scheduling 0
		.amdhsa_exception_fp_ieee_invalid_op 0
		.amdhsa_exception_fp_denorm_src 0
		.amdhsa_exception_fp_ieee_div_zero 0
		.amdhsa_exception_fp_ieee_overflow 0
		.amdhsa_exception_fp_ieee_underflow 0
		.amdhsa_exception_fp_ieee_inexact 0
		.amdhsa_exception_int_div_zero 0
	.end_amdhsa_kernel
	.section	.text._ZN9rocsparseL19gebsrmvn_4xn_kernelILj128ELj6ELj64EfEEvi20rocsparse_direction_NS_24const_host_device_scalarIT2_EEPKiS6_PKS3_S8_S4_PS3_21rocsparse_index_base_b,"axG",@progbits,_ZN9rocsparseL19gebsrmvn_4xn_kernelILj128ELj6ELj64EfEEvi20rocsparse_direction_NS_24const_host_device_scalarIT2_EEPKiS6_PKS3_S8_S4_PS3_21rocsparse_index_base_b,comdat
.Lfunc_end24:
	.size	_ZN9rocsparseL19gebsrmvn_4xn_kernelILj128ELj6ELj64EfEEvi20rocsparse_direction_NS_24const_host_device_scalarIT2_EEPKiS6_PKS3_S8_S4_PS3_21rocsparse_index_base_b, .Lfunc_end24-_ZN9rocsparseL19gebsrmvn_4xn_kernelILj128ELj6ELj64EfEEvi20rocsparse_direction_NS_24const_host_device_scalarIT2_EEPKiS6_PKS3_S8_S4_PS3_21rocsparse_index_base_b
                                        ; -- End function
	.set _ZN9rocsparseL19gebsrmvn_4xn_kernelILj128ELj6ELj64EfEEvi20rocsparse_direction_NS_24const_host_device_scalarIT2_EEPKiS6_PKS3_S8_S4_PS3_21rocsparse_index_base_b.num_vgpr, 45
	.set _ZN9rocsparseL19gebsrmvn_4xn_kernelILj128ELj6ELj64EfEEvi20rocsparse_direction_NS_24const_host_device_scalarIT2_EEPKiS6_PKS3_S8_S4_PS3_21rocsparse_index_base_b.num_agpr, 0
	.set _ZN9rocsparseL19gebsrmvn_4xn_kernelILj128ELj6ELj64EfEEvi20rocsparse_direction_NS_24const_host_device_scalarIT2_EEPKiS6_PKS3_S8_S4_PS3_21rocsparse_index_base_b.numbered_sgpr, 18
	.set _ZN9rocsparseL19gebsrmvn_4xn_kernelILj128ELj6ELj64EfEEvi20rocsparse_direction_NS_24const_host_device_scalarIT2_EEPKiS6_PKS3_S8_S4_PS3_21rocsparse_index_base_b.num_named_barrier, 0
	.set _ZN9rocsparseL19gebsrmvn_4xn_kernelILj128ELj6ELj64EfEEvi20rocsparse_direction_NS_24const_host_device_scalarIT2_EEPKiS6_PKS3_S8_S4_PS3_21rocsparse_index_base_b.private_seg_size, 0
	.set _ZN9rocsparseL19gebsrmvn_4xn_kernelILj128ELj6ELj64EfEEvi20rocsparse_direction_NS_24const_host_device_scalarIT2_EEPKiS6_PKS3_S8_S4_PS3_21rocsparse_index_base_b.uses_vcc, 1
	.set _ZN9rocsparseL19gebsrmvn_4xn_kernelILj128ELj6ELj64EfEEvi20rocsparse_direction_NS_24const_host_device_scalarIT2_EEPKiS6_PKS3_S8_S4_PS3_21rocsparse_index_base_b.uses_flat_scratch, 0
	.set _ZN9rocsparseL19gebsrmvn_4xn_kernelILj128ELj6ELj64EfEEvi20rocsparse_direction_NS_24const_host_device_scalarIT2_EEPKiS6_PKS3_S8_S4_PS3_21rocsparse_index_base_b.has_dyn_sized_stack, 0
	.set _ZN9rocsparseL19gebsrmvn_4xn_kernelILj128ELj6ELj64EfEEvi20rocsparse_direction_NS_24const_host_device_scalarIT2_EEPKiS6_PKS3_S8_S4_PS3_21rocsparse_index_base_b.has_recursion, 0
	.set _ZN9rocsparseL19gebsrmvn_4xn_kernelILj128ELj6ELj64EfEEvi20rocsparse_direction_NS_24const_host_device_scalarIT2_EEPKiS6_PKS3_S8_S4_PS3_21rocsparse_index_base_b.has_indirect_call, 0
	.section	.AMDGPU.csdata,"",@progbits
; Kernel info:
; codeLenInByte = 2864
; TotalNumSgprs: 20
; NumVgprs: 45
; ScratchSize: 0
; MemoryBound: 0
; FloatMode: 240
; IeeeMode: 1
; LDSByteSize: 0 bytes/workgroup (compile time only)
; SGPRBlocks: 0
; VGPRBlocks: 5
; NumSGPRsForWavesPerEU: 20
; NumVGPRsForWavesPerEU: 45
; Occupancy: 16
; WaveLimiterHint : 1
; COMPUTE_PGM_RSRC2:SCRATCH_EN: 0
; COMPUTE_PGM_RSRC2:USER_SGPR: 2
; COMPUTE_PGM_RSRC2:TRAP_HANDLER: 0
; COMPUTE_PGM_RSRC2:TGID_X_EN: 1
; COMPUTE_PGM_RSRC2:TGID_Y_EN: 0
; COMPUTE_PGM_RSRC2:TGID_Z_EN: 0
; COMPUTE_PGM_RSRC2:TIDIG_COMP_CNT: 0
	.section	.text._ZN9rocsparseL19gebsrmvn_4xn_kernelILj128ELj7ELj4EfEEvi20rocsparse_direction_NS_24const_host_device_scalarIT2_EEPKiS6_PKS3_S8_S4_PS3_21rocsparse_index_base_b,"axG",@progbits,_ZN9rocsparseL19gebsrmvn_4xn_kernelILj128ELj7ELj4EfEEvi20rocsparse_direction_NS_24const_host_device_scalarIT2_EEPKiS6_PKS3_S8_S4_PS3_21rocsparse_index_base_b,comdat
	.globl	_ZN9rocsparseL19gebsrmvn_4xn_kernelILj128ELj7ELj4EfEEvi20rocsparse_direction_NS_24const_host_device_scalarIT2_EEPKiS6_PKS3_S8_S4_PS3_21rocsparse_index_base_b ; -- Begin function _ZN9rocsparseL19gebsrmvn_4xn_kernelILj128ELj7ELj4EfEEvi20rocsparse_direction_NS_24const_host_device_scalarIT2_EEPKiS6_PKS3_S8_S4_PS3_21rocsparse_index_base_b
	.p2align	8
	.type	_ZN9rocsparseL19gebsrmvn_4xn_kernelILj128ELj7ELj4EfEEvi20rocsparse_direction_NS_24const_host_device_scalarIT2_EEPKiS6_PKS3_S8_S4_PS3_21rocsparse_index_base_b,@function
_ZN9rocsparseL19gebsrmvn_4xn_kernelILj128ELj7ELj4EfEEvi20rocsparse_direction_NS_24const_host_device_scalarIT2_EEPKiS6_PKS3_S8_S4_PS3_21rocsparse_index_base_b: ; @_ZN9rocsparseL19gebsrmvn_4xn_kernelILj128ELj7ELj4EfEEvi20rocsparse_direction_NS_24const_host_device_scalarIT2_EEPKiS6_PKS3_S8_S4_PS3_21rocsparse_index_base_b
; %bb.0:
	s_clause 0x2
	s_load_b64 s[16:17], s[0:1], 0x40
	s_load_b64 s[14:15], s[0:1], 0x8
	s_load_b64 s[12:13], s[0:1], 0x30
	s_wait_kmcnt 0x0
	s_bitcmp1_b32 s17, 0
	s_cselect_b32 s2, -1, 0
	s_delay_alu instid0(SALU_CYCLE_1)
	s_and_b32 vcc_lo, exec_lo, s2
	s_xor_b32 s2, s2, -1
	s_cbranch_vccnz .LBB25_2
; %bb.1:
	s_load_b32 s14, s[14:15], 0x0
.LBB25_2:
	s_and_not1_b32 vcc_lo, exec_lo, s2
	s_cbranch_vccnz .LBB25_4
; %bb.3:
	s_load_b32 s12, s[12:13], 0x0
.LBB25_4:
	s_wait_kmcnt 0x0
	s_cmp_eq_f32 s14, 0
	s_cselect_b32 s2, -1, 0
	s_cmp_eq_f32 s12, 1.0
	s_cselect_b32 s3, -1, 0
	s_delay_alu instid0(SALU_CYCLE_1) | instskip(NEXT) | instid1(SALU_CYCLE_1)
	s_and_b32 s2, s2, s3
	s_and_b32 vcc_lo, exec_lo, s2
	s_cbranch_vccnz .LBB25_23
; %bb.5:
	s_load_b64 s[2:3], s[0:1], 0x0
	v_lshrrev_b32_e32 v1, 2, v0
	s_delay_alu instid0(VALU_DEP_1) | instskip(SKIP_1) | instid1(VALU_DEP_1)
	v_lshl_or_b32 v4, ttmp9, 5, v1
	s_wait_kmcnt 0x0
	v_cmp_gt_i32_e32 vcc_lo, s2, v4
	s_and_saveexec_b32 s2, vcc_lo
	s_cbranch_execz .LBB25_23
; %bb.6:
	s_load_b256 s[4:11], s[0:1], 0x10
	v_ashrrev_i32_e32 v5, 31, v4
	v_and_b32_e32 v9, 3, v0
	s_cmp_lg_u32 s3, 0
	s_delay_alu instid0(VALU_DEP_2) | instskip(SKIP_1) | instid1(VALU_DEP_1)
	v_lshlrev_b64_e32 v[1:2], 2, v[4:5]
	s_wait_kmcnt 0x0
	v_add_co_u32 v1, vcc_lo, s4, v1
	s_delay_alu instid0(VALU_DEP_1) | instskip(SKIP_4) | instid1(VALU_DEP_2)
	v_add_co_ci_u32_e64 v2, null, s5, v2, vcc_lo
	global_load_b64 v[1:2], v[1:2], off
	s_wait_loadcnt 0x0
	v_subrev_nc_u32_e32 v0, s16, v1
	v_subrev_nc_u32_e32 v14, s16, v2
	v_add_nc_u32_e32 v0, v0, v9
	s_delay_alu instid0(VALU_DEP_1)
	v_cmp_lt_i32_e64 s2, v0, v14
	s_cbranch_scc0 .LBB25_12
; %bb.7:
	v_dual_mov_b32 v10, 0 :: v_dual_mov_b32 v11, 0
	v_dual_mov_b32 v12, 0 :: v_dual_mov_b32 v13, 0
	s_and_saveexec_b32 s3, s2
	s_cbranch_execz .LBB25_11
; %bb.8:
	v_mad_co_u64_u32 v[1:2], null, v0, 28, 24
	v_dual_mov_b32 v6, 0 :: v_dual_mov_b32 v7, v0
	v_dual_mov_b32 v10, 0 :: v_dual_mov_b32 v11, 0
	;; [unrolled: 1-line block ×3, first 2 shown]
	s_mov_b32 s4, 0
.LBB25_9:                               ; =>This Inner Loop Header: Depth=1
	s_delay_alu instid0(VALU_DEP_3) | instskip(SKIP_1) | instid1(VALU_DEP_2)
	v_ashrrev_i32_e32 v8, 31, v7
	v_subrev_nc_u32_e32 v5, 24, v1
	v_lshlrev_b64_e32 v[2:3], 2, v[7:8]
	s_delay_alu instid0(VALU_DEP_2) | instskip(SKIP_2) | instid1(VALU_DEP_4)
	v_lshlrev_b64_e32 v[15:16], 2, v[5:6]
	v_subrev_nc_u32_e32 v5, 20, v1
	v_add_nc_u32_e32 v7, 4, v7
	v_add_co_u32 v2, vcc_lo, s6, v2
	s_wait_alu 0xfffd
	v_add_co_ci_u32_e64 v3, null, s7, v3, vcc_lo
	v_lshlrev_b64_e32 v[19:20], 2, v[5:6]
	v_add_co_u32 v15, vcc_lo, s8, v15
	global_load_b32 v8, v[2:3], off
	v_dual_mov_b32 v3, v6 :: v_dual_mov_b32 v2, v6
	s_wait_alu 0xfffd
	v_add_co_ci_u32_e64 v16, null, s9, v16, vcc_lo
	s_delay_alu instid0(VALU_DEP_2) | instskip(NEXT) | instid1(VALU_DEP_1)
	v_lshlrev_b64_e32 v[17:18], 2, v[1:2]
	v_add_co_u32 v39, vcc_lo, s8, v17
	s_wait_alu 0xfffd
	s_delay_alu instid0(VALU_DEP_2)
	v_add_co_ci_u32_e64 v40, null, s9, v18, vcc_lo
	v_add_co_u32 v19, vcc_lo, s8, v19
	s_wait_alu 0xfffd
	v_add_co_ci_u32_e64 v20, null, s9, v20, vcc_lo
	s_clause 0x1
	global_load_b128 v[15:18], v[15:16], off
	global_load_b128 v[19:22], v[19:20], off
	s_wait_loadcnt 0x2
	v_subrev_nc_u32_e32 v2, s16, v8
	s_delay_alu instid0(VALU_DEP_1) | instskip(NEXT) | instid1(VALU_DEP_1)
	v_mul_lo_u32 v2, v2, 7
	v_lshlrev_b64_e32 v[23:24], 2, v[2:3]
	s_delay_alu instid0(VALU_DEP_1) | instskip(SKIP_1) | instid1(VALU_DEP_2)
	v_add_co_u32 v23, vcc_lo, s10, v23
	s_wait_alu 0xfffd
	v_add_co_ci_u32_e64 v24, null, s11, v24, vcc_lo
	global_load_b32 v8, v[23:24], off
	v_add_nc_u32_e32 v5, 1, v2
	s_delay_alu instid0(VALU_DEP_1) | instskip(NEXT) | instid1(VALU_DEP_1)
	v_lshlrev_b64_e32 v[25:26], 2, v[5:6]
	v_add_co_u32 v25, vcc_lo, s10, v25
	s_wait_alu 0xfffd
	s_delay_alu instid0(VALU_DEP_2) | instskip(SKIP_3) | instid1(VALU_DEP_1)
	v_add_co_ci_u32_e64 v26, null, s11, v26, vcc_lo
	global_load_b32 v45, v[25:26], off
	s_wait_loadcnt 0x1
	v_dual_fmac_f32 v12, v17, v8 :: v_dual_add_nc_u32 v5, -16, v1
	v_lshlrev_b64_e32 v[27:28], 2, v[5:6]
	v_dual_fmac_f32 v10, v15, v8 :: v_dual_add_nc_u32 v5, 2, v2
	s_delay_alu instid0(VALU_DEP_2) | instskip(SKIP_1) | instid1(VALU_DEP_3)
	v_add_co_u32 v25, vcc_lo, s8, v27
	s_wait_alu 0xfffd
	v_add_co_ci_u32_e64 v26, null, s9, v28, vcc_lo
	s_wait_loadcnt 0x0
	v_fmac_f32_e32 v10, v19, v45
	v_lshlrev_b64_e32 v[23:24], 2, v[5:6]
	v_fmac_f32_e32 v12, v21, v45
	s_delay_alu instid0(VALU_DEP_2) | instskip(SKIP_1) | instid1(VALU_DEP_3)
	v_add_co_u32 v29, vcc_lo, s10, v23
	s_wait_alu 0xfffd
	v_add_co_ci_u32_e64 v30, null, s11, v24, vcc_lo
	global_load_b128 v[23:26], v[25:26], off
	global_load_b32 v46, v[29:30], off
	v_add_nc_u32_e32 v5, -12, v1
	s_delay_alu instid0(VALU_DEP_1) | instskip(SKIP_1) | instid1(VALU_DEP_1)
	v_lshlrev_b64_e32 v[27:28], 2, v[5:6]
	v_add_nc_u32_e32 v5, 3, v2
	v_lshlrev_b64_e32 v[31:32], 2, v[5:6]
	s_delay_alu instid0(VALU_DEP_3) | instskip(SKIP_1) | instid1(VALU_DEP_4)
	v_add_co_u32 v27, vcc_lo, s8, v27
	s_wait_alu 0xfffd
	v_add_co_ci_u32_e64 v28, null, s9, v28, vcc_lo
	s_delay_alu instid0(VALU_DEP_3)
	v_add_co_u32 v31, vcc_lo, s10, v31
	s_wait_alu 0xfffd
	v_add_co_ci_u32_e64 v32, null, s11, v32, vcc_lo
	global_load_b32 v47, v[31:32], off
	global_load_b128 v[27:30], v[27:28], off
	s_wait_loadcnt 0x2
	v_dual_fmac_f32 v12, v25, v46 :: v_dual_add_nc_u32 v5, -8, v1
	s_delay_alu instid0(VALU_DEP_1) | instskip(SKIP_2) | instid1(VALU_DEP_3)
	v_lshlrev_b64_e32 v[33:34], 2, v[5:6]
	v_fmac_f32_e32 v10, v23, v46
	v_add_nc_u32_e32 v5, 4, v2
	v_add_co_u32 v31, vcc_lo, s8, v33
	s_wait_alu 0xfffd
	s_delay_alu instid0(VALU_DEP_4)
	v_add_co_ci_u32_e64 v32, null, s9, v34, vcc_lo
	global_load_b128 v[31:34], v[31:32], off
	s_wait_loadcnt 0x1
	v_fmac_f32_e32 v10, v27, v47
	v_lshlrev_b64_e32 v[35:36], 2, v[5:6]
	v_dual_fmac_f32 v12, v29, v47 :: v_dual_add_nc_u32 v5, -4, v1
	v_add_nc_u32_e32 v1, 0x70, v1
	s_delay_alu instid0(VALU_DEP_3) | instskip(SKIP_1) | instid1(VALU_DEP_4)
	v_add_co_u32 v35, vcc_lo, s10, v35
	s_wait_alu 0xfffd
	v_add_co_ci_u32_e64 v36, null, s11, v36, vcc_lo
	v_lshlrev_b64_e32 v[37:38], 2, v[5:6]
	global_load_b32 v48, v[35:36], off
	s_wait_loadcnt 0x0
	v_dual_fmac_f32 v10, v31, v48 :: v_dual_add_nc_u32 v5, 5, v2
	s_delay_alu instid0(VALU_DEP_1) | instskip(SKIP_4) | instid1(VALU_DEP_3)
	v_lshlrev_b64_e32 v[41:42], 2, v[5:6]
	v_dual_fmac_f32 v12, v33, v48 :: v_dual_add_nc_u32 v5, 6, v2
	v_add_co_u32 v2, vcc_lo, s8, v37
	s_wait_alu 0xfffd
	v_add_co_ci_u32_e64 v3, null, s9, v38, vcc_lo
	v_lshlrev_b64_e32 v[43:44], 2, v[5:6]
	v_add_co_u32 v41, vcc_lo, s10, v41
	s_wait_alu 0xfffd
	v_add_co_ci_u32_e64 v42, null, s11, v42, vcc_lo
	global_load_b128 v[35:38], v[2:3], off
	global_load_b32 v5, v[41:42], off
	v_add_co_u32 v2, vcc_lo, s10, v43
	s_wait_alu 0xfffd
	v_add_co_ci_u32_e64 v3, null, s11, v44, vcc_lo
	global_load_b128 v[39:42], v[39:40], off
	global_load_b32 v2, v[2:3], off
	v_fmac_f32_e32 v13, v16, v8
	v_fmac_f32_e32 v11, v18, v8
	v_cmp_ge_i32_e32 vcc_lo, v7, v14
	s_wait_alu 0xfffe
	s_or_b32 s4, vcc_lo, s4
	s_wait_loadcnt 0x2
	v_fmac_f32_e32 v10, v35, v5
	v_fmac_f32_e32 v13, v20, v45
	;; [unrolled: 1-line block ×3, first 2 shown]
	s_wait_loadcnt 0x0
	s_delay_alu instid0(VALU_DEP_1) | instskip(NEXT) | instid1(VALU_DEP_1)
	v_dual_fmac_f32 v11, v22, v45 :: v_dual_fmac_f32 v12, v41, v2
	v_fmac_f32_e32 v11, v26, v46
	v_fmac_f32_e32 v10, v39, v2
	;; [unrolled: 1-line block ×3, first 2 shown]
	s_delay_alu instid0(VALU_DEP_3) | instskip(NEXT) | instid1(VALU_DEP_2)
	v_fmac_f32_e32 v11, v30, v47
	v_fmac_f32_e32 v13, v28, v47
	s_delay_alu instid0(VALU_DEP_2) | instskip(NEXT) | instid1(VALU_DEP_2)
	v_fmac_f32_e32 v11, v34, v48
	v_fmac_f32_e32 v13, v32, v48
	s_delay_alu instid0(VALU_DEP_2) | instskip(NEXT) | instid1(VALU_DEP_2)
	;; [unrolled: 3-line block ×3, first 2 shown]
	v_fmac_f32_e32 v11, v42, v2
	v_fmac_f32_e32 v13, v40, v2
	s_wait_alu 0xfffe
	s_and_not1_b32 exec_lo, exec_lo, s4
	s_cbranch_execnz .LBB25_9
; %bb.10:
	s_or_b32 exec_lo, exec_lo, s4
.LBB25_11:
	s_wait_alu 0xfffe
	s_or_b32 exec_lo, exec_lo, s3
	s_cbranch_execz .LBB25_13
	s_branch .LBB25_18
.LBB25_12:
                                        ; implicit-def: $vgpr10
                                        ; implicit-def: $vgpr11
                                        ; implicit-def: $vgpr12
                                        ; implicit-def: $vgpr13
.LBB25_13:
	v_dual_mov_b32 v10, 0 :: v_dual_mov_b32 v11, 0
	v_dual_mov_b32 v12, 0 :: v_dual_mov_b32 v13, 0
	s_and_saveexec_b32 s3, s2
	s_cbranch_execz .LBB25_17
; %bb.14:
	v_mad_co_u64_u32 v[2:3], null, v0, 28, 27
	v_dual_mov_b32 v6, 0 :: v_dual_mov_b32 v11, 0
	v_dual_mov_b32 v10, 0 :: v_dual_mov_b32 v13, 0
	v_mov_b32_e32 v12, 0
	s_mov_b32 s2, 0
.LBB25_15:                              ; =>This Inner Loop Header: Depth=1
	v_ashrrev_i32_e32 v1, 31, v0
	v_subrev_nc_u32_e32 v5, 27, v2
	v_add_nc_u32_e32 v17, -6, v2
	v_dual_mov_b32 v20, v6 :: v_dual_add_nc_u32 v15, -13, v2
	s_delay_alu instid0(VALU_DEP_4) | instskip(SKIP_3) | instid1(VALU_DEP_4)
	v_lshlrev_b64_e32 v[7:8], 2, v[0:1]
	v_dual_mov_b32 v16, v6 :: v_dual_mov_b32 v3, v6
	v_lshlrev_b64_e32 v[21:22], 2, v[5:6]
	v_add_nc_u32_e32 v0, 4, v0
	v_add_co_u32 v7, vcc_lo, s6, v7
	s_wait_alu 0xfffd
	v_add_co_ci_u32_e64 v8, null, s7, v8, vcc_lo
	v_lshlrev_b64_e32 v[15:16], 2, v[15:16]
	v_add_co_u32 v21, vcc_lo, s8, v21
	global_load_b32 v1, v[7:8], off
	v_subrev_nc_u32_e32 v7, 20, v2
	v_mov_b32_e32 v8, v6
	s_wait_alu 0xfffd
	v_add_co_ci_u32_e64 v22, null, s9, v22, vcc_lo
	v_lshlrev_b64_e32 v[23:24], 2, v[2:3]
	s_delay_alu instid0(VALU_DEP_3) | instskip(NEXT) | instid1(VALU_DEP_1)
	v_lshlrev_b64_e32 v[7:8], 2, v[7:8]
	v_add_co_u32 v7, vcc_lo, s8, v7
	s_wait_alu 0xfffd
	s_delay_alu instid0(VALU_DEP_2)
	v_add_co_ci_u32_e64 v8, null, s9, v8, vcc_lo
	v_add_co_u32 v25, vcc_lo, s8, v15
	s_wait_alu 0xfffd
	v_add_co_ci_u32_e64 v26, null, s9, v16, vcc_lo
	s_wait_loadcnt 0x0
	v_subrev_nc_u32_e32 v1, s16, v1
	s_delay_alu instid0(VALU_DEP_1) | instskip(NEXT) | instid1(VALU_DEP_1)
	v_mul_lo_u32 v19, v1, 7
	v_dual_mov_b32 v18, v6 :: v_dual_add_nc_u32 v5, 1, v19
	s_delay_alu instid0(VALU_DEP_1) | instskip(NEXT) | instid1(VALU_DEP_1)
	v_lshlrev_b64_e32 v[17:18], 2, v[17:18]
	v_add_co_u32 v27, vcc_lo, s8, v17
	s_wait_alu 0xfffd
	s_delay_alu instid0(VALU_DEP_2)
	v_add_co_ci_u32_e64 v28, null, s9, v18, vcc_lo
	s_clause 0x3
	global_load_b128 v[15:18], v[21:22], off
	global_load_b32 v3, v[7:8], off
	global_load_b32 v29, v[25:26], off
	;; [unrolled: 1-line block ×3, first 2 shown]
	v_lshlrev_b64_e32 v[7:8], 2, v[19:20]
	v_add_co_u32 v23, vcc_lo, s8, v23
	s_wait_alu 0xfffd
	v_add_co_ci_u32_e64 v24, null, s9, v24, vcc_lo
	v_lshlrev_b64_e32 v[20:21], 2, v[5:6]
	s_delay_alu instid0(VALU_DEP_4)
	v_add_co_u32 v7, vcc_lo, s10, v7
	s_wait_alu 0xfffd
	v_add_co_ci_u32_e64 v8, null, s11, v8, vcc_lo
	v_subrev_nc_u32_e32 v5, 19, v2
	global_load_b32 v1, v[7:8], off
	v_add_co_u32 v7, vcc_lo, s10, v20
	s_wait_alu 0xfffd
	v_add_co_ci_u32_e64 v8, null, s11, v21, vcc_lo
	v_lshlrev_b64_e32 v[25:26], 2, v[5:6]
	v_add_nc_u32_e32 v5, -12, v2
	global_load_b32 v28, v[7:8], off
	v_add_co_u32 v25, vcc_lo, s8, v25
	s_wait_alu 0xfffd
	v_add_co_ci_u32_e64 v26, null, s9, v26, vcc_lo
	global_load_b32 v30, v[25:26], off
	s_wait_loadcnt 0x2
	v_fmac_f32_e32 v10, v15, v1
	v_lshlrev_b64_e32 v[20:21], 2, v[5:6]
	v_dual_fmac_f32 v12, v29, v1 :: v_dual_add_nc_u32 v5, -5, v2
	v_fmac_f32_e32 v13, v3, v1
	v_fmac_f32_e32 v11, v27, v1
	s_delay_alu instid0(VALU_DEP_4)
	v_add_co_u32 v20, vcc_lo, s8, v20
	s_wait_alu 0xfffd
	v_add_co_ci_u32_e64 v21, null, s9, v21, vcc_lo
	v_lshlrev_b64_e32 v[7:8], 2, v[5:6]
	s_wait_loadcnt 0x1
	v_dual_fmac_f32 v10, v16, v28 :: v_dual_add_nc_u32 v5, 2, v19
	global_load_b32 v31, v[20:21], off
	v_add_co_u32 v7, vcc_lo, s8, v7
	v_lshlrev_b64_e32 v[25:26], 2, v[5:6]
	s_wait_alu 0xfffd
	v_add_co_ci_u32_e64 v8, null, s9, v8, vcc_lo
	v_subrev_nc_u32_e32 v5, 18, v2
	global_load_b32 v32, v[7:8], off
	v_add_co_u32 v7, vcc_lo, s10, v25
	s_wait_alu 0xfffd
	v_add_co_ci_u32_e64 v8, null, s11, v26, vcc_lo
	v_lshlrev_b64_e32 v[20:21], 2, v[5:6]
	v_add_nc_u32_e32 v5, -11, v2
	global_load_b32 v33, v[7:8], off
	v_add_co_u32 v20, vcc_lo, s8, v20
	s_wait_alu 0xfffd
	v_add_co_ci_u32_e64 v21, null, s9, v21, vcc_lo
	global_load_b32 v34, v[20:21], off
	s_wait_loadcnt 0x3
	v_fmac_f32_e32 v12, v31, v28
	v_lshlrev_b64_e32 v[25:26], 2, v[5:6]
	v_add_nc_u32_e32 v5, -4, v2
	s_delay_alu instid0(VALU_DEP_2) | instskip(SKIP_1) | instid1(VALU_DEP_3)
	v_add_co_u32 v20, vcc_lo, s8, v25
	s_wait_alu 0xfffd
	v_add_co_ci_u32_e64 v21, null, s9, v26, vcc_lo
	global_load_b32 v35, v[20:21], off
	s_wait_loadcnt 0x2
	v_fmac_f32_e32 v10, v17, v33
	v_lshlrev_b64_e32 v[7:8], 2, v[5:6]
	s_delay_alu instid0(VALU_DEP_1) | instskip(SKIP_1) | instid1(VALU_DEP_2)
	v_add_co_u32 v7, vcc_lo, s8, v7
	s_wait_alu 0xfffd
	v_add_co_ci_u32_e64 v8, null, s9, v8, vcc_lo
	global_load_b32 v36, v[7:8], off
	s_wait_loadcnt 0x1
	v_dual_fmac_f32 v12, v35, v33 :: v_dual_add_nc_u32 v5, 3, v19
	s_delay_alu instid0(VALU_DEP_1) | instskip(SKIP_1) | instid1(VALU_DEP_2)
	v_lshlrev_b64_e32 v[25:26], 2, v[5:6]
	v_subrev_nc_u32_e32 v5, 17, v2
	v_add_co_u32 v7, vcc_lo, s10, v25
	s_wait_alu 0xfffd
	s_delay_alu instid0(VALU_DEP_3) | instskip(NEXT) | instid1(VALU_DEP_3)
	v_add_co_ci_u32_e64 v8, null, s11, v26, vcc_lo
	v_lshlrev_b64_e32 v[20:21], 2, v[5:6]
	global_load_b32 v37, v[7:8], off
	v_add_nc_u32_e32 v5, -10, v2
	v_add_co_u32 v20, vcc_lo, s8, v20
	s_wait_alu 0xfffd
	v_add_co_ci_u32_e64 v21, null, s9, v21, vcc_lo
	global_load_b32 v38, v[20:21], off
	s_wait_loadcnt 0x1
	v_fmac_f32_e32 v10, v18, v37
	v_lshlrev_b64_e32 v[25:26], 2, v[5:6]
	s_delay_alu instid0(VALU_DEP_1) | instskip(SKIP_1) | instid1(VALU_DEP_2)
	v_add_co_u32 v20, vcc_lo, s8, v25
	s_wait_alu 0xfffd
	v_add_co_ci_u32_e64 v21, null, s9, v26, vcc_lo
	global_load_b32 v39, v[20:21], off
	v_add_nc_u32_e32 v5, -3, v2
	s_delay_alu instid0(VALU_DEP_1) | instskip(SKIP_1) | instid1(VALU_DEP_2)
	v_lshlrev_b64_e32 v[7:8], 2, v[5:6]
	v_subrev_nc_u32_e32 v5, 23, v2
	v_add_co_u32 v7, vcc_lo, s8, v7
	s_delay_alu instid0(VALU_DEP_2) | instskip(SKIP_1) | instid1(VALU_DEP_4)
	v_lshlrev_b64_e32 v[25:26], 2, v[5:6]
	s_wait_alu 0xfffd
	v_add_co_ci_u32_e64 v8, null, s9, v8, vcc_lo
	global_load_b32 v40, v[7:8], off
	v_add_co_u32 v7, vcc_lo, s8, v25
	s_wait_alu 0xfffd
	v_add_co_ci_u32_e64 v8, null, s9, v26, vcc_lo
	global_load_b32 v41, v[7:8], off
	v_add_nc_u32_e32 v5, 4, v19
	s_delay_alu instid0(VALU_DEP_1) | instskip(NEXT) | instid1(VALU_DEP_1)
	v_lshlrev_b64_e32 v[20:21], 2, v[5:6]
	v_add_co_u32 v20, vcc_lo, s10, v20
	s_wait_alu 0xfffd
	s_delay_alu instid0(VALU_DEP_2)
	v_add_co_ci_u32_e64 v21, null, s11, v21, vcc_lo
	global_load_b32 v42, v[20:21], off
	s_wait_loadcnt 0x3
	v_fmac_f32_e32 v12, v39, v37
	s_wait_loadcnt 0x0
	v_fmac_f32_e32 v10, v41, v42
	v_add_nc_u32_e32 v5, -16, v2
	s_delay_alu instid0(VALU_DEP_1) | instskip(SKIP_1) | instid1(VALU_DEP_1)
	v_lshlrev_b64_e32 v[25:26], 2, v[5:6]
	v_add_nc_u32_e32 v5, -9, v2
	v_lshlrev_b64_e32 v[7:8], 2, v[5:6]
	s_delay_alu instid0(VALU_DEP_3) | instskip(SKIP_1) | instid1(VALU_DEP_4)
	v_add_co_u32 v20, vcc_lo, s8, v25
	s_wait_alu 0xfffd
	v_add_co_ci_u32_e64 v21, null, s9, v26, vcc_lo
	v_add_nc_u32_e32 v5, -2, v2
	s_delay_alu instid0(VALU_DEP_4)
	v_add_co_u32 v7, vcc_lo, s8, v7
	s_wait_alu 0xfffd
	v_add_co_ci_u32_e64 v8, null, s9, v8, vcc_lo
	global_load_b32 v43, v[20:21], off
	v_lshlrev_b64_e32 v[25:26], 2, v[5:6]
	v_subrev_nc_u32_e32 v5, 22, v2
	global_load_b32 v44, v[7:8], off
	v_lshlrev_b64_e32 v[20:21], 2, v[5:6]
	v_add_nc_u32_e32 v5, 5, v19
	v_add_co_u32 v7, vcc_lo, s8, v25
	s_wait_alu 0xfffd
	v_add_co_ci_u32_e64 v8, null, s9, v26, vcc_lo
	s_delay_alu instid0(VALU_DEP_4)
	v_add_co_u32 v20, vcc_lo, s8, v20
	s_wait_alu 0xfffd
	v_add_co_ci_u32_e64 v21, null, s9, v21, vcc_lo
	s_clause 0x1
	global_load_b32 v45, v[7:8], off
	global_load_b32 v46, v[20:21], off
	s_wait_loadcnt 0x2
	v_fmac_f32_e32 v12, v44, v42
	v_lshlrev_b64_e32 v[25:26], 2, v[5:6]
	v_add_nc_u32_e32 v5, -15, v2
	s_delay_alu instid0(VALU_DEP_1) | instskip(SKIP_1) | instid1(VALU_DEP_4)
	v_lshlrev_b64_e32 v[7:8], 2, v[5:6]
	v_add_nc_u32_e32 v5, -8, v2
	v_add_co_u32 v20, vcc_lo, s10, v25
	s_wait_alu 0xfffd
	v_add_co_ci_u32_e64 v21, null, s11, v26, vcc_lo
	s_delay_alu instid0(VALU_DEP_3)
	v_lshlrev_b64_e32 v[25:26], 2, v[5:6]
	v_add_nc_u32_e32 v5, -1, v2
	v_add_co_u32 v7, vcc_lo, s8, v7
	s_wait_alu 0xfffd
	v_add_co_ci_u32_e64 v8, null, s9, v8, vcc_lo
	global_load_b32 v47, v[20:21], off
	v_lshlrev_b64_e32 v[20:21], 2, v[5:6]
	v_subrev_nc_u32_e32 v5, 21, v2
	global_load_b32 v48, v[7:8], off
	v_add_co_u32 v7, vcc_lo, s8, v25
	s_wait_alu 0xfffd
	v_add_co_ci_u32_e64 v8, null, s9, v26, vcc_lo
	v_lshlrev_b64_e32 v[25:26], 2, v[5:6]
	v_add_nc_u32_e32 v5, 6, v19
	v_add_co_u32 v19, vcc_lo, s8, v20
	s_wait_alu 0xfffd
	v_add_co_ci_u32_e64 v20, null, s9, v21, vcc_lo
	s_clause 0x1
	global_load_b32 v49, v[7:8], off
	global_load_b32 v50, v[19:20], off
	v_lshlrev_b64_e32 v[7:8], 2, v[5:6]
	v_add_nc_u32_e32 v5, -14, v2
	v_add_co_u32 v19, vcc_lo, s8, v25
	s_wait_alu 0xfffd
	v_add_co_ci_u32_e64 v20, null, s9, v26, vcc_lo
	s_delay_alu instid0(VALU_DEP_3) | instskip(SKIP_4) | instid1(VALU_DEP_3)
	v_lshlrev_b64_e32 v[21:22], 2, v[5:6]
	v_add_nc_u32_e32 v5, -7, v2
	v_add_co_u32 v7, vcc_lo, s10, v7
	s_wait_alu 0xfffd
	v_add_co_ci_u32_e64 v8, null, s11, v8, vcc_lo
	v_lshlrev_b64_e32 v[25:26], 2, v[5:6]
	v_add_co_u32 v21, vcc_lo, s8, v21
	s_wait_alu 0xfffd
	v_add_co_ci_u32_e64 v22, null, s9, v22, vcc_lo
	v_add_nc_u32_e32 v2, 0x70, v2
	s_delay_alu instid0(VALU_DEP_4)
	v_add_co_u32 v25, vcc_lo, s8, v25
	s_wait_alu 0xfffd
	v_add_co_ci_u32_e64 v26, null, s9, v26, vcc_lo
	global_load_b32 v5, v[19:20], off
	global_load_b32 v7, v[7:8], off
	s_clause 0x2
	global_load_b32 v8, v[21:22], off
	global_load_b32 v19, v[25:26], off
	;; [unrolled: 1-line block ×3, first 2 shown]
	v_fmac_f32_e32 v11, v32, v28
	v_cmp_ge_i32_e32 vcc_lo, v0, v14
	s_delay_alu instid0(VALU_DEP_2) | instskip(SKIP_2) | instid1(VALU_DEP_1)
	v_fmac_f32_e32 v11, v36, v33
	s_wait_alu 0xfffe
	s_or_b32 s2, vcc_lo, s2
	v_fmac_f32_e32 v11, v40, v37
	s_wait_loadcnt 0x8
	s_delay_alu instid0(VALU_DEP_1) | instskip(SKIP_3) | instid1(VALU_DEP_2)
	v_dual_fmac_f32 v11, v45, v42 :: v_dual_fmac_f32 v10, v46, v47
	s_wait_loadcnt 0x6
	v_dual_fmac_f32 v13, v30, v28 :: v_dual_fmac_f32 v12, v49, v47
	s_wait_loadcnt 0x5
	v_fmac_f32_e32 v11, v50, v47
	s_wait_loadcnt 0x3
	s_delay_alu instid0(VALU_DEP_2)
	v_dual_fmac_f32 v10, v5, v7 :: v_dual_fmac_f32 v13, v34, v33
	s_wait_loadcnt 0x1
	v_fmac_f32_e32 v12, v19, v7
	s_wait_loadcnt 0x0
	v_fmac_f32_e32 v11, v20, v7
	v_fmac_f32_e32 v13, v38, v37
	s_delay_alu instid0(VALU_DEP_1) | instskip(NEXT) | instid1(VALU_DEP_1)
	v_fmac_f32_e32 v13, v43, v42
	v_fmac_f32_e32 v13, v48, v47
	s_delay_alu instid0(VALU_DEP_1)
	v_fmac_f32_e32 v13, v8, v7
	s_wait_alu 0xfffe
	s_and_not1_b32 exec_lo, exec_lo, s2
	s_cbranch_execnz .LBB25_15
; %bb.16:
	s_or_b32 exec_lo, exec_lo, s2
.LBB25_17:
	s_wait_alu 0xfffe
	s_or_b32 exec_lo, exec_lo, s3
.LBB25_18:
	v_mbcnt_lo_u32_b32 v0, -1, 0
	s_mov_b32 s2, -1
	s_delay_alu instid0(VALU_DEP_1) | instskip(NEXT) | instid1(VALU_DEP_1)
	v_xor_b32_e32 v1, 2, v0
	v_cmp_gt_i32_e32 vcc_lo, 32, v1
	s_wait_alu 0xfffd
	v_cndmask_b32_e32 v1, v0, v1, vcc_lo
	s_delay_alu instid0(VALU_DEP_1)
	v_lshlrev_b32_e32 v1, 2, v1
	ds_bpermute_b32 v2, v1, v10
	ds_bpermute_b32 v3, v1, v13
	;; [unrolled: 1-line block ×4, first 2 shown]
	v_xor_b32_e32 v1, 1, v0
	s_delay_alu instid0(VALU_DEP_1) | instskip(SKIP_4) | instid1(VALU_DEP_2)
	v_cmp_gt_i32_e32 vcc_lo, 32, v1
	s_wait_alu 0xfffd
	v_cndmask_b32_e32 v0, v0, v1, vcc_lo
	v_cmp_eq_u32_e32 vcc_lo, 3, v9
	s_wait_dscnt 0x2
	v_dual_add_f32 v1, v13, v3 :: v_dual_lshlrev_b32 v8, 2, v0
	v_add_f32_e32 v0, v10, v2
	s_wait_dscnt 0x0
	v_dual_add_f32 v2, v12, v5 :: v_dual_add_f32 v3, v11, v6
	ds_bpermute_b32 v6, v8, v1
	ds_bpermute_b32 v5, v8, v0
	ds_bpermute_b32 v7, v8, v2
	ds_bpermute_b32 v8, v8, v3
	s_and_b32 exec_lo, exec_lo, vcc_lo
	s_cbranch_execz .LBB25_23
; %bb.19:
	s_load_b64 s[0:1], s[0:1], 0x38
	s_wait_dscnt 0x2
	v_dual_add_f32 v0, v0, v5 :: v_dual_add_f32 v1, v1, v6
	s_wait_dscnt 0x0
	v_dual_add_f32 v2, v2, v7 :: v_dual_add_f32 v3, v3, v8
	v_lshlrev_b32_e32 v4, 2, v4
	s_delay_alu instid0(VALU_DEP_3) | instskip(NEXT) | instid1(VALU_DEP_3)
	v_dual_mul_f32 v0, s14, v0 :: v_dual_mul_f32 v1, s14, v1
	v_dual_mul_f32 v2, s14, v2 :: v_dual_mul_f32 v3, s14, v3
	s_cmp_eq_f32 s12, 0
	s_cbranch_scc0 .LBB25_21
; %bb.20:
	v_ashrrev_i32_e32 v5, 31, v4
	s_mov_b32 s2, 0
	s_delay_alu instid0(VALU_DEP_1) | instskip(SKIP_1) | instid1(VALU_DEP_1)
	v_lshlrev_b64_e32 v[5:6], 2, v[4:5]
	s_wait_kmcnt 0x0
	v_add_co_u32 v5, vcc_lo, s0, v5
	s_wait_alu 0xfffd
	s_delay_alu instid0(VALU_DEP_2)
	v_add_co_ci_u32_e64 v6, null, s1, v6, vcc_lo
	global_store_b128 v[5:6], v[0:3], off
.LBB25_21:
	s_wait_alu 0xfffe
	s_and_not1_b32 vcc_lo, exec_lo, s2
	s_wait_alu 0xfffe
	s_cbranch_vccnz .LBB25_23
; %bb.22:
	v_ashrrev_i32_e32 v5, 31, v4
	s_delay_alu instid0(VALU_DEP_1) | instskip(SKIP_1) | instid1(VALU_DEP_1)
	v_lshlrev_b64_e32 v[4:5], 2, v[4:5]
	s_wait_kmcnt 0x0
	v_add_co_u32 v8, vcc_lo, s0, v4
	s_wait_alu 0xfffd
	s_delay_alu instid0(VALU_DEP_2)
	v_add_co_ci_u32_e64 v9, null, s1, v5, vcc_lo
	global_load_b128 v[4:7], v[8:9], off
	s_wait_loadcnt 0x0
	v_dual_fmac_f32 v0, s12, v4 :: v_dual_fmac_f32 v1, s12, v5
	v_dual_fmac_f32 v2, s12, v6 :: v_dual_fmac_f32 v3, s12, v7
	global_store_b128 v[8:9], v[0:3], off
.LBB25_23:
	s_endpgm
	.section	.rodata,"a",@progbits
	.p2align	6, 0x0
	.amdhsa_kernel _ZN9rocsparseL19gebsrmvn_4xn_kernelILj128ELj7ELj4EfEEvi20rocsparse_direction_NS_24const_host_device_scalarIT2_EEPKiS6_PKS3_S8_S4_PS3_21rocsparse_index_base_b
		.amdhsa_group_segment_fixed_size 0
		.amdhsa_private_segment_fixed_size 0
		.amdhsa_kernarg_size 72
		.amdhsa_user_sgpr_count 2
		.amdhsa_user_sgpr_dispatch_ptr 0
		.amdhsa_user_sgpr_queue_ptr 0
		.amdhsa_user_sgpr_kernarg_segment_ptr 1
		.amdhsa_user_sgpr_dispatch_id 0
		.amdhsa_user_sgpr_private_segment_size 0
		.amdhsa_wavefront_size32 1
		.amdhsa_uses_dynamic_stack 0
		.amdhsa_enable_private_segment 0
		.amdhsa_system_sgpr_workgroup_id_x 1
		.amdhsa_system_sgpr_workgroup_id_y 0
		.amdhsa_system_sgpr_workgroup_id_z 0
		.amdhsa_system_sgpr_workgroup_info 0
		.amdhsa_system_vgpr_workitem_id 0
		.amdhsa_next_free_vgpr 51
		.amdhsa_next_free_sgpr 18
		.amdhsa_reserve_vcc 1
		.amdhsa_float_round_mode_32 0
		.amdhsa_float_round_mode_16_64 0
		.amdhsa_float_denorm_mode_32 3
		.amdhsa_float_denorm_mode_16_64 3
		.amdhsa_fp16_overflow 0
		.amdhsa_workgroup_processor_mode 1
		.amdhsa_memory_ordered 1
		.amdhsa_forward_progress 1
		.amdhsa_inst_pref_size 27
		.amdhsa_round_robin_scheduling 0
		.amdhsa_exception_fp_ieee_invalid_op 0
		.amdhsa_exception_fp_denorm_src 0
		.amdhsa_exception_fp_ieee_div_zero 0
		.amdhsa_exception_fp_ieee_overflow 0
		.amdhsa_exception_fp_ieee_underflow 0
		.amdhsa_exception_fp_ieee_inexact 0
		.amdhsa_exception_int_div_zero 0
	.end_amdhsa_kernel
	.section	.text._ZN9rocsparseL19gebsrmvn_4xn_kernelILj128ELj7ELj4EfEEvi20rocsparse_direction_NS_24const_host_device_scalarIT2_EEPKiS6_PKS3_S8_S4_PS3_21rocsparse_index_base_b,"axG",@progbits,_ZN9rocsparseL19gebsrmvn_4xn_kernelILj128ELj7ELj4EfEEvi20rocsparse_direction_NS_24const_host_device_scalarIT2_EEPKiS6_PKS3_S8_S4_PS3_21rocsparse_index_base_b,comdat
.Lfunc_end25:
	.size	_ZN9rocsparseL19gebsrmvn_4xn_kernelILj128ELj7ELj4EfEEvi20rocsparse_direction_NS_24const_host_device_scalarIT2_EEPKiS6_PKS3_S8_S4_PS3_21rocsparse_index_base_b, .Lfunc_end25-_ZN9rocsparseL19gebsrmvn_4xn_kernelILj128ELj7ELj4EfEEvi20rocsparse_direction_NS_24const_host_device_scalarIT2_EEPKiS6_PKS3_S8_S4_PS3_21rocsparse_index_base_b
                                        ; -- End function
	.set _ZN9rocsparseL19gebsrmvn_4xn_kernelILj128ELj7ELj4EfEEvi20rocsparse_direction_NS_24const_host_device_scalarIT2_EEPKiS6_PKS3_S8_S4_PS3_21rocsparse_index_base_b.num_vgpr, 51
	.set _ZN9rocsparseL19gebsrmvn_4xn_kernelILj128ELj7ELj4EfEEvi20rocsparse_direction_NS_24const_host_device_scalarIT2_EEPKiS6_PKS3_S8_S4_PS3_21rocsparse_index_base_b.num_agpr, 0
	.set _ZN9rocsparseL19gebsrmvn_4xn_kernelILj128ELj7ELj4EfEEvi20rocsparse_direction_NS_24const_host_device_scalarIT2_EEPKiS6_PKS3_S8_S4_PS3_21rocsparse_index_base_b.numbered_sgpr, 18
	.set _ZN9rocsparseL19gebsrmvn_4xn_kernelILj128ELj7ELj4EfEEvi20rocsparse_direction_NS_24const_host_device_scalarIT2_EEPKiS6_PKS3_S8_S4_PS3_21rocsparse_index_base_b.num_named_barrier, 0
	.set _ZN9rocsparseL19gebsrmvn_4xn_kernelILj128ELj7ELj4EfEEvi20rocsparse_direction_NS_24const_host_device_scalarIT2_EEPKiS6_PKS3_S8_S4_PS3_21rocsparse_index_base_b.private_seg_size, 0
	.set _ZN9rocsparseL19gebsrmvn_4xn_kernelILj128ELj7ELj4EfEEvi20rocsparse_direction_NS_24const_host_device_scalarIT2_EEPKiS6_PKS3_S8_S4_PS3_21rocsparse_index_base_b.uses_vcc, 1
	.set _ZN9rocsparseL19gebsrmvn_4xn_kernelILj128ELj7ELj4EfEEvi20rocsparse_direction_NS_24const_host_device_scalarIT2_EEPKiS6_PKS3_S8_S4_PS3_21rocsparse_index_base_b.uses_flat_scratch, 0
	.set _ZN9rocsparseL19gebsrmvn_4xn_kernelILj128ELj7ELj4EfEEvi20rocsparse_direction_NS_24const_host_device_scalarIT2_EEPKiS6_PKS3_S8_S4_PS3_21rocsparse_index_base_b.has_dyn_sized_stack, 0
	.set _ZN9rocsparseL19gebsrmvn_4xn_kernelILj128ELj7ELj4EfEEvi20rocsparse_direction_NS_24const_host_device_scalarIT2_EEPKiS6_PKS3_S8_S4_PS3_21rocsparse_index_base_b.has_recursion, 0
	.set _ZN9rocsparseL19gebsrmvn_4xn_kernelILj128ELj7ELj4EfEEvi20rocsparse_direction_NS_24const_host_device_scalarIT2_EEPKiS6_PKS3_S8_S4_PS3_21rocsparse_index_base_b.has_indirect_call, 0
	.section	.AMDGPU.csdata,"",@progbits
; Kernel info:
; codeLenInByte = 3364
; TotalNumSgprs: 20
; NumVgprs: 51
; ScratchSize: 0
; MemoryBound: 0
; FloatMode: 240
; IeeeMode: 1
; LDSByteSize: 0 bytes/workgroup (compile time only)
; SGPRBlocks: 0
; VGPRBlocks: 6
; NumSGPRsForWavesPerEU: 20
; NumVGPRsForWavesPerEU: 51
; Occupancy: 16
; WaveLimiterHint : 1
; COMPUTE_PGM_RSRC2:SCRATCH_EN: 0
; COMPUTE_PGM_RSRC2:USER_SGPR: 2
; COMPUTE_PGM_RSRC2:TRAP_HANDLER: 0
; COMPUTE_PGM_RSRC2:TGID_X_EN: 1
; COMPUTE_PGM_RSRC2:TGID_Y_EN: 0
; COMPUTE_PGM_RSRC2:TGID_Z_EN: 0
; COMPUTE_PGM_RSRC2:TIDIG_COMP_CNT: 0
	.section	.text._ZN9rocsparseL19gebsrmvn_4xn_kernelILj128ELj7ELj8EfEEvi20rocsparse_direction_NS_24const_host_device_scalarIT2_EEPKiS6_PKS3_S8_S4_PS3_21rocsparse_index_base_b,"axG",@progbits,_ZN9rocsparseL19gebsrmvn_4xn_kernelILj128ELj7ELj8EfEEvi20rocsparse_direction_NS_24const_host_device_scalarIT2_EEPKiS6_PKS3_S8_S4_PS3_21rocsparse_index_base_b,comdat
	.globl	_ZN9rocsparseL19gebsrmvn_4xn_kernelILj128ELj7ELj8EfEEvi20rocsparse_direction_NS_24const_host_device_scalarIT2_EEPKiS6_PKS3_S8_S4_PS3_21rocsparse_index_base_b ; -- Begin function _ZN9rocsparseL19gebsrmvn_4xn_kernelILj128ELj7ELj8EfEEvi20rocsparse_direction_NS_24const_host_device_scalarIT2_EEPKiS6_PKS3_S8_S4_PS3_21rocsparse_index_base_b
	.p2align	8
	.type	_ZN9rocsparseL19gebsrmvn_4xn_kernelILj128ELj7ELj8EfEEvi20rocsparse_direction_NS_24const_host_device_scalarIT2_EEPKiS6_PKS3_S8_S4_PS3_21rocsparse_index_base_b,@function
_ZN9rocsparseL19gebsrmvn_4xn_kernelILj128ELj7ELj8EfEEvi20rocsparse_direction_NS_24const_host_device_scalarIT2_EEPKiS6_PKS3_S8_S4_PS3_21rocsparse_index_base_b: ; @_ZN9rocsparseL19gebsrmvn_4xn_kernelILj128ELj7ELj8EfEEvi20rocsparse_direction_NS_24const_host_device_scalarIT2_EEPKiS6_PKS3_S8_S4_PS3_21rocsparse_index_base_b
; %bb.0:
	s_clause 0x2
	s_load_b64 s[16:17], s[0:1], 0x40
	s_load_b64 s[14:15], s[0:1], 0x8
	;; [unrolled: 1-line block ×3, first 2 shown]
	s_wait_kmcnt 0x0
	s_bitcmp1_b32 s17, 0
	s_cselect_b32 s2, -1, 0
	s_delay_alu instid0(SALU_CYCLE_1)
	s_and_b32 vcc_lo, exec_lo, s2
	s_xor_b32 s2, s2, -1
	s_cbranch_vccnz .LBB26_2
; %bb.1:
	s_load_b32 s14, s[14:15], 0x0
.LBB26_2:
	s_and_not1_b32 vcc_lo, exec_lo, s2
	s_cbranch_vccnz .LBB26_4
; %bb.3:
	s_load_b32 s12, s[12:13], 0x0
.LBB26_4:
	s_wait_kmcnt 0x0
	s_cmp_eq_f32 s14, 0
	s_cselect_b32 s2, -1, 0
	s_cmp_eq_f32 s12, 1.0
	s_cselect_b32 s3, -1, 0
	s_delay_alu instid0(SALU_CYCLE_1) | instskip(NEXT) | instid1(SALU_CYCLE_1)
	s_and_b32 s2, s2, s3
	s_and_b32 vcc_lo, exec_lo, s2
	s_cbranch_vccnz .LBB26_23
; %bb.5:
	s_load_b64 s[2:3], s[0:1], 0x0
	v_lshrrev_b32_e32 v1, 3, v0
	s_delay_alu instid0(VALU_DEP_1) | instskip(SKIP_1) | instid1(VALU_DEP_1)
	v_lshl_or_b32 v4, ttmp9, 4, v1
	s_wait_kmcnt 0x0
	v_cmp_gt_i32_e32 vcc_lo, s2, v4
	s_and_saveexec_b32 s2, vcc_lo
	s_cbranch_execz .LBB26_23
; %bb.6:
	s_load_b256 s[4:11], s[0:1], 0x10
	v_ashrrev_i32_e32 v5, 31, v4
	v_and_b32_e32 v9, 7, v0
	s_cmp_lg_u32 s3, 0
	s_delay_alu instid0(VALU_DEP_2) | instskip(SKIP_1) | instid1(VALU_DEP_1)
	v_lshlrev_b64_e32 v[1:2], 2, v[4:5]
	s_wait_kmcnt 0x0
	v_add_co_u32 v1, vcc_lo, s4, v1
	s_delay_alu instid0(VALU_DEP_1) | instskip(SKIP_4) | instid1(VALU_DEP_2)
	v_add_co_ci_u32_e64 v2, null, s5, v2, vcc_lo
	global_load_b64 v[1:2], v[1:2], off
	s_wait_loadcnt 0x0
	v_subrev_nc_u32_e32 v0, s16, v1
	v_subrev_nc_u32_e32 v14, s16, v2
	v_add_nc_u32_e32 v0, v0, v9
	s_delay_alu instid0(VALU_DEP_1)
	v_cmp_lt_i32_e64 s2, v0, v14
	s_cbranch_scc0 .LBB26_12
; %bb.7:
	v_dual_mov_b32 v10, 0 :: v_dual_mov_b32 v11, 0
	v_dual_mov_b32 v12, 0 :: v_dual_mov_b32 v13, 0
	s_and_saveexec_b32 s3, s2
	s_cbranch_execz .LBB26_11
; %bb.8:
	v_mad_co_u64_u32 v[1:2], null, v0, 28, 24
	v_dual_mov_b32 v6, 0 :: v_dual_mov_b32 v7, v0
	v_dual_mov_b32 v10, 0 :: v_dual_mov_b32 v11, 0
	;; [unrolled: 1-line block ×3, first 2 shown]
	s_mov_b32 s4, 0
.LBB26_9:                               ; =>This Inner Loop Header: Depth=1
	s_delay_alu instid0(VALU_DEP_3) | instskip(SKIP_1) | instid1(VALU_DEP_2)
	v_ashrrev_i32_e32 v8, 31, v7
	v_subrev_nc_u32_e32 v5, 24, v1
	v_lshlrev_b64_e32 v[2:3], 2, v[7:8]
	s_delay_alu instid0(VALU_DEP_2) | instskip(SKIP_2) | instid1(VALU_DEP_4)
	v_lshlrev_b64_e32 v[15:16], 2, v[5:6]
	v_subrev_nc_u32_e32 v5, 20, v1
	v_add_nc_u32_e32 v7, 8, v7
	v_add_co_u32 v2, vcc_lo, s6, v2
	s_wait_alu 0xfffd
	v_add_co_ci_u32_e64 v3, null, s7, v3, vcc_lo
	v_lshlrev_b64_e32 v[19:20], 2, v[5:6]
	v_add_co_u32 v15, vcc_lo, s8, v15
	global_load_b32 v8, v[2:3], off
	v_dual_mov_b32 v3, v6 :: v_dual_mov_b32 v2, v6
	s_wait_alu 0xfffd
	v_add_co_ci_u32_e64 v16, null, s9, v16, vcc_lo
	s_delay_alu instid0(VALU_DEP_2) | instskip(NEXT) | instid1(VALU_DEP_1)
	v_lshlrev_b64_e32 v[17:18], 2, v[1:2]
	v_add_co_u32 v39, vcc_lo, s8, v17
	s_wait_alu 0xfffd
	s_delay_alu instid0(VALU_DEP_2)
	v_add_co_ci_u32_e64 v40, null, s9, v18, vcc_lo
	v_add_co_u32 v19, vcc_lo, s8, v19
	s_wait_alu 0xfffd
	v_add_co_ci_u32_e64 v20, null, s9, v20, vcc_lo
	s_clause 0x1
	global_load_b128 v[15:18], v[15:16], off
	global_load_b128 v[19:22], v[19:20], off
	s_wait_loadcnt 0x2
	v_subrev_nc_u32_e32 v2, s16, v8
	s_delay_alu instid0(VALU_DEP_1) | instskip(NEXT) | instid1(VALU_DEP_1)
	v_mul_lo_u32 v2, v2, 7
	v_lshlrev_b64_e32 v[23:24], 2, v[2:3]
	s_delay_alu instid0(VALU_DEP_1) | instskip(SKIP_1) | instid1(VALU_DEP_2)
	v_add_co_u32 v23, vcc_lo, s10, v23
	s_wait_alu 0xfffd
	v_add_co_ci_u32_e64 v24, null, s11, v24, vcc_lo
	global_load_b32 v8, v[23:24], off
	v_add_nc_u32_e32 v5, 1, v2
	s_delay_alu instid0(VALU_DEP_1) | instskip(NEXT) | instid1(VALU_DEP_1)
	v_lshlrev_b64_e32 v[25:26], 2, v[5:6]
	v_add_co_u32 v25, vcc_lo, s10, v25
	s_wait_alu 0xfffd
	s_delay_alu instid0(VALU_DEP_2) | instskip(SKIP_3) | instid1(VALU_DEP_1)
	v_add_co_ci_u32_e64 v26, null, s11, v26, vcc_lo
	global_load_b32 v45, v[25:26], off
	s_wait_loadcnt 0x1
	v_dual_fmac_f32 v12, v17, v8 :: v_dual_add_nc_u32 v5, -16, v1
	v_lshlrev_b64_e32 v[27:28], 2, v[5:6]
	v_dual_fmac_f32 v10, v15, v8 :: v_dual_add_nc_u32 v5, 2, v2
	s_delay_alu instid0(VALU_DEP_2) | instskip(SKIP_1) | instid1(VALU_DEP_3)
	v_add_co_u32 v25, vcc_lo, s8, v27
	s_wait_alu 0xfffd
	v_add_co_ci_u32_e64 v26, null, s9, v28, vcc_lo
	s_wait_loadcnt 0x0
	v_fmac_f32_e32 v10, v19, v45
	v_lshlrev_b64_e32 v[23:24], 2, v[5:6]
	v_fmac_f32_e32 v12, v21, v45
	s_delay_alu instid0(VALU_DEP_2) | instskip(SKIP_1) | instid1(VALU_DEP_3)
	v_add_co_u32 v29, vcc_lo, s10, v23
	s_wait_alu 0xfffd
	v_add_co_ci_u32_e64 v30, null, s11, v24, vcc_lo
	global_load_b128 v[23:26], v[25:26], off
	global_load_b32 v46, v[29:30], off
	v_add_nc_u32_e32 v5, -12, v1
	s_delay_alu instid0(VALU_DEP_1) | instskip(SKIP_1) | instid1(VALU_DEP_1)
	v_lshlrev_b64_e32 v[27:28], 2, v[5:6]
	v_add_nc_u32_e32 v5, 3, v2
	v_lshlrev_b64_e32 v[31:32], 2, v[5:6]
	s_delay_alu instid0(VALU_DEP_3) | instskip(SKIP_1) | instid1(VALU_DEP_4)
	v_add_co_u32 v27, vcc_lo, s8, v27
	s_wait_alu 0xfffd
	v_add_co_ci_u32_e64 v28, null, s9, v28, vcc_lo
	s_delay_alu instid0(VALU_DEP_3)
	v_add_co_u32 v31, vcc_lo, s10, v31
	s_wait_alu 0xfffd
	v_add_co_ci_u32_e64 v32, null, s11, v32, vcc_lo
	global_load_b32 v47, v[31:32], off
	global_load_b128 v[27:30], v[27:28], off
	s_wait_loadcnt 0x2
	v_dual_fmac_f32 v12, v25, v46 :: v_dual_add_nc_u32 v5, -8, v1
	s_delay_alu instid0(VALU_DEP_1) | instskip(SKIP_2) | instid1(VALU_DEP_3)
	v_lshlrev_b64_e32 v[33:34], 2, v[5:6]
	v_fmac_f32_e32 v10, v23, v46
	v_add_nc_u32_e32 v5, 4, v2
	v_add_co_u32 v31, vcc_lo, s8, v33
	s_wait_alu 0xfffd
	s_delay_alu instid0(VALU_DEP_4)
	v_add_co_ci_u32_e64 v32, null, s9, v34, vcc_lo
	global_load_b128 v[31:34], v[31:32], off
	s_wait_loadcnt 0x1
	v_fmac_f32_e32 v10, v27, v47
	v_lshlrev_b64_e32 v[35:36], 2, v[5:6]
	v_dual_fmac_f32 v12, v29, v47 :: v_dual_add_nc_u32 v5, -4, v1
	v_add_nc_u32_e32 v1, 0xe0, v1
	s_delay_alu instid0(VALU_DEP_3) | instskip(SKIP_1) | instid1(VALU_DEP_4)
	v_add_co_u32 v35, vcc_lo, s10, v35
	s_wait_alu 0xfffd
	v_add_co_ci_u32_e64 v36, null, s11, v36, vcc_lo
	v_lshlrev_b64_e32 v[37:38], 2, v[5:6]
	global_load_b32 v48, v[35:36], off
	s_wait_loadcnt 0x0
	v_dual_fmac_f32 v10, v31, v48 :: v_dual_add_nc_u32 v5, 5, v2
	s_delay_alu instid0(VALU_DEP_1) | instskip(SKIP_4) | instid1(VALU_DEP_3)
	v_lshlrev_b64_e32 v[41:42], 2, v[5:6]
	v_dual_fmac_f32 v12, v33, v48 :: v_dual_add_nc_u32 v5, 6, v2
	v_add_co_u32 v2, vcc_lo, s8, v37
	s_wait_alu 0xfffd
	v_add_co_ci_u32_e64 v3, null, s9, v38, vcc_lo
	v_lshlrev_b64_e32 v[43:44], 2, v[5:6]
	v_add_co_u32 v41, vcc_lo, s10, v41
	s_wait_alu 0xfffd
	v_add_co_ci_u32_e64 v42, null, s11, v42, vcc_lo
	global_load_b128 v[35:38], v[2:3], off
	global_load_b32 v5, v[41:42], off
	v_add_co_u32 v2, vcc_lo, s10, v43
	s_wait_alu 0xfffd
	v_add_co_ci_u32_e64 v3, null, s11, v44, vcc_lo
	global_load_b128 v[39:42], v[39:40], off
	global_load_b32 v2, v[2:3], off
	v_fmac_f32_e32 v13, v16, v8
	v_fmac_f32_e32 v11, v18, v8
	v_cmp_ge_i32_e32 vcc_lo, v7, v14
	s_wait_alu 0xfffe
	s_or_b32 s4, vcc_lo, s4
	s_wait_loadcnt 0x2
	v_fmac_f32_e32 v10, v35, v5
	v_fmac_f32_e32 v13, v20, v45
	;; [unrolled: 1-line block ×3, first 2 shown]
	s_wait_loadcnt 0x0
	s_delay_alu instid0(VALU_DEP_1) | instskip(NEXT) | instid1(VALU_DEP_1)
	v_dual_fmac_f32 v11, v22, v45 :: v_dual_fmac_f32 v12, v41, v2
	v_fmac_f32_e32 v11, v26, v46
	v_fmac_f32_e32 v10, v39, v2
	;; [unrolled: 1-line block ×3, first 2 shown]
	s_delay_alu instid0(VALU_DEP_3) | instskip(NEXT) | instid1(VALU_DEP_2)
	v_fmac_f32_e32 v11, v30, v47
	v_fmac_f32_e32 v13, v28, v47
	s_delay_alu instid0(VALU_DEP_2) | instskip(NEXT) | instid1(VALU_DEP_2)
	v_fmac_f32_e32 v11, v34, v48
	v_fmac_f32_e32 v13, v32, v48
	s_delay_alu instid0(VALU_DEP_2) | instskip(NEXT) | instid1(VALU_DEP_2)
	;; [unrolled: 3-line block ×3, first 2 shown]
	v_fmac_f32_e32 v11, v42, v2
	v_fmac_f32_e32 v13, v40, v2
	s_wait_alu 0xfffe
	s_and_not1_b32 exec_lo, exec_lo, s4
	s_cbranch_execnz .LBB26_9
; %bb.10:
	s_or_b32 exec_lo, exec_lo, s4
.LBB26_11:
	s_wait_alu 0xfffe
	s_or_b32 exec_lo, exec_lo, s3
	s_cbranch_execz .LBB26_13
	s_branch .LBB26_18
.LBB26_12:
                                        ; implicit-def: $vgpr10
                                        ; implicit-def: $vgpr11
                                        ; implicit-def: $vgpr12
                                        ; implicit-def: $vgpr13
.LBB26_13:
	v_dual_mov_b32 v10, 0 :: v_dual_mov_b32 v11, 0
	v_dual_mov_b32 v12, 0 :: v_dual_mov_b32 v13, 0
	s_and_saveexec_b32 s3, s2
	s_cbranch_execz .LBB26_17
; %bb.14:
	v_mad_co_u64_u32 v[2:3], null, v0, 28, 27
	v_dual_mov_b32 v6, 0 :: v_dual_mov_b32 v11, 0
	v_dual_mov_b32 v10, 0 :: v_dual_mov_b32 v13, 0
	v_mov_b32_e32 v12, 0
	s_mov_b32 s2, 0
.LBB26_15:                              ; =>This Inner Loop Header: Depth=1
	v_ashrrev_i32_e32 v1, 31, v0
	v_subrev_nc_u32_e32 v5, 27, v2
	v_add_nc_u32_e32 v17, -6, v2
	v_dual_mov_b32 v20, v6 :: v_dual_add_nc_u32 v15, -13, v2
	s_delay_alu instid0(VALU_DEP_4) | instskip(SKIP_3) | instid1(VALU_DEP_4)
	v_lshlrev_b64_e32 v[7:8], 2, v[0:1]
	v_dual_mov_b32 v16, v6 :: v_dual_mov_b32 v3, v6
	v_lshlrev_b64_e32 v[21:22], 2, v[5:6]
	v_add_nc_u32_e32 v0, 8, v0
	v_add_co_u32 v7, vcc_lo, s6, v7
	s_wait_alu 0xfffd
	v_add_co_ci_u32_e64 v8, null, s7, v8, vcc_lo
	v_lshlrev_b64_e32 v[15:16], 2, v[15:16]
	v_add_co_u32 v21, vcc_lo, s8, v21
	global_load_b32 v1, v[7:8], off
	v_subrev_nc_u32_e32 v7, 20, v2
	v_mov_b32_e32 v8, v6
	s_wait_alu 0xfffd
	v_add_co_ci_u32_e64 v22, null, s9, v22, vcc_lo
	v_lshlrev_b64_e32 v[23:24], 2, v[2:3]
	s_delay_alu instid0(VALU_DEP_3) | instskip(NEXT) | instid1(VALU_DEP_1)
	v_lshlrev_b64_e32 v[7:8], 2, v[7:8]
	v_add_co_u32 v7, vcc_lo, s8, v7
	s_wait_alu 0xfffd
	s_delay_alu instid0(VALU_DEP_2)
	v_add_co_ci_u32_e64 v8, null, s9, v8, vcc_lo
	v_add_co_u32 v25, vcc_lo, s8, v15
	s_wait_alu 0xfffd
	v_add_co_ci_u32_e64 v26, null, s9, v16, vcc_lo
	s_wait_loadcnt 0x0
	v_subrev_nc_u32_e32 v1, s16, v1
	s_delay_alu instid0(VALU_DEP_1) | instskip(NEXT) | instid1(VALU_DEP_1)
	v_mul_lo_u32 v19, v1, 7
	v_dual_mov_b32 v18, v6 :: v_dual_add_nc_u32 v5, 1, v19
	s_delay_alu instid0(VALU_DEP_1) | instskip(NEXT) | instid1(VALU_DEP_1)
	v_lshlrev_b64_e32 v[17:18], 2, v[17:18]
	v_add_co_u32 v27, vcc_lo, s8, v17
	s_wait_alu 0xfffd
	s_delay_alu instid0(VALU_DEP_2)
	v_add_co_ci_u32_e64 v28, null, s9, v18, vcc_lo
	s_clause 0x3
	global_load_b128 v[15:18], v[21:22], off
	global_load_b32 v3, v[7:8], off
	global_load_b32 v29, v[25:26], off
	;; [unrolled: 1-line block ×3, first 2 shown]
	v_lshlrev_b64_e32 v[7:8], 2, v[19:20]
	v_add_co_u32 v23, vcc_lo, s8, v23
	s_wait_alu 0xfffd
	v_add_co_ci_u32_e64 v24, null, s9, v24, vcc_lo
	v_lshlrev_b64_e32 v[20:21], 2, v[5:6]
	s_delay_alu instid0(VALU_DEP_4)
	v_add_co_u32 v7, vcc_lo, s10, v7
	s_wait_alu 0xfffd
	v_add_co_ci_u32_e64 v8, null, s11, v8, vcc_lo
	v_subrev_nc_u32_e32 v5, 19, v2
	global_load_b32 v1, v[7:8], off
	v_add_co_u32 v7, vcc_lo, s10, v20
	s_wait_alu 0xfffd
	v_add_co_ci_u32_e64 v8, null, s11, v21, vcc_lo
	v_lshlrev_b64_e32 v[25:26], 2, v[5:6]
	v_add_nc_u32_e32 v5, -12, v2
	global_load_b32 v28, v[7:8], off
	v_add_co_u32 v25, vcc_lo, s8, v25
	s_wait_alu 0xfffd
	v_add_co_ci_u32_e64 v26, null, s9, v26, vcc_lo
	global_load_b32 v30, v[25:26], off
	s_wait_loadcnt 0x2
	v_fmac_f32_e32 v10, v15, v1
	v_lshlrev_b64_e32 v[20:21], 2, v[5:6]
	v_dual_fmac_f32 v12, v29, v1 :: v_dual_add_nc_u32 v5, -5, v2
	v_fmac_f32_e32 v13, v3, v1
	v_fmac_f32_e32 v11, v27, v1
	s_delay_alu instid0(VALU_DEP_4)
	v_add_co_u32 v20, vcc_lo, s8, v20
	s_wait_alu 0xfffd
	v_add_co_ci_u32_e64 v21, null, s9, v21, vcc_lo
	v_lshlrev_b64_e32 v[7:8], 2, v[5:6]
	s_wait_loadcnt 0x1
	v_dual_fmac_f32 v10, v16, v28 :: v_dual_add_nc_u32 v5, 2, v19
	global_load_b32 v31, v[20:21], off
	v_add_co_u32 v7, vcc_lo, s8, v7
	v_lshlrev_b64_e32 v[25:26], 2, v[5:6]
	s_wait_alu 0xfffd
	v_add_co_ci_u32_e64 v8, null, s9, v8, vcc_lo
	v_subrev_nc_u32_e32 v5, 18, v2
	global_load_b32 v32, v[7:8], off
	v_add_co_u32 v7, vcc_lo, s10, v25
	s_wait_alu 0xfffd
	v_add_co_ci_u32_e64 v8, null, s11, v26, vcc_lo
	v_lshlrev_b64_e32 v[20:21], 2, v[5:6]
	v_add_nc_u32_e32 v5, -11, v2
	global_load_b32 v33, v[7:8], off
	v_add_co_u32 v20, vcc_lo, s8, v20
	s_wait_alu 0xfffd
	v_add_co_ci_u32_e64 v21, null, s9, v21, vcc_lo
	global_load_b32 v34, v[20:21], off
	s_wait_loadcnt 0x3
	v_fmac_f32_e32 v12, v31, v28
	v_lshlrev_b64_e32 v[25:26], 2, v[5:6]
	v_add_nc_u32_e32 v5, -4, v2
	s_delay_alu instid0(VALU_DEP_2) | instskip(SKIP_1) | instid1(VALU_DEP_3)
	v_add_co_u32 v20, vcc_lo, s8, v25
	s_wait_alu 0xfffd
	v_add_co_ci_u32_e64 v21, null, s9, v26, vcc_lo
	global_load_b32 v35, v[20:21], off
	s_wait_loadcnt 0x2
	v_fmac_f32_e32 v10, v17, v33
	v_lshlrev_b64_e32 v[7:8], 2, v[5:6]
	s_delay_alu instid0(VALU_DEP_1) | instskip(SKIP_1) | instid1(VALU_DEP_2)
	v_add_co_u32 v7, vcc_lo, s8, v7
	s_wait_alu 0xfffd
	v_add_co_ci_u32_e64 v8, null, s9, v8, vcc_lo
	global_load_b32 v36, v[7:8], off
	s_wait_loadcnt 0x1
	v_dual_fmac_f32 v12, v35, v33 :: v_dual_add_nc_u32 v5, 3, v19
	s_delay_alu instid0(VALU_DEP_1) | instskip(SKIP_1) | instid1(VALU_DEP_2)
	v_lshlrev_b64_e32 v[25:26], 2, v[5:6]
	v_subrev_nc_u32_e32 v5, 17, v2
	v_add_co_u32 v7, vcc_lo, s10, v25
	s_wait_alu 0xfffd
	s_delay_alu instid0(VALU_DEP_3) | instskip(NEXT) | instid1(VALU_DEP_3)
	v_add_co_ci_u32_e64 v8, null, s11, v26, vcc_lo
	v_lshlrev_b64_e32 v[20:21], 2, v[5:6]
	global_load_b32 v37, v[7:8], off
	v_add_nc_u32_e32 v5, -10, v2
	v_add_co_u32 v20, vcc_lo, s8, v20
	s_wait_alu 0xfffd
	v_add_co_ci_u32_e64 v21, null, s9, v21, vcc_lo
	global_load_b32 v38, v[20:21], off
	s_wait_loadcnt 0x1
	v_fmac_f32_e32 v10, v18, v37
	v_lshlrev_b64_e32 v[25:26], 2, v[5:6]
	s_delay_alu instid0(VALU_DEP_1) | instskip(SKIP_1) | instid1(VALU_DEP_2)
	v_add_co_u32 v20, vcc_lo, s8, v25
	s_wait_alu 0xfffd
	v_add_co_ci_u32_e64 v21, null, s9, v26, vcc_lo
	global_load_b32 v39, v[20:21], off
	v_add_nc_u32_e32 v5, -3, v2
	s_delay_alu instid0(VALU_DEP_1) | instskip(SKIP_1) | instid1(VALU_DEP_2)
	v_lshlrev_b64_e32 v[7:8], 2, v[5:6]
	v_subrev_nc_u32_e32 v5, 23, v2
	v_add_co_u32 v7, vcc_lo, s8, v7
	s_delay_alu instid0(VALU_DEP_2) | instskip(SKIP_1) | instid1(VALU_DEP_4)
	v_lshlrev_b64_e32 v[25:26], 2, v[5:6]
	s_wait_alu 0xfffd
	v_add_co_ci_u32_e64 v8, null, s9, v8, vcc_lo
	global_load_b32 v40, v[7:8], off
	v_add_co_u32 v7, vcc_lo, s8, v25
	s_wait_alu 0xfffd
	v_add_co_ci_u32_e64 v8, null, s9, v26, vcc_lo
	global_load_b32 v41, v[7:8], off
	v_add_nc_u32_e32 v5, 4, v19
	s_delay_alu instid0(VALU_DEP_1) | instskip(NEXT) | instid1(VALU_DEP_1)
	v_lshlrev_b64_e32 v[20:21], 2, v[5:6]
	v_add_co_u32 v20, vcc_lo, s10, v20
	s_wait_alu 0xfffd
	s_delay_alu instid0(VALU_DEP_2)
	v_add_co_ci_u32_e64 v21, null, s11, v21, vcc_lo
	global_load_b32 v42, v[20:21], off
	s_wait_loadcnt 0x3
	v_fmac_f32_e32 v12, v39, v37
	s_wait_loadcnt 0x0
	v_fmac_f32_e32 v10, v41, v42
	v_add_nc_u32_e32 v5, -16, v2
	s_delay_alu instid0(VALU_DEP_1) | instskip(SKIP_1) | instid1(VALU_DEP_1)
	v_lshlrev_b64_e32 v[25:26], 2, v[5:6]
	v_add_nc_u32_e32 v5, -9, v2
	v_lshlrev_b64_e32 v[7:8], 2, v[5:6]
	s_delay_alu instid0(VALU_DEP_3) | instskip(SKIP_1) | instid1(VALU_DEP_4)
	v_add_co_u32 v20, vcc_lo, s8, v25
	s_wait_alu 0xfffd
	v_add_co_ci_u32_e64 v21, null, s9, v26, vcc_lo
	v_add_nc_u32_e32 v5, -2, v2
	s_delay_alu instid0(VALU_DEP_4)
	v_add_co_u32 v7, vcc_lo, s8, v7
	s_wait_alu 0xfffd
	v_add_co_ci_u32_e64 v8, null, s9, v8, vcc_lo
	global_load_b32 v43, v[20:21], off
	v_lshlrev_b64_e32 v[25:26], 2, v[5:6]
	v_subrev_nc_u32_e32 v5, 22, v2
	global_load_b32 v44, v[7:8], off
	v_lshlrev_b64_e32 v[20:21], 2, v[5:6]
	v_add_nc_u32_e32 v5, 5, v19
	v_add_co_u32 v7, vcc_lo, s8, v25
	s_wait_alu 0xfffd
	v_add_co_ci_u32_e64 v8, null, s9, v26, vcc_lo
	s_delay_alu instid0(VALU_DEP_4)
	v_add_co_u32 v20, vcc_lo, s8, v20
	s_wait_alu 0xfffd
	v_add_co_ci_u32_e64 v21, null, s9, v21, vcc_lo
	s_clause 0x1
	global_load_b32 v45, v[7:8], off
	global_load_b32 v46, v[20:21], off
	s_wait_loadcnt 0x2
	v_fmac_f32_e32 v12, v44, v42
	v_lshlrev_b64_e32 v[25:26], 2, v[5:6]
	v_add_nc_u32_e32 v5, -15, v2
	s_delay_alu instid0(VALU_DEP_1) | instskip(SKIP_1) | instid1(VALU_DEP_4)
	v_lshlrev_b64_e32 v[7:8], 2, v[5:6]
	v_add_nc_u32_e32 v5, -8, v2
	v_add_co_u32 v20, vcc_lo, s10, v25
	s_wait_alu 0xfffd
	v_add_co_ci_u32_e64 v21, null, s11, v26, vcc_lo
	s_delay_alu instid0(VALU_DEP_3)
	v_lshlrev_b64_e32 v[25:26], 2, v[5:6]
	v_add_nc_u32_e32 v5, -1, v2
	v_add_co_u32 v7, vcc_lo, s8, v7
	s_wait_alu 0xfffd
	v_add_co_ci_u32_e64 v8, null, s9, v8, vcc_lo
	global_load_b32 v47, v[20:21], off
	v_lshlrev_b64_e32 v[20:21], 2, v[5:6]
	v_subrev_nc_u32_e32 v5, 21, v2
	global_load_b32 v48, v[7:8], off
	v_add_co_u32 v7, vcc_lo, s8, v25
	s_wait_alu 0xfffd
	v_add_co_ci_u32_e64 v8, null, s9, v26, vcc_lo
	v_lshlrev_b64_e32 v[25:26], 2, v[5:6]
	v_add_nc_u32_e32 v5, 6, v19
	v_add_co_u32 v19, vcc_lo, s8, v20
	s_wait_alu 0xfffd
	v_add_co_ci_u32_e64 v20, null, s9, v21, vcc_lo
	s_clause 0x1
	global_load_b32 v49, v[7:8], off
	global_load_b32 v50, v[19:20], off
	v_lshlrev_b64_e32 v[7:8], 2, v[5:6]
	v_add_nc_u32_e32 v5, -14, v2
	v_add_co_u32 v19, vcc_lo, s8, v25
	s_wait_alu 0xfffd
	v_add_co_ci_u32_e64 v20, null, s9, v26, vcc_lo
	s_delay_alu instid0(VALU_DEP_3) | instskip(SKIP_4) | instid1(VALU_DEP_3)
	v_lshlrev_b64_e32 v[21:22], 2, v[5:6]
	v_add_nc_u32_e32 v5, -7, v2
	v_add_co_u32 v7, vcc_lo, s10, v7
	s_wait_alu 0xfffd
	v_add_co_ci_u32_e64 v8, null, s11, v8, vcc_lo
	v_lshlrev_b64_e32 v[25:26], 2, v[5:6]
	v_add_co_u32 v21, vcc_lo, s8, v21
	s_wait_alu 0xfffd
	v_add_co_ci_u32_e64 v22, null, s9, v22, vcc_lo
	v_add_nc_u32_e32 v2, 0xe0, v2
	s_delay_alu instid0(VALU_DEP_4)
	v_add_co_u32 v25, vcc_lo, s8, v25
	s_wait_alu 0xfffd
	v_add_co_ci_u32_e64 v26, null, s9, v26, vcc_lo
	global_load_b32 v5, v[19:20], off
	global_load_b32 v7, v[7:8], off
	s_clause 0x2
	global_load_b32 v8, v[21:22], off
	global_load_b32 v19, v[25:26], off
	;; [unrolled: 1-line block ×3, first 2 shown]
	v_fmac_f32_e32 v11, v32, v28
	v_cmp_ge_i32_e32 vcc_lo, v0, v14
	s_delay_alu instid0(VALU_DEP_2) | instskip(SKIP_2) | instid1(VALU_DEP_1)
	v_fmac_f32_e32 v11, v36, v33
	s_wait_alu 0xfffe
	s_or_b32 s2, vcc_lo, s2
	v_fmac_f32_e32 v11, v40, v37
	s_wait_loadcnt 0x8
	s_delay_alu instid0(VALU_DEP_1) | instskip(SKIP_3) | instid1(VALU_DEP_2)
	v_dual_fmac_f32 v11, v45, v42 :: v_dual_fmac_f32 v10, v46, v47
	s_wait_loadcnt 0x6
	v_dual_fmac_f32 v13, v30, v28 :: v_dual_fmac_f32 v12, v49, v47
	s_wait_loadcnt 0x5
	v_fmac_f32_e32 v11, v50, v47
	s_wait_loadcnt 0x3
	s_delay_alu instid0(VALU_DEP_2)
	v_dual_fmac_f32 v10, v5, v7 :: v_dual_fmac_f32 v13, v34, v33
	s_wait_loadcnt 0x1
	v_fmac_f32_e32 v12, v19, v7
	s_wait_loadcnt 0x0
	v_fmac_f32_e32 v11, v20, v7
	v_fmac_f32_e32 v13, v38, v37
	s_delay_alu instid0(VALU_DEP_1) | instskip(NEXT) | instid1(VALU_DEP_1)
	v_fmac_f32_e32 v13, v43, v42
	v_fmac_f32_e32 v13, v48, v47
	s_delay_alu instid0(VALU_DEP_1)
	v_fmac_f32_e32 v13, v8, v7
	s_wait_alu 0xfffe
	s_and_not1_b32 exec_lo, exec_lo, s2
	s_cbranch_execnz .LBB26_15
; %bb.16:
	s_or_b32 exec_lo, exec_lo, s2
.LBB26_17:
	s_wait_alu 0xfffe
	s_or_b32 exec_lo, exec_lo, s3
.LBB26_18:
	v_mbcnt_lo_u32_b32 v0, -1, 0
	s_mov_b32 s2, -1
	s_delay_alu instid0(VALU_DEP_1) | instskip(SKIP_1) | instid1(VALU_DEP_2)
	v_xor_b32_e32 v1, 4, v0
	v_xor_b32_e32 v6, 2, v0
	v_cmp_gt_i32_e32 vcc_lo, 32, v1
	s_wait_alu 0xfffd
	v_cndmask_b32_e32 v1, v0, v1, vcc_lo
	s_delay_alu instid0(VALU_DEP_3) | instskip(SKIP_2) | instid1(VALU_DEP_1)
	v_cmp_gt_i32_e32 vcc_lo, 32, v6
	s_wait_alu 0xfffd
	v_cndmask_b32_e32 v6, v0, v6, vcc_lo
	v_lshlrev_b32_e32 v6, 2, v6
	v_lshlrev_b32_e32 v1, 2, v1
	ds_bpermute_b32 v2, v1, v10
	s_wait_dscnt 0x0
	v_add_f32_e32 v2, v10, v2
	ds_bpermute_b32 v3, v1, v13
	ds_bpermute_b32 v5, v1, v12
	ds_bpermute_b32 v1, v1, v11
	s_wait_dscnt 0x2
	v_add_f32_e32 v3, v13, v3
	s_wait_dscnt 0x1
	v_add_f32_e32 v5, v12, v5
	;; [unrolled: 2-line block ×3, first 2 shown]
	v_xor_b32_e32 v11, 1, v0
	ds_bpermute_b32 v1, v6, v2
	ds_bpermute_b32 v8, v6, v3
	;; [unrolled: 1-line block ×3, first 2 shown]
	v_cmp_gt_i32_e32 vcc_lo, 32, v11
	s_wait_alu 0xfffd
	v_cndmask_b32_e32 v0, v0, v11, vcc_lo
	ds_bpermute_b32 v6, v6, v7
	v_cmp_eq_u32_e32 vcc_lo, 7, v9
	s_wait_dscnt 0x3
	v_dual_add_f32 v0, v2, v1 :: v_dual_lshlrev_b32 v11, 2, v0
	s_wait_dscnt 0x1
	v_dual_add_f32 v1, v3, v8 :: v_dual_add_f32 v2, v5, v10
	ds_bpermute_b32 v5, v11, v0
	s_wait_dscnt 0x1
	v_add_f32_e32 v3, v7, v6
	ds_bpermute_b32 v6, v11, v1
	ds_bpermute_b32 v7, v11, v2
	;; [unrolled: 1-line block ×3, first 2 shown]
	s_and_b32 exec_lo, exec_lo, vcc_lo
	s_cbranch_execz .LBB26_23
; %bb.19:
	s_load_b64 s[0:1], s[0:1], 0x38
	s_wait_dscnt 0x2
	v_dual_add_f32 v0, v0, v5 :: v_dual_add_f32 v1, v1, v6
	s_wait_dscnt 0x0
	v_dual_add_f32 v2, v2, v7 :: v_dual_add_f32 v3, v3, v8
	v_lshlrev_b32_e32 v4, 2, v4
	s_delay_alu instid0(VALU_DEP_3) | instskip(NEXT) | instid1(VALU_DEP_3)
	v_dual_mul_f32 v0, s14, v0 :: v_dual_mul_f32 v1, s14, v1
	v_dual_mul_f32 v2, s14, v2 :: v_dual_mul_f32 v3, s14, v3
	s_cmp_eq_f32 s12, 0
	s_cbranch_scc0 .LBB26_21
; %bb.20:
	v_ashrrev_i32_e32 v5, 31, v4
	s_mov_b32 s2, 0
	s_delay_alu instid0(VALU_DEP_1) | instskip(SKIP_1) | instid1(VALU_DEP_1)
	v_lshlrev_b64_e32 v[5:6], 2, v[4:5]
	s_wait_kmcnt 0x0
	v_add_co_u32 v5, vcc_lo, s0, v5
	s_wait_alu 0xfffd
	s_delay_alu instid0(VALU_DEP_2)
	v_add_co_ci_u32_e64 v6, null, s1, v6, vcc_lo
	global_store_b128 v[5:6], v[0:3], off
.LBB26_21:
	s_wait_alu 0xfffe
	s_and_not1_b32 vcc_lo, exec_lo, s2
	s_wait_alu 0xfffe
	s_cbranch_vccnz .LBB26_23
; %bb.22:
	v_ashrrev_i32_e32 v5, 31, v4
	s_delay_alu instid0(VALU_DEP_1) | instskip(SKIP_1) | instid1(VALU_DEP_1)
	v_lshlrev_b64_e32 v[4:5], 2, v[4:5]
	s_wait_kmcnt 0x0
	v_add_co_u32 v8, vcc_lo, s0, v4
	s_wait_alu 0xfffd
	s_delay_alu instid0(VALU_DEP_2)
	v_add_co_ci_u32_e64 v9, null, s1, v5, vcc_lo
	global_load_b128 v[4:7], v[8:9], off
	s_wait_loadcnt 0x0
	v_dual_fmac_f32 v0, s12, v4 :: v_dual_fmac_f32 v1, s12, v5
	v_dual_fmac_f32 v2, s12, v6 :: v_dual_fmac_f32 v3, s12, v7
	global_store_b128 v[8:9], v[0:3], off
.LBB26_23:
	s_endpgm
	.section	.rodata,"a",@progbits
	.p2align	6, 0x0
	.amdhsa_kernel _ZN9rocsparseL19gebsrmvn_4xn_kernelILj128ELj7ELj8EfEEvi20rocsparse_direction_NS_24const_host_device_scalarIT2_EEPKiS6_PKS3_S8_S4_PS3_21rocsparse_index_base_b
		.amdhsa_group_segment_fixed_size 0
		.amdhsa_private_segment_fixed_size 0
		.amdhsa_kernarg_size 72
		.amdhsa_user_sgpr_count 2
		.amdhsa_user_sgpr_dispatch_ptr 0
		.amdhsa_user_sgpr_queue_ptr 0
		.amdhsa_user_sgpr_kernarg_segment_ptr 1
		.amdhsa_user_sgpr_dispatch_id 0
		.amdhsa_user_sgpr_private_segment_size 0
		.amdhsa_wavefront_size32 1
		.amdhsa_uses_dynamic_stack 0
		.amdhsa_enable_private_segment 0
		.amdhsa_system_sgpr_workgroup_id_x 1
		.amdhsa_system_sgpr_workgroup_id_y 0
		.amdhsa_system_sgpr_workgroup_id_z 0
		.amdhsa_system_sgpr_workgroup_info 0
		.amdhsa_system_vgpr_workitem_id 0
		.amdhsa_next_free_vgpr 51
		.amdhsa_next_free_sgpr 18
		.amdhsa_reserve_vcc 1
		.amdhsa_float_round_mode_32 0
		.amdhsa_float_round_mode_16_64 0
		.amdhsa_float_denorm_mode_32 3
		.amdhsa_float_denorm_mode_16_64 3
		.amdhsa_fp16_overflow 0
		.amdhsa_workgroup_processor_mode 1
		.amdhsa_memory_ordered 1
		.amdhsa_forward_progress 1
		.amdhsa_inst_pref_size 27
		.amdhsa_round_robin_scheduling 0
		.amdhsa_exception_fp_ieee_invalid_op 0
		.amdhsa_exception_fp_denorm_src 0
		.amdhsa_exception_fp_ieee_div_zero 0
		.amdhsa_exception_fp_ieee_overflow 0
		.amdhsa_exception_fp_ieee_underflow 0
		.amdhsa_exception_fp_ieee_inexact 0
		.amdhsa_exception_int_div_zero 0
	.end_amdhsa_kernel
	.section	.text._ZN9rocsparseL19gebsrmvn_4xn_kernelILj128ELj7ELj8EfEEvi20rocsparse_direction_NS_24const_host_device_scalarIT2_EEPKiS6_PKS3_S8_S4_PS3_21rocsparse_index_base_b,"axG",@progbits,_ZN9rocsparseL19gebsrmvn_4xn_kernelILj128ELj7ELj8EfEEvi20rocsparse_direction_NS_24const_host_device_scalarIT2_EEPKiS6_PKS3_S8_S4_PS3_21rocsparse_index_base_b,comdat
.Lfunc_end26:
	.size	_ZN9rocsparseL19gebsrmvn_4xn_kernelILj128ELj7ELj8EfEEvi20rocsparse_direction_NS_24const_host_device_scalarIT2_EEPKiS6_PKS3_S8_S4_PS3_21rocsparse_index_base_b, .Lfunc_end26-_ZN9rocsparseL19gebsrmvn_4xn_kernelILj128ELj7ELj8EfEEvi20rocsparse_direction_NS_24const_host_device_scalarIT2_EEPKiS6_PKS3_S8_S4_PS3_21rocsparse_index_base_b
                                        ; -- End function
	.set _ZN9rocsparseL19gebsrmvn_4xn_kernelILj128ELj7ELj8EfEEvi20rocsparse_direction_NS_24const_host_device_scalarIT2_EEPKiS6_PKS3_S8_S4_PS3_21rocsparse_index_base_b.num_vgpr, 51
	.set _ZN9rocsparseL19gebsrmvn_4xn_kernelILj128ELj7ELj8EfEEvi20rocsparse_direction_NS_24const_host_device_scalarIT2_EEPKiS6_PKS3_S8_S4_PS3_21rocsparse_index_base_b.num_agpr, 0
	.set _ZN9rocsparseL19gebsrmvn_4xn_kernelILj128ELj7ELj8EfEEvi20rocsparse_direction_NS_24const_host_device_scalarIT2_EEPKiS6_PKS3_S8_S4_PS3_21rocsparse_index_base_b.numbered_sgpr, 18
	.set _ZN9rocsparseL19gebsrmvn_4xn_kernelILj128ELj7ELj8EfEEvi20rocsparse_direction_NS_24const_host_device_scalarIT2_EEPKiS6_PKS3_S8_S4_PS3_21rocsparse_index_base_b.num_named_barrier, 0
	.set _ZN9rocsparseL19gebsrmvn_4xn_kernelILj128ELj7ELj8EfEEvi20rocsparse_direction_NS_24const_host_device_scalarIT2_EEPKiS6_PKS3_S8_S4_PS3_21rocsparse_index_base_b.private_seg_size, 0
	.set _ZN9rocsparseL19gebsrmvn_4xn_kernelILj128ELj7ELj8EfEEvi20rocsparse_direction_NS_24const_host_device_scalarIT2_EEPKiS6_PKS3_S8_S4_PS3_21rocsparse_index_base_b.uses_vcc, 1
	.set _ZN9rocsparseL19gebsrmvn_4xn_kernelILj128ELj7ELj8EfEEvi20rocsparse_direction_NS_24const_host_device_scalarIT2_EEPKiS6_PKS3_S8_S4_PS3_21rocsparse_index_base_b.uses_flat_scratch, 0
	.set _ZN9rocsparseL19gebsrmvn_4xn_kernelILj128ELj7ELj8EfEEvi20rocsparse_direction_NS_24const_host_device_scalarIT2_EEPKiS6_PKS3_S8_S4_PS3_21rocsparse_index_base_b.has_dyn_sized_stack, 0
	.set _ZN9rocsparseL19gebsrmvn_4xn_kernelILj128ELj7ELj8EfEEvi20rocsparse_direction_NS_24const_host_device_scalarIT2_EEPKiS6_PKS3_S8_S4_PS3_21rocsparse_index_base_b.has_recursion, 0
	.set _ZN9rocsparseL19gebsrmvn_4xn_kernelILj128ELj7ELj8EfEEvi20rocsparse_direction_NS_24const_host_device_scalarIT2_EEPKiS6_PKS3_S8_S4_PS3_21rocsparse_index_base_b.has_indirect_call, 0
	.section	.AMDGPU.csdata,"",@progbits
; Kernel info:
; codeLenInByte = 3448
; TotalNumSgprs: 20
; NumVgprs: 51
; ScratchSize: 0
; MemoryBound: 0
; FloatMode: 240
; IeeeMode: 1
; LDSByteSize: 0 bytes/workgroup (compile time only)
; SGPRBlocks: 0
; VGPRBlocks: 6
; NumSGPRsForWavesPerEU: 20
; NumVGPRsForWavesPerEU: 51
; Occupancy: 16
; WaveLimiterHint : 1
; COMPUTE_PGM_RSRC2:SCRATCH_EN: 0
; COMPUTE_PGM_RSRC2:USER_SGPR: 2
; COMPUTE_PGM_RSRC2:TRAP_HANDLER: 0
; COMPUTE_PGM_RSRC2:TGID_X_EN: 1
; COMPUTE_PGM_RSRC2:TGID_Y_EN: 0
; COMPUTE_PGM_RSRC2:TGID_Z_EN: 0
; COMPUTE_PGM_RSRC2:TIDIG_COMP_CNT: 0
	.section	.text._ZN9rocsparseL19gebsrmvn_4xn_kernelILj128ELj7ELj16EfEEvi20rocsparse_direction_NS_24const_host_device_scalarIT2_EEPKiS6_PKS3_S8_S4_PS3_21rocsparse_index_base_b,"axG",@progbits,_ZN9rocsparseL19gebsrmvn_4xn_kernelILj128ELj7ELj16EfEEvi20rocsparse_direction_NS_24const_host_device_scalarIT2_EEPKiS6_PKS3_S8_S4_PS3_21rocsparse_index_base_b,comdat
	.globl	_ZN9rocsparseL19gebsrmvn_4xn_kernelILj128ELj7ELj16EfEEvi20rocsparse_direction_NS_24const_host_device_scalarIT2_EEPKiS6_PKS3_S8_S4_PS3_21rocsparse_index_base_b ; -- Begin function _ZN9rocsparseL19gebsrmvn_4xn_kernelILj128ELj7ELj16EfEEvi20rocsparse_direction_NS_24const_host_device_scalarIT2_EEPKiS6_PKS3_S8_S4_PS3_21rocsparse_index_base_b
	.p2align	8
	.type	_ZN9rocsparseL19gebsrmvn_4xn_kernelILj128ELj7ELj16EfEEvi20rocsparse_direction_NS_24const_host_device_scalarIT2_EEPKiS6_PKS3_S8_S4_PS3_21rocsparse_index_base_b,@function
_ZN9rocsparseL19gebsrmvn_4xn_kernelILj128ELj7ELj16EfEEvi20rocsparse_direction_NS_24const_host_device_scalarIT2_EEPKiS6_PKS3_S8_S4_PS3_21rocsparse_index_base_b: ; @_ZN9rocsparseL19gebsrmvn_4xn_kernelILj128ELj7ELj16EfEEvi20rocsparse_direction_NS_24const_host_device_scalarIT2_EEPKiS6_PKS3_S8_S4_PS3_21rocsparse_index_base_b
; %bb.0:
	s_clause 0x2
	s_load_b64 s[16:17], s[0:1], 0x40
	s_load_b64 s[14:15], s[0:1], 0x8
	;; [unrolled: 1-line block ×3, first 2 shown]
	s_wait_kmcnt 0x0
	s_bitcmp1_b32 s17, 0
	s_cselect_b32 s2, -1, 0
	s_delay_alu instid0(SALU_CYCLE_1)
	s_and_b32 vcc_lo, exec_lo, s2
	s_xor_b32 s2, s2, -1
	s_cbranch_vccnz .LBB27_2
; %bb.1:
	s_load_b32 s14, s[14:15], 0x0
.LBB27_2:
	s_and_not1_b32 vcc_lo, exec_lo, s2
	s_cbranch_vccnz .LBB27_4
; %bb.3:
	s_load_b32 s12, s[12:13], 0x0
.LBB27_4:
	s_wait_kmcnt 0x0
	s_cmp_eq_f32 s14, 0
	s_cselect_b32 s2, -1, 0
	s_cmp_eq_f32 s12, 1.0
	s_cselect_b32 s3, -1, 0
	s_delay_alu instid0(SALU_CYCLE_1) | instskip(NEXT) | instid1(SALU_CYCLE_1)
	s_and_b32 s2, s2, s3
	s_and_b32 vcc_lo, exec_lo, s2
	s_cbranch_vccnz .LBB27_23
; %bb.5:
	s_load_b64 s[2:3], s[0:1], 0x0
	v_lshrrev_b32_e32 v1, 4, v0
	s_delay_alu instid0(VALU_DEP_1) | instskip(SKIP_1) | instid1(VALU_DEP_1)
	v_lshl_or_b32 v4, ttmp9, 3, v1
	s_wait_kmcnt 0x0
	v_cmp_gt_i32_e32 vcc_lo, s2, v4
	s_and_saveexec_b32 s2, vcc_lo
	s_cbranch_execz .LBB27_23
; %bb.6:
	s_load_b256 s[4:11], s[0:1], 0x10
	v_ashrrev_i32_e32 v5, 31, v4
	v_and_b32_e32 v9, 15, v0
	s_cmp_lg_u32 s3, 0
	s_delay_alu instid0(VALU_DEP_2) | instskip(SKIP_1) | instid1(VALU_DEP_1)
	v_lshlrev_b64_e32 v[1:2], 2, v[4:5]
	s_wait_kmcnt 0x0
	v_add_co_u32 v1, vcc_lo, s4, v1
	s_delay_alu instid0(VALU_DEP_1) | instskip(SKIP_4) | instid1(VALU_DEP_2)
	v_add_co_ci_u32_e64 v2, null, s5, v2, vcc_lo
	global_load_b64 v[1:2], v[1:2], off
	s_wait_loadcnt 0x0
	v_subrev_nc_u32_e32 v0, s16, v1
	v_subrev_nc_u32_e32 v14, s16, v2
	v_add_nc_u32_e32 v0, v0, v9
	s_delay_alu instid0(VALU_DEP_1)
	v_cmp_lt_i32_e64 s2, v0, v14
	s_cbranch_scc0 .LBB27_12
; %bb.7:
	v_dual_mov_b32 v10, 0 :: v_dual_mov_b32 v11, 0
	v_dual_mov_b32 v12, 0 :: v_dual_mov_b32 v13, 0
	s_and_saveexec_b32 s3, s2
	s_cbranch_execz .LBB27_11
; %bb.8:
	v_mad_co_u64_u32 v[1:2], null, v0, 28, 24
	v_dual_mov_b32 v6, 0 :: v_dual_mov_b32 v7, v0
	v_dual_mov_b32 v10, 0 :: v_dual_mov_b32 v11, 0
	;; [unrolled: 1-line block ×3, first 2 shown]
	s_mov_b32 s4, 0
.LBB27_9:                               ; =>This Inner Loop Header: Depth=1
	s_delay_alu instid0(VALU_DEP_3) | instskip(SKIP_1) | instid1(VALU_DEP_2)
	v_ashrrev_i32_e32 v8, 31, v7
	v_subrev_nc_u32_e32 v5, 24, v1
	v_lshlrev_b64_e32 v[2:3], 2, v[7:8]
	s_delay_alu instid0(VALU_DEP_2) | instskip(SKIP_2) | instid1(VALU_DEP_4)
	v_lshlrev_b64_e32 v[15:16], 2, v[5:6]
	v_subrev_nc_u32_e32 v5, 20, v1
	v_add_nc_u32_e32 v7, 16, v7
	v_add_co_u32 v2, vcc_lo, s6, v2
	s_wait_alu 0xfffd
	v_add_co_ci_u32_e64 v3, null, s7, v3, vcc_lo
	v_lshlrev_b64_e32 v[19:20], 2, v[5:6]
	v_add_co_u32 v15, vcc_lo, s8, v15
	global_load_b32 v8, v[2:3], off
	v_dual_mov_b32 v3, v6 :: v_dual_mov_b32 v2, v6
	s_wait_alu 0xfffd
	v_add_co_ci_u32_e64 v16, null, s9, v16, vcc_lo
	s_delay_alu instid0(VALU_DEP_2) | instskip(NEXT) | instid1(VALU_DEP_1)
	v_lshlrev_b64_e32 v[17:18], 2, v[1:2]
	v_add_co_u32 v39, vcc_lo, s8, v17
	s_wait_alu 0xfffd
	s_delay_alu instid0(VALU_DEP_2)
	v_add_co_ci_u32_e64 v40, null, s9, v18, vcc_lo
	v_add_co_u32 v19, vcc_lo, s8, v19
	s_wait_alu 0xfffd
	v_add_co_ci_u32_e64 v20, null, s9, v20, vcc_lo
	s_clause 0x1
	global_load_b128 v[15:18], v[15:16], off
	global_load_b128 v[19:22], v[19:20], off
	s_wait_loadcnt 0x2
	v_subrev_nc_u32_e32 v2, s16, v8
	s_delay_alu instid0(VALU_DEP_1) | instskip(NEXT) | instid1(VALU_DEP_1)
	v_mul_lo_u32 v2, v2, 7
	v_lshlrev_b64_e32 v[23:24], 2, v[2:3]
	s_delay_alu instid0(VALU_DEP_1) | instskip(SKIP_1) | instid1(VALU_DEP_2)
	v_add_co_u32 v23, vcc_lo, s10, v23
	s_wait_alu 0xfffd
	v_add_co_ci_u32_e64 v24, null, s11, v24, vcc_lo
	global_load_b32 v8, v[23:24], off
	v_add_nc_u32_e32 v5, 1, v2
	s_delay_alu instid0(VALU_DEP_1) | instskip(NEXT) | instid1(VALU_DEP_1)
	v_lshlrev_b64_e32 v[25:26], 2, v[5:6]
	v_add_co_u32 v25, vcc_lo, s10, v25
	s_wait_alu 0xfffd
	s_delay_alu instid0(VALU_DEP_2) | instskip(SKIP_3) | instid1(VALU_DEP_1)
	v_add_co_ci_u32_e64 v26, null, s11, v26, vcc_lo
	global_load_b32 v45, v[25:26], off
	s_wait_loadcnt 0x1
	v_dual_fmac_f32 v12, v17, v8 :: v_dual_add_nc_u32 v5, -16, v1
	v_lshlrev_b64_e32 v[27:28], 2, v[5:6]
	v_dual_fmac_f32 v10, v15, v8 :: v_dual_add_nc_u32 v5, 2, v2
	s_delay_alu instid0(VALU_DEP_2) | instskip(SKIP_1) | instid1(VALU_DEP_3)
	v_add_co_u32 v25, vcc_lo, s8, v27
	s_wait_alu 0xfffd
	v_add_co_ci_u32_e64 v26, null, s9, v28, vcc_lo
	s_wait_loadcnt 0x0
	v_fmac_f32_e32 v10, v19, v45
	v_lshlrev_b64_e32 v[23:24], 2, v[5:6]
	v_fmac_f32_e32 v12, v21, v45
	s_delay_alu instid0(VALU_DEP_2) | instskip(SKIP_1) | instid1(VALU_DEP_3)
	v_add_co_u32 v29, vcc_lo, s10, v23
	s_wait_alu 0xfffd
	v_add_co_ci_u32_e64 v30, null, s11, v24, vcc_lo
	global_load_b128 v[23:26], v[25:26], off
	global_load_b32 v46, v[29:30], off
	v_add_nc_u32_e32 v5, -12, v1
	s_delay_alu instid0(VALU_DEP_1) | instskip(SKIP_1) | instid1(VALU_DEP_1)
	v_lshlrev_b64_e32 v[27:28], 2, v[5:6]
	v_add_nc_u32_e32 v5, 3, v2
	v_lshlrev_b64_e32 v[31:32], 2, v[5:6]
	s_delay_alu instid0(VALU_DEP_3) | instskip(SKIP_1) | instid1(VALU_DEP_4)
	v_add_co_u32 v27, vcc_lo, s8, v27
	s_wait_alu 0xfffd
	v_add_co_ci_u32_e64 v28, null, s9, v28, vcc_lo
	s_delay_alu instid0(VALU_DEP_3)
	v_add_co_u32 v31, vcc_lo, s10, v31
	s_wait_alu 0xfffd
	v_add_co_ci_u32_e64 v32, null, s11, v32, vcc_lo
	global_load_b32 v47, v[31:32], off
	global_load_b128 v[27:30], v[27:28], off
	s_wait_loadcnt 0x2
	v_dual_fmac_f32 v12, v25, v46 :: v_dual_add_nc_u32 v5, -8, v1
	s_delay_alu instid0(VALU_DEP_1) | instskip(SKIP_2) | instid1(VALU_DEP_3)
	v_lshlrev_b64_e32 v[33:34], 2, v[5:6]
	v_fmac_f32_e32 v10, v23, v46
	v_add_nc_u32_e32 v5, 4, v2
	v_add_co_u32 v31, vcc_lo, s8, v33
	s_wait_alu 0xfffd
	s_delay_alu instid0(VALU_DEP_4)
	v_add_co_ci_u32_e64 v32, null, s9, v34, vcc_lo
	global_load_b128 v[31:34], v[31:32], off
	s_wait_loadcnt 0x1
	v_fmac_f32_e32 v10, v27, v47
	v_lshlrev_b64_e32 v[35:36], 2, v[5:6]
	v_dual_fmac_f32 v12, v29, v47 :: v_dual_add_nc_u32 v5, -4, v1
	v_add_nc_u32_e32 v1, 0x1c0, v1
	s_delay_alu instid0(VALU_DEP_3) | instskip(SKIP_1) | instid1(VALU_DEP_4)
	v_add_co_u32 v35, vcc_lo, s10, v35
	s_wait_alu 0xfffd
	v_add_co_ci_u32_e64 v36, null, s11, v36, vcc_lo
	v_lshlrev_b64_e32 v[37:38], 2, v[5:6]
	global_load_b32 v48, v[35:36], off
	s_wait_loadcnt 0x0
	v_dual_fmac_f32 v10, v31, v48 :: v_dual_add_nc_u32 v5, 5, v2
	s_delay_alu instid0(VALU_DEP_1) | instskip(SKIP_4) | instid1(VALU_DEP_3)
	v_lshlrev_b64_e32 v[41:42], 2, v[5:6]
	v_dual_fmac_f32 v12, v33, v48 :: v_dual_add_nc_u32 v5, 6, v2
	v_add_co_u32 v2, vcc_lo, s8, v37
	s_wait_alu 0xfffd
	v_add_co_ci_u32_e64 v3, null, s9, v38, vcc_lo
	v_lshlrev_b64_e32 v[43:44], 2, v[5:6]
	v_add_co_u32 v41, vcc_lo, s10, v41
	s_wait_alu 0xfffd
	v_add_co_ci_u32_e64 v42, null, s11, v42, vcc_lo
	global_load_b128 v[35:38], v[2:3], off
	global_load_b32 v5, v[41:42], off
	v_add_co_u32 v2, vcc_lo, s10, v43
	s_wait_alu 0xfffd
	v_add_co_ci_u32_e64 v3, null, s11, v44, vcc_lo
	global_load_b128 v[39:42], v[39:40], off
	global_load_b32 v2, v[2:3], off
	v_fmac_f32_e32 v13, v16, v8
	v_fmac_f32_e32 v11, v18, v8
	v_cmp_ge_i32_e32 vcc_lo, v7, v14
	s_wait_alu 0xfffe
	s_or_b32 s4, vcc_lo, s4
	s_wait_loadcnt 0x2
	v_fmac_f32_e32 v10, v35, v5
	v_fmac_f32_e32 v13, v20, v45
	;; [unrolled: 1-line block ×3, first 2 shown]
	s_wait_loadcnt 0x0
	s_delay_alu instid0(VALU_DEP_1) | instskip(NEXT) | instid1(VALU_DEP_1)
	v_dual_fmac_f32 v11, v22, v45 :: v_dual_fmac_f32 v12, v41, v2
	v_fmac_f32_e32 v11, v26, v46
	v_fmac_f32_e32 v10, v39, v2
	;; [unrolled: 1-line block ×3, first 2 shown]
	s_delay_alu instid0(VALU_DEP_3) | instskip(NEXT) | instid1(VALU_DEP_2)
	v_fmac_f32_e32 v11, v30, v47
	v_fmac_f32_e32 v13, v28, v47
	s_delay_alu instid0(VALU_DEP_2) | instskip(NEXT) | instid1(VALU_DEP_2)
	v_fmac_f32_e32 v11, v34, v48
	v_fmac_f32_e32 v13, v32, v48
	s_delay_alu instid0(VALU_DEP_2) | instskip(NEXT) | instid1(VALU_DEP_2)
	;; [unrolled: 3-line block ×3, first 2 shown]
	v_fmac_f32_e32 v11, v42, v2
	v_fmac_f32_e32 v13, v40, v2
	s_wait_alu 0xfffe
	s_and_not1_b32 exec_lo, exec_lo, s4
	s_cbranch_execnz .LBB27_9
; %bb.10:
	s_or_b32 exec_lo, exec_lo, s4
.LBB27_11:
	s_wait_alu 0xfffe
	s_or_b32 exec_lo, exec_lo, s3
	s_cbranch_execz .LBB27_13
	s_branch .LBB27_18
.LBB27_12:
                                        ; implicit-def: $vgpr10
                                        ; implicit-def: $vgpr11
                                        ; implicit-def: $vgpr12
                                        ; implicit-def: $vgpr13
.LBB27_13:
	v_dual_mov_b32 v10, 0 :: v_dual_mov_b32 v11, 0
	v_dual_mov_b32 v12, 0 :: v_dual_mov_b32 v13, 0
	s_and_saveexec_b32 s3, s2
	s_cbranch_execz .LBB27_17
; %bb.14:
	v_mad_co_u64_u32 v[2:3], null, v0, 28, 27
	v_dual_mov_b32 v6, 0 :: v_dual_mov_b32 v11, 0
	v_dual_mov_b32 v10, 0 :: v_dual_mov_b32 v13, 0
	v_mov_b32_e32 v12, 0
	s_mov_b32 s2, 0
.LBB27_15:                              ; =>This Inner Loop Header: Depth=1
	v_ashrrev_i32_e32 v1, 31, v0
	v_subrev_nc_u32_e32 v5, 27, v2
	v_add_nc_u32_e32 v17, -6, v2
	v_dual_mov_b32 v20, v6 :: v_dual_add_nc_u32 v15, -13, v2
	s_delay_alu instid0(VALU_DEP_4) | instskip(SKIP_3) | instid1(VALU_DEP_4)
	v_lshlrev_b64_e32 v[7:8], 2, v[0:1]
	v_dual_mov_b32 v16, v6 :: v_dual_mov_b32 v3, v6
	v_lshlrev_b64_e32 v[21:22], 2, v[5:6]
	v_add_nc_u32_e32 v0, 16, v0
	v_add_co_u32 v7, vcc_lo, s6, v7
	s_wait_alu 0xfffd
	v_add_co_ci_u32_e64 v8, null, s7, v8, vcc_lo
	v_lshlrev_b64_e32 v[15:16], 2, v[15:16]
	v_add_co_u32 v21, vcc_lo, s8, v21
	global_load_b32 v1, v[7:8], off
	v_subrev_nc_u32_e32 v7, 20, v2
	v_mov_b32_e32 v8, v6
	s_wait_alu 0xfffd
	v_add_co_ci_u32_e64 v22, null, s9, v22, vcc_lo
	v_lshlrev_b64_e32 v[23:24], 2, v[2:3]
	s_delay_alu instid0(VALU_DEP_3) | instskip(NEXT) | instid1(VALU_DEP_1)
	v_lshlrev_b64_e32 v[7:8], 2, v[7:8]
	v_add_co_u32 v7, vcc_lo, s8, v7
	s_wait_alu 0xfffd
	s_delay_alu instid0(VALU_DEP_2)
	v_add_co_ci_u32_e64 v8, null, s9, v8, vcc_lo
	v_add_co_u32 v25, vcc_lo, s8, v15
	s_wait_alu 0xfffd
	v_add_co_ci_u32_e64 v26, null, s9, v16, vcc_lo
	s_wait_loadcnt 0x0
	v_subrev_nc_u32_e32 v1, s16, v1
	s_delay_alu instid0(VALU_DEP_1) | instskip(NEXT) | instid1(VALU_DEP_1)
	v_mul_lo_u32 v19, v1, 7
	v_dual_mov_b32 v18, v6 :: v_dual_add_nc_u32 v5, 1, v19
	s_delay_alu instid0(VALU_DEP_1) | instskip(NEXT) | instid1(VALU_DEP_1)
	v_lshlrev_b64_e32 v[17:18], 2, v[17:18]
	v_add_co_u32 v27, vcc_lo, s8, v17
	s_wait_alu 0xfffd
	s_delay_alu instid0(VALU_DEP_2)
	v_add_co_ci_u32_e64 v28, null, s9, v18, vcc_lo
	s_clause 0x3
	global_load_b128 v[15:18], v[21:22], off
	global_load_b32 v3, v[7:8], off
	global_load_b32 v29, v[25:26], off
	;; [unrolled: 1-line block ×3, first 2 shown]
	v_lshlrev_b64_e32 v[7:8], 2, v[19:20]
	v_add_co_u32 v23, vcc_lo, s8, v23
	s_wait_alu 0xfffd
	v_add_co_ci_u32_e64 v24, null, s9, v24, vcc_lo
	v_lshlrev_b64_e32 v[20:21], 2, v[5:6]
	s_delay_alu instid0(VALU_DEP_4)
	v_add_co_u32 v7, vcc_lo, s10, v7
	s_wait_alu 0xfffd
	v_add_co_ci_u32_e64 v8, null, s11, v8, vcc_lo
	v_subrev_nc_u32_e32 v5, 19, v2
	global_load_b32 v1, v[7:8], off
	v_add_co_u32 v7, vcc_lo, s10, v20
	s_wait_alu 0xfffd
	v_add_co_ci_u32_e64 v8, null, s11, v21, vcc_lo
	v_lshlrev_b64_e32 v[25:26], 2, v[5:6]
	v_add_nc_u32_e32 v5, -12, v2
	global_load_b32 v28, v[7:8], off
	v_add_co_u32 v25, vcc_lo, s8, v25
	s_wait_alu 0xfffd
	v_add_co_ci_u32_e64 v26, null, s9, v26, vcc_lo
	global_load_b32 v30, v[25:26], off
	s_wait_loadcnt 0x2
	v_fmac_f32_e32 v10, v15, v1
	v_lshlrev_b64_e32 v[20:21], 2, v[5:6]
	v_dual_fmac_f32 v12, v29, v1 :: v_dual_add_nc_u32 v5, -5, v2
	v_fmac_f32_e32 v13, v3, v1
	v_fmac_f32_e32 v11, v27, v1
	s_delay_alu instid0(VALU_DEP_4)
	v_add_co_u32 v20, vcc_lo, s8, v20
	s_wait_alu 0xfffd
	v_add_co_ci_u32_e64 v21, null, s9, v21, vcc_lo
	v_lshlrev_b64_e32 v[7:8], 2, v[5:6]
	s_wait_loadcnt 0x1
	v_dual_fmac_f32 v10, v16, v28 :: v_dual_add_nc_u32 v5, 2, v19
	global_load_b32 v31, v[20:21], off
	v_add_co_u32 v7, vcc_lo, s8, v7
	v_lshlrev_b64_e32 v[25:26], 2, v[5:6]
	s_wait_alu 0xfffd
	v_add_co_ci_u32_e64 v8, null, s9, v8, vcc_lo
	v_subrev_nc_u32_e32 v5, 18, v2
	global_load_b32 v32, v[7:8], off
	v_add_co_u32 v7, vcc_lo, s10, v25
	s_wait_alu 0xfffd
	v_add_co_ci_u32_e64 v8, null, s11, v26, vcc_lo
	v_lshlrev_b64_e32 v[20:21], 2, v[5:6]
	v_add_nc_u32_e32 v5, -11, v2
	global_load_b32 v33, v[7:8], off
	v_add_co_u32 v20, vcc_lo, s8, v20
	s_wait_alu 0xfffd
	v_add_co_ci_u32_e64 v21, null, s9, v21, vcc_lo
	global_load_b32 v34, v[20:21], off
	s_wait_loadcnt 0x3
	v_fmac_f32_e32 v12, v31, v28
	v_lshlrev_b64_e32 v[25:26], 2, v[5:6]
	v_add_nc_u32_e32 v5, -4, v2
	s_delay_alu instid0(VALU_DEP_2) | instskip(SKIP_1) | instid1(VALU_DEP_3)
	v_add_co_u32 v20, vcc_lo, s8, v25
	s_wait_alu 0xfffd
	v_add_co_ci_u32_e64 v21, null, s9, v26, vcc_lo
	global_load_b32 v35, v[20:21], off
	s_wait_loadcnt 0x2
	v_fmac_f32_e32 v10, v17, v33
	v_lshlrev_b64_e32 v[7:8], 2, v[5:6]
	s_delay_alu instid0(VALU_DEP_1) | instskip(SKIP_1) | instid1(VALU_DEP_2)
	v_add_co_u32 v7, vcc_lo, s8, v7
	s_wait_alu 0xfffd
	v_add_co_ci_u32_e64 v8, null, s9, v8, vcc_lo
	global_load_b32 v36, v[7:8], off
	s_wait_loadcnt 0x1
	v_dual_fmac_f32 v12, v35, v33 :: v_dual_add_nc_u32 v5, 3, v19
	s_delay_alu instid0(VALU_DEP_1) | instskip(SKIP_1) | instid1(VALU_DEP_2)
	v_lshlrev_b64_e32 v[25:26], 2, v[5:6]
	v_subrev_nc_u32_e32 v5, 17, v2
	v_add_co_u32 v7, vcc_lo, s10, v25
	s_wait_alu 0xfffd
	s_delay_alu instid0(VALU_DEP_3) | instskip(NEXT) | instid1(VALU_DEP_3)
	v_add_co_ci_u32_e64 v8, null, s11, v26, vcc_lo
	v_lshlrev_b64_e32 v[20:21], 2, v[5:6]
	global_load_b32 v37, v[7:8], off
	v_add_nc_u32_e32 v5, -10, v2
	v_add_co_u32 v20, vcc_lo, s8, v20
	s_wait_alu 0xfffd
	v_add_co_ci_u32_e64 v21, null, s9, v21, vcc_lo
	global_load_b32 v38, v[20:21], off
	s_wait_loadcnt 0x1
	v_fmac_f32_e32 v10, v18, v37
	v_lshlrev_b64_e32 v[25:26], 2, v[5:6]
	s_delay_alu instid0(VALU_DEP_1) | instskip(SKIP_1) | instid1(VALU_DEP_2)
	v_add_co_u32 v20, vcc_lo, s8, v25
	s_wait_alu 0xfffd
	v_add_co_ci_u32_e64 v21, null, s9, v26, vcc_lo
	global_load_b32 v39, v[20:21], off
	v_add_nc_u32_e32 v5, -3, v2
	s_delay_alu instid0(VALU_DEP_1) | instskip(SKIP_1) | instid1(VALU_DEP_2)
	v_lshlrev_b64_e32 v[7:8], 2, v[5:6]
	v_subrev_nc_u32_e32 v5, 23, v2
	v_add_co_u32 v7, vcc_lo, s8, v7
	s_delay_alu instid0(VALU_DEP_2) | instskip(SKIP_1) | instid1(VALU_DEP_4)
	v_lshlrev_b64_e32 v[25:26], 2, v[5:6]
	s_wait_alu 0xfffd
	v_add_co_ci_u32_e64 v8, null, s9, v8, vcc_lo
	global_load_b32 v40, v[7:8], off
	v_add_co_u32 v7, vcc_lo, s8, v25
	s_wait_alu 0xfffd
	v_add_co_ci_u32_e64 v8, null, s9, v26, vcc_lo
	global_load_b32 v41, v[7:8], off
	v_add_nc_u32_e32 v5, 4, v19
	s_delay_alu instid0(VALU_DEP_1) | instskip(NEXT) | instid1(VALU_DEP_1)
	v_lshlrev_b64_e32 v[20:21], 2, v[5:6]
	v_add_co_u32 v20, vcc_lo, s10, v20
	s_wait_alu 0xfffd
	s_delay_alu instid0(VALU_DEP_2)
	v_add_co_ci_u32_e64 v21, null, s11, v21, vcc_lo
	global_load_b32 v42, v[20:21], off
	s_wait_loadcnt 0x3
	v_fmac_f32_e32 v12, v39, v37
	s_wait_loadcnt 0x0
	v_fmac_f32_e32 v10, v41, v42
	v_add_nc_u32_e32 v5, -16, v2
	s_delay_alu instid0(VALU_DEP_1) | instskip(SKIP_1) | instid1(VALU_DEP_1)
	v_lshlrev_b64_e32 v[25:26], 2, v[5:6]
	v_add_nc_u32_e32 v5, -9, v2
	v_lshlrev_b64_e32 v[7:8], 2, v[5:6]
	s_delay_alu instid0(VALU_DEP_3) | instskip(SKIP_1) | instid1(VALU_DEP_4)
	v_add_co_u32 v20, vcc_lo, s8, v25
	s_wait_alu 0xfffd
	v_add_co_ci_u32_e64 v21, null, s9, v26, vcc_lo
	v_add_nc_u32_e32 v5, -2, v2
	s_delay_alu instid0(VALU_DEP_4)
	v_add_co_u32 v7, vcc_lo, s8, v7
	s_wait_alu 0xfffd
	v_add_co_ci_u32_e64 v8, null, s9, v8, vcc_lo
	global_load_b32 v43, v[20:21], off
	v_lshlrev_b64_e32 v[25:26], 2, v[5:6]
	v_subrev_nc_u32_e32 v5, 22, v2
	global_load_b32 v44, v[7:8], off
	v_lshlrev_b64_e32 v[20:21], 2, v[5:6]
	v_add_nc_u32_e32 v5, 5, v19
	v_add_co_u32 v7, vcc_lo, s8, v25
	s_wait_alu 0xfffd
	v_add_co_ci_u32_e64 v8, null, s9, v26, vcc_lo
	s_delay_alu instid0(VALU_DEP_4)
	v_add_co_u32 v20, vcc_lo, s8, v20
	s_wait_alu 0xfffd
	v_add_co_ci_u32_e64 v21, null, s9, v21, vcc_lo
	s_clause 0x1
	global_load_b32 v45, v[7:8], off
	global_load_b32 v46, v[20:21], off
	s_wait_loadcnt 0x2
	v_fmac_f32_e32 v12, v44, v42
	v_lshlrev_b64_e32 v[25:26], 2, v[5:6]
	v_add_nc_u32_e32 v5, -15, v2
	s_delay_alu instid0(VALU_DEP_1) | instskip(SKIP_1) | instid1(VALU_DEP_4)
	v_lshlrev_b64_e32 v[7:8], 2, v[5:6]
	v_add_nc_u32_e32 v5, -8, v2
	v_add_co_u32 v20, vcc_lo, s10, v25
	s_wait_alu 0xfffd
	v_add_co_ci_u32_e64 v21, null, s11, v26, vcc_lo
	s_delay_alu instid0(VALU_DEP_3)
	v_lshlrev_b64_e32 v[25:26], 2, v[5:6]
	v_add_nc_u32_e32 v5, -1, v2
	v_add_co_u32 v7, vcc_lo, s8, v7
	s_wait_alu 0xfffd
	v_add_co_ci_u32_e64 v8, null, s9, v8, vcc_lo
	global_load_b32 v47, v[20:21], off
	v_lshlrev_b64_e32 v[20:21], 2, v[5:6]
	v_subrev_nc_u32_e32 v5, 21, v2
	global_load_b32 v48, v[7:8], off
	v_add_co_u32 v7, vcc_lo, s8, v25
	s_wait_alu 0xfffd
	v_add_co_ci_u32_e64 v8, null, s9, v26, vcc_lo
	v_lshlrev_b64_e32 v[25:26], 2, v[5:6]
	v_add_nc_u32_e32 v5, 6, v19
	v_add_co_u32 v19, vcc_lo, s8, v20
	s_wait_alu 0xfffd
	v_add_co_ci_u32_e64 v20, null, s9, v21, vcc_lo
	s_clause 0x1
	global_load_b32 v49, v[7:8], off
	global_load_b32 v50, v[19:20], off
	v_lshlrev_b64_e32 v[7:8], 2, v[5:6]
	v_add_nc_u32_e32 v5, -14, v2
	v_add_co_u32 v19, vcc_lo, s8, v25
	s_wait_alu 0xfffd
	v_add_co_ci_u32_e64 v20, null, s9, v26, vcc_lo
	s_delay_alu instid0(VALU_DEP_3) | instskip(SKIP_4) | instid1(VALU_DEP_3)
	v_lshlrev_b64_e32 v[21:22], 2, v[5:6]
	v_add_nc_u32_e32 v5, -7, v2
	v_add_co_u32 v7, vcc_lo, s10, v7
	s_wait_alu 0xfffd
	v_add_co_ci_u32_e64 v8, null, s11, v8, vcc_lo
	v_lshlrev_b64_e32 v[25:26], 2, v[5:6]
	v_add_co_u32 v21, vcc_lo, s8, v21
	s_wait_alu 0xfffd
	v_add_co_ci_u32_e64 v22, null, s9, v22, vcc_lo
	v_add_nc_u32_e32 v2, 0x1c0, v2
	s_delay_alu instid0(VALU_DEP_4)
	v_add_co_u32 v25, vcc_lo, s8, v25
	s_wait_alu 0xfffd
	v_add_co_ci_u32_e64 v26, null, s9, v26, vcc_lo
	global_load_b32 v5, v[19:20], off
	global_load_b32 v7, v[7:8], off
	s_clause 0x2
	global_load_b32 v8, v[21:22], off
	global_load_b32 v19, v[25:26], off
	;; [unrolled: 1-line block ×3, first 2 shown]
	v_fmac_f32_e32 v11, v32, v28
	v_cmp_ge_i32_e32 vcc_lo, v0, v14
	s_delay_alu instid0(VALU_DEP_2) | instskip(SKIP_2) | instid1(VALU_DEP_1)
	v_fmac_f32_e32 v11, v36, v33
	s_wait_alu 0xfffe
	s_or_b32 s2, vcc_lo, s2
	v_fmac_f32_e32 v11, v40, v37
	s_wait_loadcnt 0x8
	s_delay_alu instid0(VALU_DEP_1) | instskip(SKIP_3) | instid1(VALU_DEP_2)
	v_dual_fmac_f32 v11, v45, v42 :: v_dual_fmac_f32 v10, v46, v47
	s_wait_loadcnt 0x6
	v_dual_fmac_f32 v13, v30, v28 :: v_dual_fmac_f32 v12, v49, v47
	s_wait_loadcnt 0x5
	v_fmac_f32_e32 v11, v50, v47
	s_wait_loadcnt 0x3
	s_delay_alu instid0(VALU_DEP_2)
	v_dual_fmac_f32 v10, v5, v7 :: v_dual_fmac_f32 v13, v34, v33
	s_wait_loadcnt 0x1
	v_fmac_f32_e32 v12, v19, v7
	s_wait_loadcnt 0x0
	v_fmac_f32_e32 v11, v20, v7
	v_fmac_f32_e32 v13, v38, v37
	s_delay_alu instid0(VALU_DEP_1) | instskip(NEXT) | instid1(VALU_DEP_1)
	v_fmac_f32_e32 v13, v43, v42
	v_fmac_f32_e32 v13, v48, v47
	s_delay_alu instid0(VALU_DEP_1)
	v_fmac_f32_e32 v13, v8, v7
	s_wait_alu 0xfffe
	s_and_not1_b32 exec_lo, exec_lo, s2
	s_cbranch_execnz .LBB27_15
; %bb.16:
	s_or_b32 exec_lo, exec_lo, s2
.LBB27_17:
	s_wait_alu 0xfffe
	s_or_b32 exec_lo, exec_lo, s3
.LBB27_18:
	v_mbcnt_lo_u32_b32 v0, -1, 0
	s_mov_b32 s2, -1
	s_delay_alu instid0(VALU_DEP_1) | instskip(SKIP_1) | instid1(VALU_DEP_2)
	v_xor_b32_e32 v1, 8, v0
	v_xor_b32_e32 v6, 4, v0
	v_cmp_gt_i32_e32 vcc_lo, 32, v1
	s_wait_alu 0xfffd
	v_cndmask_b32_e32 v1, v0, v1, vcc_lo
	s_delay_alu instid0(VALU_DEP_3) | instskip(SKIP_2) | instid1(VALU_DEP_1)
	v_cmp_gt_i32_e32 vcc_lo, 32, v6
	s_wait_alu 0xfffd
	v_cndmask_b32_e32 v6, v0, v6, vcc_lo
	v_lshlrev_b32_e32 v6, 2, v6
	v_lshlrev_b32_e32 v1, 2, v1
	ds_bpermute_b32 v2, v1, v10
	s_wait_dscnt 0x0
	v_add_f32_e32 v2, v10, v2
	ds_bpermute_b32 v3, v1, v13
	ds_bpermute_b32 v5, v1, v12
	;; [unrolled: 1-line block ×4, first 2 shown]
	s_wait_dscnt 0x3
	v_add_f32_e32 v3, v13, v3
	s_wait_dscnt 0x2
	v_add_f32_e32 v5, v12, v5
	;; [unrolled: 2-line block ×3, first 2 shown]
	v_xor_b32_e32 v11, 2, v0
	s_wait_dscnt 0x0
	v_add_f32_e32 v2, v2, v7
	ds_bpermute_b32 v8, v6, v3
	ds_bpermute_b32 v10, v6, v5
	;; [unrolled: 1-line block ×3, first 2 shown]
	v_cmp_gt_i32_e32 vcc_lo, 32, v11
	s_wait_alu 0xfffd
	v_cndmask_b32_e32 v11, v0, v11, vcc_lo
	s_wait_dscnt 0x2
	v_add_f32_e32 v3, v3, v8
	s_wait_dscnt 0x1
	v_add_f32_e32 v5, v5, v10
	s_wait_dscnt 0x0
	v_dual_add_f32 v6, v1, v6 :: v_dual_lshlrev_b32 v11, 2, v11
	ds_bpermute_b32 v1, v11, v2
	ds_bpermute_b32 v7, v11, v3
	ds_bpermute_b32 v8, v11, v5
	ds_bpermute_b32 v10, v11, v6
	v_xor_b32_e32 v11, 1, v0
	s_delay_alu instid0(VALU_DEP_1) | instskip(SKIP_4) | instid1(VALU_DEP_2)
	v_cmp_gt_i32_e32 vcc_lo, 32, v11
	s_wait_alu 0xfffd
	v_cndmask_b32_e32 v0, v0, v11, vcc_lo
	v_cmp_eq_u32_e32 vcc_lo, 15, v9
	s_wait_dscnt 0x3
	v_dual_add_f32 v0, v2, v1 :: v_dual_lshlrev_b32 v11, 2, v0
	s_wait_dscnt 0x1
	v_dual_add_f32 v1, v3, v7 :: v_dual_add_f32 v2, v5, v8
	s_wait_dscnt 0x0
	v_add_f32_e32 v3, v6, v10
	ds_bpermute_b32 v5, v11, v0
	ds_bpermute_b32 v6, v11, v1
	;; [unrolled: 1-line block ×4, first 2 shown]
	s_and_b32 exec_lo, exec_lo, vcc_lo
	s_cbranch_execz .LBB27_23
; %bb.19:
	s_load_b64 s[0:1], s[0:1], 0x38
	s_wait_dscnt 0x2
	v_dual_add_f32 v0, v0, v5 :: v_dual_add_f32 v1, v1, v6
	s_wait_dscnt 0x0
	v_dual_add_f32 v2, v2, v7 :: v_dual_add_f32 v3, v3, v8
	v_lshlrev_b32_e32 v4, 2, v4
	s_delay_alu instid0(VALU_DEP_3) | instskip(NEXT) | instid1(VALU_DEP_3)
	v_dual_mul_f32 v0, s14, v0 :: v_dual_mul_f32 v1, s14, v1
	v_dual_mul_f32 v2, s14, v2 :: v_dual_mul_f32 v3, s14, v3
	s_cmp_eq_f32 s12, 0
	s_cbranch_scc0 .LBB27_21
; %bb.20:
	v_ashrrev_i32_e32 v5, 31, v4
	s_mov_b32 s2, 0
	s_delay_alu instid0(VALU_DEP_1) | instskip(SKIP_1) | instid1(VALU_DEP_1)
	v_lshlrev_b64_e32 v[5:6], 2, v[4:5]
	s_wait_kmcnt 0x0
	v_add_co_u32 v5, vcc_lo, s0, v5
	s_wait_alu 0xfffd
	s_delay_alu instid0(VALU_DEP_2)
	v_add_co_ci_u32_e64 v6, null, s1, v6, vcc_lo
	global_store_b128 v[5:6], v[0:3], off
.LBB27_21:
	s_wait_alu 0xfffe
	s_and_not1_b32 vcc_lo, exec_lo, s2
	s_wait_alu 0xfffe
	s_cbranch_vccnz .LBB27_23
; %bb.22:
	v_ashrrev_i32_e32 v5, 31, v4
	s_delay_alu instid0(VALU_DEP_1) | instskip(SKIP_1) | instid1(VALU_DEP_1)
	v_lshlrev_b64_e32 v[4:5], 2, v[4:5]
	s_wait_kmcnt 0x0
	v_add_co_u32 v8, vcc_lo, s0, v4
	s_wait_alu 0xfffd
	s_delay_alu instid0(VALU_DEP_2)
	v_add_co_ci_u32_e64 v9, null, s1, v5, vcc_lo
	global_load_b128 v[4:7], v[8:9], off
	s_wait_loadcnt 0x0
	v_dual_fmac_f32 v0, s12, v4 :: v_dual_fmac_f32 v1, s12, v5
	v_dual_fmac_f32 v2, s12, v6 :: v_dual_fmac_f32 v3, s12, v7
	global_store_b128 v[8:9], v[0:3], off
.LBB27_23:
	s_endpgm
	.section	.rodata,"a",@progbits
	.p2align	6, 0x0
	.amdhsa_kernel _ZN9rocsparseL19gebsrmvn_4xn_kernelILj128ELj7ELj16EfEEvi20rocsparse_direction_NS_24const_host_device_scalarIT2_EEPKiS6_PKS3_S8_S4_PS3_21rocsparse_index_base_b
		.amdhsa_group_segment_fixed_size 0
		.amdhsa_private_segment_fixed_size 0
		.amdhsa_kernarg_size 72
		.amdhsa_user_sgpr_count 2
		.amdhsa_user_sgpr_dispatch_ptr 0
		.amdhsa_user_sgpr_queue_ptr 0
		.amdhsa_user_sgpr_kernarg_segment_ptr 1
		.amdhsa_user_sgpr_dispatch_id 0
		.amdhsa_user_sgpr_private_segment_size 0
		.amdhsa_wavefront_size32 1
		.amdhsa_uses_dynamic_stack 0
		.amdhsa_enable_private_segment 0
		.amdhsa_system_sgpr_workgroup_id_x 1
		.amdhsa_system_sgpr_workgroup_id_y 0
		.amdhsa_system_sgpr_workgroup_id_z 0
		.amdhsa_system_sgpr_workgroup_info 0
		.amdhsa_system_vgpr_workitem_id 0
		.amdhsa_next_free_vgpr 51
		.amdhsa_next_free_sgpr 18
		.amdhsa_reserve_vcc 1
		.amdhsa_float_round_mode_32 0
		.amdhsa_float_round_mode_16_64 0
		.amdhsa_float_denorm_mode_32 3
		.amdhsa_float_denorm_mode_16_64 3
		.amdhsa_fp16_overflow 0
		.amdhsa_workgroup_processor_mode 1
		.amdhsa_memory_ordered 1
		.amdhsa_forward_progress 1
		.amdhsa_inst_pref_size 28
		.amdhsa_round_robin_scheduling 0
		.amdhsa_exception_fp_ieee_invalid_op 0
		.amdhsa_exception_fp_denorm_src 0
		.amdhsa_exception_fp_ieee_div_zero 0
		.amdhsa_exception_fp_ieee_overflow 0
		.amdhsa_exception_fp_ieee_underflow 0
		.amdhsa_exception_fp_ieee_inexact 0
		.amdhsa_exception_int_div_zero 0
	.end_amdhsa_kernel
	.section	.text._ZN9rocsparseL19gebsrmvn_4xn_kernelILj128ELj7ELj16EfEEvi20rocsparse_direction_NS_24const_host_device_scalarIT2_EEPKiS6_PKS3_S8_S4_PS3_21rocsparse_index_base_b,"axG",@progbits,_ZN9rocsparseL19gebsrmvn_4xn_kernelILj128ELj7ELj16EfEEvi20rocsparse_direction_NS_24const_host_device_scalarIT2_EEPKiS6_PKS3_S8_S4_PS3_21rocsparse_index_base_b,comdat
.Lfunc_end27:
	.size	_ZN9rocsparseL19gebsrmvn_4xn_kernelILj128ELj7ELj16EfEEvi20rocsparse_direction_NS_24const_host_device_scalarIT2_EEPKiS6_PKS3_S8_S4_PS3_21rocsparse_index_base_b, .Lfunc_end27-_ZN9rocsparseL19gebsrmvn_4xn_kernelILj128ELj7ELj16EfEEvi20rocsparse_direction_NS_24const_host_device_scalarIT2_EEPKiS6_PKS3_S8_S4_PS3_21rocsparse_index_base_b
                                        ; -- End function
	.set _ZN9rocsparseL19gebsrmvn_4xn_kernelILj128ELj7ELj16EfEEvi20rocsparse_direction_NS_24const_host_device_scalarIT2_EEPKiS6_PKS3_S8_S4_PS3_21rocsparse_index_base_b.num_vgpr, 51
	.set _ZN9rocsparseL19gebsrmvn_4xn_kernelILj128ELj7ELj16EfEEvi20rocsparse_direction_NS_24const_host_device_scalarIT2_EEPKiS6_PKS3_S8_S4_PS3_21rocsparse_index_base_b.num_agpr, 0
	.set _ZN9rocsparseL19gebsrmvn_4xn_kernelILj128ELj7ELj16EfEEvi20rocsparse_direction_NS_24const_host_device_scalarIT2_EEPKiS6_PKS3_S8_S4_PS3_21rocsparse_index_base_b.numbered_sgpr, 18
	.set _ZN9rocsparseL19gebsrmvn_4xn_kernelILj128ELj7ELj16EfEEvi20rocsparse_direction_NS_24const_host_device_scalarIT2_EEPKiS6_PKS3_S8_S4_PS3_21rocsparse_index_base_b.num_named_barrier, 0
	.set _ZN9rocsparseL19gebsrmvn_4xn_kernelILj128ELj7ELj16EfEEvi20rocsparse_direction_NS_24const_host_device_scalarIT2_EEPKiS6_PKS3_S8_S4_PS3_21rocsparse_index_base_b.private_seg_size, 0
	.set _ZN9rocsparseL19gebsrmvn_4xn_kernelILj128ELj7ELj16EfEEvi20rocsparse_direction_NS_24const_host_device_scalarIT2_EEPKiS6_PKS3_S8_S4_PS3_21rocsparse_index_base_b.uses_vcc, 1
	.set _ZN9rocsparseL19gebsrmvn_4xn_kernelILj128ELj7ELj16EfEEvi20rocsparse_direction_NS_24const_host_device_scalarIT2_EEPKiS6_PKS3_S8_S4_PS3_21rocsparse_index_base_b.uses_flat_scratch, 0
	.set _ZN9rocsparseL19gebsrmvn_4xn_kernelILj128ELj7ELj16EfEEvi20rocsparse_direction_NS_24const_host_device_scalarIT2_EEPKiS6_PKS3_S8_S4_PS3_21rocsparse_index_base_b.has_dyn_sized_stack, 0
	.set _ZN9rocsparseL19gebsrmvn_4xn_kernelILj128ELj7ELj16EfEEvi20rocsparse_direction_NS_24const_host_device_scalarIT2_EEPKiS6_PKS3_S8_S4_PS3_21rocsparse_index_base_b.has_recursion, 0
	.set _ZN9rocsparseL19gebsrmvn_4xn_kernelILj128ELj7ELj16EfEEvi20rocsparse_direction_NS_24const_host_device_scalarIT2_EEPKiS6_PKS3_S8_S4_PS3_21rocsparse_index_base_b.has_indirect_call, 0
	.section	.AMDGPU.csdata,"",@progbits
; Kernel info:
; codeLenInByte = 3536
; TotalNumSgprs: 20
; NumVgprs: 51
; ScratchSize: 0
; MemoryBound: 0
; FloatMode: 240
; IeeeMode: 1
; LDSByteSize: 0 bytes/workgroup (compile time only)
; SGPRBlocks: 0
; VGPRBlocks: 6
; NumSGPRsForWavesPerEU: 20
; NumVGPRsForWavesPerEU: 51
; Occupancy: 16
; WaveLimiterHint : 1
; COMPUTE_PGM_RSRC2:SCRATCH_EN: 0
; COMPUTE_PGM_RSRC2:USER_SGPR: 2
; COMPUTE_PGM_RSRC2:TRAP_HANDLER: 0
; COMPUTE_PGM_RSRC2:TGID_X_EN: 1
; COMPUTE_PGM_RSRC2:TGID_Y_EN: 0
; COMPUTE_PGM_RSRC2:TGID_Z_EN: 0
; COMPUTE_PGM_RSRC2:TIDIG_COMP_CNT: 0
	.section	.text._ZN9rocsparseL19gebsrmvn_4xn_kernelILj128ELj7ELj32EfEEvi20rocsparse_direction_NS_24const_host_device_scalarIT2_EEPKiS6_PKS3_S8_S4_PS3_21rocsparse_index_base_b,"axG",@progbits,_ZN9rocsparseL19gebsrmvn_4xn_kernelILj128ELj7ELj32EfEEvi20rocsparse_direction_NS_24const_host_device_scalarIT2_EEPKiS6_PKS3_S8_S4_PS3_21rocsparse_index_base_b,comdat
	.globl	_ZN9rocsparseL19gebsrmvn_4xn_kernelILj128ELj7ELj32EfEEvi20rocsparse_direction_NS_24const_host_device_scalarIT2_EEPKiS6_PKS3_S8_S4_PS3_21rocsparse_index_base_b ; -- Begin function _ZN9rocsparseL19gebsrmvn_4xn_kernelILj128ELj7ELj32EfEEvi20rocsparse_direction_NS_24const_host_device_scalarIT2_EEPKiS6_PKS3_S8_S4_PS3_21rocsparse_index_base_b
	.p2align	8
	.type	_ZN9rocsparseL19gebsrmvn_4xn_kernelILj128ELj7ELj32EfEEvi20rocsparse_direction_NS_24const_host_device_scalarIT2_EEPKiS6_PKS3_S8_S4_PS3_21rocsparse_index_base_b,@function
_ZN9rocsparseL19gebsrmvn_4xn_kernelILj128ELj7ELj32EfEEvi20rocsparse_direction_NS_24const_host_device_scalarIT2_EEPKiS6_PKS3_S8_S4_PS3_21rocsparse_index_base_b: ; @_ZN9rocsparseL19gebsrmvn_4xn_kernelILj128ELj7ELj32EfEEvi20rocsparse_direction_NS_24const_host_device_scalarIT2_EEPKiS6_PKS3_S8_S4_PS3_21rocsparse_index_base_b
; %bb.0:
	s_clause 0x2
	s_load_b64 s[16:17], s[0:1], 0x40
	s_load_b64 s[14:15], s[0:1], 0x8
	s_load_b64 s[12:13], s[0:1], 0x30
	s_wait_kmcnt 0x0
	s_bitcmp1_b32 s17, 0
	s_cselect_b32 s2, -1, 0
	s_delay_alu instid0(SALU_CYCLE_1)
	s_and_b32 vcc_lo, exec_lo, s2
	s_xor_b32 s2, s2, -1
	s_cbranch_vccnz .LBB28_2
; %bb.1:
	s_load_b32 s14, s[14:15], 0x0
.LBB28_2:
	s_and_not1_b32 vcc_lo, exec_lo, s2
	s_cbranch_vccnz .LBB28_4
; %bb.3:
	s_load_b32 s12, s[12:13], 0x0
.LBB28_4:
	s_wait_kmcnt 0x0
	s_cmp_eq_f32 s14, 0
	s_cselect_b32 s2, -1, 0
	s_cmp_eq_f32 s12, 1.0
	s_cselect_b32 s3, -1, 0
	s_delay_alu instid0(SALU_CYCLE_1) | instskip(NEXT) | instid1(SALU_CYCLE_1)
	s_and_b32 s2, s2, s3
	s_and_b32 vcc_lo, exec_lo, s2
	s_cbranch_vccnz .LBB28_23
; %bb.5:
	s_load_b64 s[2:3], s[0:1], 0x0
	v_lshrrev_b32_e32 v1, 5, v0
	s_delay_alu instid0(VALU_DEP_1) | instskip(SKIP_1) | instid1(VALU_DEP_1)
	v_lshl_or_b32 v4, ttmp9, 2, v1
	s_wait_kmcnt 0x0
	v_cmp_gt_i32_e32 vcc_lo, s2, v4
	s_and_saveexec_b32 s2, vcc_lo
	s_cbranch_execz .LBB28_23
; %bb.6:
	s_load_b256 s[4:11], s[0:1], 0x10
	v_ashrrev_i32_e32 v5, 31, v4
	v_and_b32_e32 v9, 31, v0
	s_cmp_lg_u32 s3, 0
	s_delay_alu instid0(VALU_DEP_2) | instskip(SKIP_1) | instid1(VALU_DEP_1)
	v_lshlrev_b64_e32 v[1:2], 2, v[4:5]
	s_wait_kmcnt 0x0
	v_add_co_u32 v1, vcc_lo, s4, v1
	s_delay_alu instid0(VALU_DEP_1) | instskip(SKIP_4) | instid1(VALU_DEP_2)
	v_add_co_ci_u32_e64 v2, null, s5, v2, vcc_lo
	global_load_b64 v[1:2], v[1:2], off
	s_wait_loadcnt 0x0
	v_subrev_nc_u32_e32 v0, s16, v1
	v_subrev_nc_u32_e32 v14, s16, v2
	v_add_nc_u32_e32 v0, v0, v9
	s_delay_alu instid0(VALU_DEP_1)
	v_cmp_lt_i32_e64 s2, v0, v14
	s_cbranch_scc0 .LBB28_12
; %bb.7:
	v_dual_mov_b32 v10, 0 :: v_dual_mov_b32 v11, 0
	v_dual_mov_b32 v12, 0 :: v_dual_mov_b32 v13, 0
	s_and_saveexec_b32 s3, s2
	s_cbranch_execz .LBB28_11
; %bb.8:
	v_mad_co_u64_u32 v[1:2], null, v0, 28, 24
	v_dual_mov_b32 v6, 0 :: v_dual_mov_b32 v7, v0
	v_dual_mov_b32 v10, 0 :: v_dual_mov_b32 v11, 0
	;; [unrolled: 1-line block ×3, first 2 shown]
	s_mov_b32 s4, 0
.LBB28_9:                               ; =>This Inner Loop Header: Depth=1
	s_delay_alu instid0(VALU_DEP_3) | instskip(SKIP_1) | instid1(VALU_DEP_2)
	v_ashrrev_i32_e32 v8, 31, v7
	v_subrev_nc_u32_e32 v5, 24, v1
	v_lshlrev_b64_e32 v[2:3], 2, v[7:8]
	s_delay_alu instid0(VALU_DEP_2) | instskip(SKIP_2) | instid1(VALU_DEP_4)
	v_lshlrev_b64_e32 v[15:16], 2, v[5:6]
	v_subrev_nc_u32_e32 v5, 20, v1
	v_add_nc_u32_e32 v7, 32, v7
	v_add_co_u32 v2, vcc_lo, s6, v2
	s_wait_alu 0xfffd
	v_add_co_ci_u32_e64 v3, null, s7, v3, vcc_lo
	v_lshlrev_b64_e32 v[19:20], 2, v[5:6]
	v_add_co_u32 v15, vcc_lo, s8, v15
	global_load_b32 v8, v[2:3], off
	v_dual_mov_b32 v3, v6 :: v_dual_mov_b32 v2, v6
	s_wait_alu 0xfffd
	v_add_co_ci_u32_e64 v16, null, s9, v16, vcc_lo
	s_delay_alu instid0(VALU_DEP_2) | instskip(NEXT) | instid1(VALU_DEP_1)
	v_lshlrev_b64_e32 v[17:18], 2, v[1:2]
	v_add_co_u32 v39, vcc_lo, s8, v17
	s_wait_alu 0xfffd
	s_delay_alu instid0(VALU_DEP_2)
	v_add_co_ci_u32_e64 v40, null, s9, v18, vcc_lo
	v_add_co_u32 v19, vcc_lo, s8, v19
	s_wait_alu 0xfffd
	v_add_co_ci_u32_e64 v20, null, s9, v20, vcc_lo
	s_clause 0x1
	global_load_b128 v[15:18], v[15:16], off
	global_load_b128 v[19:22], v[19:20], off
	s_wait_loadcnt 0x2
	v_subrev_nc_u32_e32 v2, s16, v8
	s_delay_alu instid0(VALU_DEP_1) | instskip(NEXT) | instid1(VALU_DEP_1)
	v_mul_lo_u32 v2, v2, 7
	v_lshlrev_b64_e32 v[23:24], 2, v[2:3]
	s_delay_alu instid0(VALU_DEP_1) | instskip(SKIP_1) | instid1(VALU_DEP_2)
	v_add_co_u32 v23, vcc_lo, s10, v23
	s_wait_alu 0xfffd
	v_add_co_ci_u32_e64 v24, null, s11, v24, vcc_lo
	global_load_b32 v8, v[23:24], off
	v_add_nc_u32_e32 v5, 1, v2
	s_delay_alu instid0(VALU_DEP_1) | instskip(NEXT) | instid1(VALU_DEP_1)
	v_lshlrev_b64_e32 v[25:26], 2, v[5:6]
	v_add_co_u32 v25, vcc_lo, s10, v25
	s_wait_alu 0xfffd
	s_delay_alu instid0(VALU_DEP_2) | instskip(SKIP_3) | instid1(VALU_DEP_1)
	v_add_co_ci_u32_e64 v26, null, s11, v26, vcc_lo
	global_load_b32 v45, v[25:26], off
	s_wait_loadcnt 0x1
	v_dual_fmac_f32 v12, v17, v8 :: v_dual_add_nc_u32 v5, -16, v1
	v_lshlrev_b64_e32 v[27:28], 2, v[5:6]
	v_dual_fmac_f32 v10, v15, v8 :: v_dual_add_nc_u32 v5, 2, v2
	s_delay_alu instid0(VALU_DEP_2) | instskip(SKIP_1) | instid1(VALU_DEP_3)
	v_add_co_u32 v25, vcc_lo, s8, v27
	s_wait_alu 0xfffd
	v_add_co_ci_u32_e64 v26, null, s9, v28, vcc_lo
	s_wait_loadcnt 0x0
	v_fmac_f32_e32 v10, v19, v45
	v_lshlrev_b64_e32 v[23:24], 2, v[5:6]
	v_fmac_f32_e32 v12, v21, v45
	s_delay_alu instid0(VALU_DEP_2) | instskip(SKIP_1) | instid1(VALU_DEP_3)
	v_add_co_u32 v29, vcc_lo, s10, v23
	s_wait_alu 0xfffd
	v_add_co_ci_u32_e64 v30, null, s11, v24, vcc_lo
	global_load_b128 v[23:26], v[25:26], off
	global_load_b32 v46, v[29:30], off
	v_add_nc_u32_e32 v5, -12, v1
	s_delay_alu instid0(VALU_DEP_1) | instskip(SKIP_1) | instid1(VALU_DEP_1)
	v_lshlrev_b64_e32 v[27:28], 2, v[5:6]
	v_add_nc_u32_e32 v5, 3, v2
	v_lshlrev_b64_e32 v[31:32], 2, v[5:6]
	s_delay_alu instid0(VALU_DEP_3) | instskip(SKIP_1) | instid1(VALU_DEP_4)
	v_add_co_u32 v27, vcc_lo, s8, v27
	s_wait_alu 0xfffd
	v_add_co_ci_u32_e64 v28, null, s9, v28, vcc_lo
	s_delay_alu instid0(VALU_DEP_3)
	v_add_co_u32 v31, vcc_lo, s10, v31
	s_wait_alu 0xfffd
	v_add_co_ci_u32_e64 v32, null, s11, v32, vcc_lo
	global_load_b32 v47, v[31:32], off
	global_load_b128 v[27:30], v[27:28], off
	s_wait_loadcnt 0x2
	v_dual_fmac_f32 v12, v25, v46 :: v_dual_add_nc_u32 v5, -8, v1
	s_delay_alu instid0(VALU_DEP_1) | instskip(SKIP_2) | instid1(VALU_DEP_3)
	v_lshlrev_b64_e32 v[33:34], 2, v[5:6]
	v_fmac_f32_e32 v10, v23, v46
	v_add_nc_u32_e32 v5, 4, v2
	v_add_co_u32 v31, vcc_lo, s8, v33
	s_wait_alu 0xfffd
	s_delay_alu instid0(VALU_DEP_4)
	v_add_co_ci_u32_e64 v32, null, s9, v34, vcc_lo
	global_load_b128 v[31:34], v[31:32], off
	s_wait_loadcnt 0x1
	v_fmac_f32_e32 v10, v27, v47
	v_lshlrev_b64_e32 v[35:36], 2, v[5:6]
	v_dual_fmac_f32 v12, v29, v47 :: v_dual_add_nc_u32 v5, -4, v1
	v_add_nc_u32_e32 v1, 0x380, v1
	s_delay_alu instid0(VALU_DEP_3) | instskip(SKIP_1) | instid1(VALU_DEP_4)
	v_add_co_u32 v35, vcc_lo, s10, v35
	s_wait_alu 0xfffd
	v_add_co_ci_u32_e64 v36, null, s11, v36, vcc_lo
	v_lshlrev_b64_e32 v[37:38], 2, v[5:6]
	global_load_b32 v48, v[35:36], off
	s_wait_loadcnt 0x0
	v_dual_fmac_f32 v10, v31, v48 :: v_dual_add_nc_u32 v5, 5, v2
	s_delay_alu instid0(VALU_DEP_1) | instskip(SKIP_4) | instid1(VALU_DEP_3)
	v_lshlrev_b64_e32 v[41:42], 2, v[5:6]
	v_dual_fmac_f32 v12, v33, v48 :: v_dual_add_nc_u32 v5, 6, v2
	v_add_co_u32 v2, vcc_lo, s8, v37
	s_wait_alu 0xfffd
	v_add_co_ci_u32_e64 v3, null, s9, v38, vcc_lo
	v_lshlrev_b64_e32 v[43:44], 2, v[5:6]
	v_add_co_u32 v41, vcc_lo, s10, v41
	s_wait_alu 0xfffd
	v_add_co_ci_u32_e64 v42, null, s11, v42, vcc_lo
	global_load_b128 v[35:38], v[2:3], off
	global_load_b32 v5, v[41:42], off
	v_add_co_u32 v2, vcc_lo, s10, v43
	s_wait_alu 0xfffd
	v_add_co_ci_u32_e64 v3, null, s11, v44, vcc_lo
	global_load_b128 v[39:42], v[39:40], off
	global_load_b32 v2, v[2:3], off
	v_fmac_f32_e32 v13, v16, v8
	v_fmac_f32_e32 v11, v18, v8
	v_cmp_ge_i32_e32 vcc_lo, v7, v14
	s_wait_alu 0xfffe
	s_or_b32 s4, vcc_lo, s4
	s_wait_loadcnt 0x2
	v_fmac_f32_e32 v10, v35, v5
	v_fmac_f32_e32 v13, v20, v45
	;; [unrolled: 1-line block ×3, first 2 shown]
	s_wait_loadcnt 0x0
	s_delay_alu instid0(VALU_DEP_1) | instskip(NEXT) | instid1(VALU_DEP_1)
	v_dual_fmac_f32 v11, v22, v45 :: v_dual_fmac_f32 v12, v41, v2
	v_fmac_f32_e32 v11, v26, v46
	v_fmac_f32_e32 v10, v39, v2
	;; [unrolled: 1-line block ×3, first 2 shown]
	s_delay_alu instid0(VALU_DEP_3) | instskip(NEXT) | instid1(VALU_DEP_2)
	v_fmac_f32_e32 v11, v30, v47
	v_fmac_f32_e32 v13, v28, v47
	s_delay_alu instid0(VALU_DEP_2) | instskip(NEXT) | instid1(VALU_DEP_2)
	v_fmac_f32_e32 v11, v34, v48
	v_fmac_f32_e32 v13, v32, v48
	s_delay_alu instid0(VALU_DEP_2) | instskip(NEXT) | instid1(VALU_DEP_2)
	;; [unrolled: 3-line block ×3, first 2 shown]
	v_fmac_f32_e32 v11, v42, v2
	v_fmac_f32_e32 v13, v40, v2
	s_wait_alu 0xfffe
	s_and_not1_b32 exec_lo, exec_lo, s4
	s_cbranch_execnz .LBB28_9
; %bb.10:
	s_or_b32 exec_lo, exec_lo, s4
.LBB28_11:
	s_wait_alu 0xfffe
	s_or_b32 exec_lo, exec_lo, s3
	s_cbranch_execz .LBB28_13
	s_branch .LBB28_18
.LBB28_12:
                                        ; implicit-def: $vgpr10
                                        ; implicit-def: $vgpr11
                                        ; implicit-def: $vgpr12
                                        ; implicit-def: $vgpr13
.LBB28_13:
	v_dual_mov_b32 v10, 0 :: v_dual_mov_b32 v11, 0
	v_dual_mov_b32 v12, 0 :: v_dual_mov_b32 v13, 0
	s_and_saveexec_b32 s3, s2
	s_cbranch_execz .LBB28_17
; %bb.14:
	v_mad_co_u64_u32 v[2:3], null, v0, 28, 27
	v_dual_mov_b32 v6, 0 :: v_dual_mov_b32 v11, 0
	v_dual_mov_b32 v10, 0 :: v_dual_mov_b32 v13, 0
	v_mov_b32_e32 v12, 0
	s_mov_b32 s2, 0
.LBB28_15:                              ; =>This Inner Loop Header: Depth=1
	v_ashrrev_i32_e32 v1, 31, v0
	v_subrev_nc_u32_e32 v5, 27, v2
	v_add_nc_u32_e32 v17, -6, v2
	v_dual_mov_b32 v20, v6 :: v_dual_add_nc_u32 v15, -13, v2
	s_delay_alu instid0(VALU_DEP_4) | instskip(SKIP_3) | instid1(VALU_DEP_4)
	v_lshlrev_b64_e32 v[7:8], 2, v[0:1]
	v_dual_mov_b32 v16, v6 :: v_dual_mov_b32 v3, v6
	v_lshlrev_b64_e32 v[21:22], 2, v[5:6]
	v_add_nc_u32_e32 v0, 32, v0
	v_add_co_u32 v7, vcc_lo, s6, v7
	s_wait_alu 0xfffd
	v_add_co_ci_u32_e64 v8, null, s7, v8, vcc_lo
	v_lshlrev_b64_e32 v[15:16], 2, v[15:16]
	v_add_co_u32 v21, vcc_lo, s8, v21
	global_load_b32 v1, v[7:8], off
	v_subrev_nc_u32_e32 v7, 20, v2
	v_mov_b32_e32 v8, v6
	s_wait_alu 0xfffd
	v_add_co_ci_u32_e64 v22, null, s9, v22, vcc_lo
	v_lshlrev_b64_e32 v[23:24], 2, v[2:3]
	s_delay_alu instid0(VALU_DEP_3) | instskip(NEXT) | instid1(VALU_DEP_1)
	v_lshlrev_b64_e32 v[7:8], 2, v[7:8]
	v_add_co_u32 v7, vcc_lo, s8, v7
	s_wait_alu 0xfffd
	s_delay_alu instid0(VALU_DEP_2)
	v_add_co_ci_u32_e64 v8, null, s9, v8, vcc_lo
	v_add_co_u32 v25, vcc_lo, s8, v15
	s_wait_alu 0xfffd
	v_add_co_ci_u32_e64 v26, null, s9, v16, vcc_lo
	s_wait_loadcnt 0x0
	v_subrev_nc_u32_e32 v1, s16, v1
	s_delay_alu instid0(VALU_DEP_1) | instskip(NEXT) | instid1(VALU_DEP_1)
	v_mul_lo_u32 v19, v1, 7
	v_dual_mov_b32 v18, v6 :: v_dual_add_nc_u32 v5, 1, v19
	s_delay_alu instid0(VALU_DEP_1) | instskip(NEXT) | instid1(VALU_DEP_1)
	v_lshlrev_b64_e32 v[17:18], 2, v[17:18]
	v_add_co_u32 v27, vcc_lo, s8, v17
	s_wait_alu 0xfffd
	s_delay_alu instid0(VALU_DEP_2)
	v_add_co_ci_u32_e64 v28, null, s9, v18, vcc_lo
	s_clause 0x3
	global_load_b128 v[15:18], v[21:22], off
	global_load_b32 v3, v[7:8], off
	global_load_b32 v29, v[25:26], off
	;; [unrolled: 1-line block ×3, first 2 shown]
	v_lshlrev_b64_e32 v[7:8], 2, v[19:20]
	v_add_co_u32 v23, vcc_lo, s8, v23
	s_wait_alu 0xfffd
	v_add_co_ci_u32_e64 v24, null, s9, v24, vcc_lo
	v_lshlrev_b64_e32 v[20:21], 2, v[5:6]
	s_delay_alu instid0(VALU_DEP_4)
	v_add_co_u32 v7, vcc_lo, s10, v7
	s_wait_alu 0xfffd
	v_add_co_ci_u32_e64 v8, null, s11, v8, vcc_lo
	v_subrev_nc_u32_e32 v5, 19, v2
	global_load_b32 v1, v[7:8], off
	v_add_co_u32 v7, vcc_lo, s10, v20
	s_wait_alu 0xfffd
	v_add_co_ci_u32_e64 v8, null, s11, v21, vcc_lo
	v_lshlrev_b64_e32 v[25:26], 2, v[5:6]
	v_add_nc_u32_e32 v5, -12, v2
	global_load_b32 v28, v[7:8], off
	v_add_co_u32 v25, vcc_lo, s8, v25
	s_wait_alu 0xfffd
	v_add_co_ci_u32_e64 v26, null, s9, v26, vcc_lo
	global_load_b32 v30, v[25:26], off
	s_wait_loadcnt 0x2
	v_fmac_f32_e32 v10, v15, v1
	v_lshlrev_b64_e32 v[20:21], 2, v[5:6]
	v_dual_fmac_f32 v12, v29, v1 :: v_dual_add_nc_u32 v5, -5, v2
	v_fmac_f32_e32 v13, v3, v1
	v_fmac_f32_e32 v11, v27, v1
	s_delay_alu instid0(VALU_DEP_4)
	v_add_co_u32 v20, vcc_lo, s8, v20
	s_wait_alu 0xfffd
	v_add_co_ci_u32_e64 v21, null, s9, v21, vcc_lo
	v_lshlrev_b64_e32 v[7:8], 2, v[5:6]
	s_wait_loadcnt 0x1
	v_dual_fmac_f32 v10, v16, v28 :: v_dual_add_nc_u32 v5, 2, v19
	global_load_b32 v31, v[20:21], off
	v_add_co_u32 v7, vcc_lo, s8, v7
	v_lshlrev_b64_e32 v[25:26], 2, v[5:6]
	s_wait_alu 0xfffd
	v_add_co_ci_u32_e64 v8, null, s9, v8, vcc_lo
	v_subrev_nc_u32_e32 v5, 18, v2
	global_load_b32 v32, v[7:8], off
	v_add_co_u32 v7, vcc_lo, s10, v25
	s_wait_alu 0xfffd
	v_add_co_ci_u32_e64 v8, null, s11, v26, vcc_lo
	v_lshlrev_b64_e32 v[20:21], 2, v[5:6]
	v_add_nc_u32_e32 v5, -11, v2
	global_load_b32 v33, v[7:8], off
	v_add_co_u32 v20, vcc_lo, s8, v20
	s_wait_alu 0xfffd
	v_add_co_ci_u32_e64 v21, null, s9, v21, vcc_lo
	global_load_b32 v34, v[20:21], off
	s_wait_loadcnt 0x3
	v_fmac_f32_e32 v12, v31, v28
	v_lshlrev_b64_e32 v[25:26], 2, v[5:6]
	v_add_nc_u32_e32 v5, -4, v2
	s_delay_alu instid0(VALU_DEP_2) | instskip(SKIP_1) | instid1(VALU_DEP_3)
	v_add_co_u32 v20, vcc_lo, s8, v25
	s_wait_alu 0xfffd
	v_add_co_ci_u32_e64 v21, null, s9, v26, vcc_lo
	global_load_b32 v35, v[20:21], off
	s_wait_loadcnt 0x2
	v_fmac_f32_e32 v10, v17, v33
	v_lshlrev_b64_e32 v[7:8], 2, v[5:6]
	s_delay_alu instid0(VALU_DEP_1) | instskip(SKIP_1) | instid1(VALU_DEP_2)
	v_add_co_u32 v7, vcc_lo, s8, v7
	s_wait_alu 0xfffd
	v_add_co_ci_u32_e64 v8, null, s9, v8, vcc_lo
	global_load_b32 v36, v[7:8], off
	s_wait_loadcnt 0x1
	v_dual_fmac_f32 v12, v35, v33 :: v_dual_add_nc_u32 v5, 3, v19
	s_delay_alu instid0(VALU_DEP_1) | instskip(SKIP_1) | instid1(VALU_DEP_2)
	v_lshlrev_b64_e32 v[25:26], 2, v[5:6]
	v_subrev_nc_u32_e32 v5, 17, v2
	v_add_co_u32 v7, vcc_lo, s10, v25
	s_wait_alu 0xfffd
	s_delay_alu instid0(VALU_DEP_3) | instskip(NEXT) | instid1(VALU_DEP_3)
	v_add_co_ci_u32_e64 v8, null, s11, v26, vcc_lo
	v_lshlrev_b64_e32 v[20:21], 2, v[5:6]
	global_load_b32 v37, v[7:8], off
	v_add_nc_u32_e32 v5, -10, v2
	v_add_co_u32 v20, vcc_lo, s8, v20
	s_wait_alu 0xfffd
	v_add_co_ci_u32_e64 v21, null, s9, v21, vcc_lo
	global_load_b32 v38, v[20:21], off
	s_wait_loadcnt 0x1
	v_fmac_f32_e32 v10, v18, v37
	v_lshlrev_b64_e32 v[25:26], 2, v[5:6]
	s_delay_alu instid0(VALU_DEP_1) | instskip(SKIP_1) | instid1(VALU_DEP_2)
	v_add_co_u32 v20, vcc_lo, s8, v25
	s_wait_alu 0xfffd
	v_add_co_ci_u32_e64 v21, null, s9, v26, vcc_lo
	global_load_b32 v39, v[20:21], off
	v_add_nc_u32_e32 v5, -3, v2
	s_delay_alu instid0(VALU_DEP_1) | instskip(SKIP_1) | instid1(VALU_DEP_2)
	v_lshlrev_b64_e32 v[7:8], 2, v[5:6]
	v_subrev_nc_u32_e32 v5, 23, v2
	v_add_co_u32 v7, vcc_lo, s8, v7
	s_delay_alu instid0(VALU_DEP_2) | instskip(SKIP_1) | instid1(VALU_DEP_4)
	v_lshlrev_b64_e32 v[25:26], 2, v[5:6]
	s_wait_alu 0xfffd
	v_add_co_ci_u32_e64 v8, null, s9, v8, vcc_lo
	global_load_b32 v40, v[7:8], off
	v_add_co_u32 v7, vcc_lo, s8, v25
	s_wait_alu 0xfffd
	v_add_co_ci_u32_e64 v8, null, s9, v26, vcc_lo
	global_load_b32 v41, v[7:8], off
	v_add_nc_u32_e32 v5, 4, v19
	s_delay_alu instid0(VALU_DEP_1) | instskip(NEXT) | instid1(VALU_DEP_1)
	v_lshlrev_b64_e32 v[20:21], 2, v[5:6]
	v_add_co_u32 v20, vcc_lo, s10, v20
	s_wait_alu 0xfffd
	s_delay_alu instid0(VALU_DEP_2)
	v_add_co_ci_u32_e64 v21, null, s11, v21, vcc_lo
	global_load_b32 v42, v[20:21], off
	s_wait_loadcnt 0x3
	v_fmac_f32_e32 v12, v39, v37
	s_wait_loadcnt 0x0
	v_fmac_f32_e32 v10, v41, v42
	v_add_nc_u32_e32 v5, -16, v2
	s_delay_alu instid0(VALU_DEP_1) | instskip(SKIP_1) | instid1(VALU_DEP_1)
	v_lshlrev_b64_e32 v[25:26], 2, v[5:6]
	v_add_nc_u32_e32 v5, -9, v2
	v_lshlrev_b64_e32 v[7:8], 2, v[5:6]
	s_delay_alu instid0(VALU_DEP_3) | instskip(SKIP_1) | instid1(VALU_DEP_4)
	v_add_co_u32 v20, vcc_lo, s8, v25
	s_wait_alu 0xfffd
	v_add_co_ci_u32_e64 v21, null, s9, v26, vcc_lo
	v_add_nc_u32_e32 v5, -2, v2
	s_delay_alu instid0(VALU_DEP_4)
	v_add_co_u32 v7, vcc_lo, s8, v7
	s_wait_alu 0xfffd
	v_add_co_ci_u32_e64 v8, null, s9, v8, vcc_lo
	global_load_b32 v43, v[20:21], off
	v_lshlrev_b64_e32 v[25:26], 2, v[5:6]
	v_subrev_nc_u32_e32 v5, 22, v2
	global_load_b32 v44, v[7:8], off
	v_lshlrev_b64_e32 v[20:21], 2, v[5:6]
	v_add_nc_u32_e32 v5, 5, v19
	v_add_co_u32 v7, vcc_lo, s8, v25
	s_wait_alu 0xfffd
	v_add_co_ci_u32_e64 v8, null, s9, v26, vcc_lo
	s_delay_alu instid0(VALU_DEP_4)
	v_add_co_u32 v20, vcc_lo, s8, v20
	s_wait_alu 0xfffd
	v_add_co_ci_u32_e64 v21, null, s9, v21, vcc_lo
	s_clause 0x1
	global_load_b32 v45, v[7:8], off
	global_load_b32 v46, v[20:21], off
	s_wait_loadcnt 0x2
	v_fmac_f32_e32 v12, v44, v42
	v_lshlrev_b64_e32 v[25:26], 2, v[5:6]
	v_add_nc_u32_e32 v5, -15, v2
	s_delay_alu instid0(VALU_DEP_1) | instskip(SKIP_1) | instid1(VALU_DEP_4)
	v_lshlrev_b64_e32 v[7:8], 2, v[5:6]
	v_add_nc_u32_e32 v5, -8, v2
	v_add_co_u32 v20, vcc_lo, s10, v25
	s_wait_alu 0xfffd
	v_add_co_ci_u32_e64 v21, null, s11, v26, vcc_lo
	s_delay_alu instid0(VALU_DEP_3)
	v_lshlrev_b64_e32 v[25:26], 2, v[5:6]
	v_add_nc_u32_e32 v5, -1, v2
	v_add_co_u32 v7, vcc_lo, s8, v7
	s_wait_alu 0xfffd
	v_add_co_ci_u32_e64 v8, null, s9, v8, vcc_lo
	global_load_b32 v47, v[20:21], off
	v_lshlrev_b64_e32 v[20:21], 2, v[5:6]
	v_subrev_nc_u32_e32 v5, 21, v2
	global_load_b32 v48, v[7:8], off
	v_add_co_u32 v7, vcc_lo, s8, v25
	s_wait_alu 0xfffd
	v_add_co_ci_u32_e64 v8, null, s9, v26, vcc_lo
	v_lshlrev_b64_e32 v[25:26], 2, v[5:6]
	v_add_nc_u32_e32 v5, 6, v19
	v_add_co_u32 v19, vcc_lo, s8, v20
	s_wait_alu 0xfffd
	v_add_co_ci_u32_e64 v20, null, s9, v21, vcc_lo
	s_clause 0x1
	global_load_b32 v49, v[7:8], off
	global_load_b32 v50, v[19:20], off
	v_lshlrev_b64_e32 v[7:8], 2, v[5:6]
	v_add_nc_u32_e32 v5, -14, v2
	v_add_co_u32 v19, vcc_lo, s8, v25
	s_wait_alu 0xfffd
	v_add_co_ci_u32_e64 v20, null, s9, v26, vcc_lo
	s_delay_alu instid0(VALU_DEP_3) | instskip(SKIP_4) | instid1(VALU_DEP_3)
	v_lshlrev_b64_e32 v[21:22], 2, v[5:6]
	v_add_nc_u32_e32 v5, -7, v2
	v_add_co_u32 v7, vcc_lo, s10, v7
	s_wait_alu 0xfffd
	v_add_co_ci_u32_e64 v8, null, s11, v8, vcc_lo
	v_lshlrev_b64_e32 v[25:26], 2, v[5:6]
	v_add_co_u32 v21, vcc_lo, s8, v21
	s_wait_alu 0xfffd
	v_add_co_ci_u32_e64 v22, null, s9, v22, vcc_lo
	v_add_nc_u32_e32 v2, 0x380, v2
	s_delay_alu instid0(VALU_DEP_4)
	v_add_co_u32 v25, vcc_lo, s8, v25
	s_wait_alu 0xfffd
	v_add_co_ci_u32_e64 v26, null, s9, v26, vcc_lo
	global_load_b32 v5, v[19:20], off
	global_load_b32 v7, v[7:8], off
	s_clause 0x2
	global_load_b32 v8, v[21:22], off
	global_load_b32 v19, v[25:26], off
	;; [unrolled: 1-line block ×3, first 2 shown]
	v_fmac_f32_e32 v11, v32, v28
	v_cmp_ge_i32_e32 vcc_lo, v0, v14
	s_delay_alu instid0(VALU_DEP_2) | instskip(SKIP_2) | instid1(VALU_DEP_1)
	v_fmac_f32_e32 v11, v36, v33
	s_wait_alu 0xfffe
	s_or_b32 s2, vcc_lo, s2
	v_fmac_f32_e32 v11, v40, v37
	s_wait_loadcnt 0x8
	s_delay_alu instid0(VALU_DEP_1) | instskip(SKIP_3) | instid1(VALU_DEP_2)
	v_dual_fmac_f32 v11, v45, v42 :: v_dual_fmac_f32 v10, v46, v47
	s_wait_loadcnt 0x6
	v_dual_fmac_f32 v13, v30, v28 :: v_dual_fmac_f32 v12, v49, v47
	s_wait_loadcnt 0x5
	v_fmac_f32_e32 v11, v50, v47
	s_wait_loadcnt 0x3
	s_delay_alu instid0(VALU_DEP_2)
	v_dual_fmac_f32 v10, v5, v7 :: v_dual_fmac_f32 v13, v34, v33
	s_wait_loadcnt 0x1
	v_fmac_f32_e32 v12, v19, v7
	s_wait_loadcnt 0x0
	v_fmac_f32_e32 v11, v20, v7
	v_fmac_f32_e32 v13, v38, v37
	s_delay_alu instid0(VALU_DEP_1) | instskip(NEXT) | instid1(VALU_DEP_1)
	v_fmac_f32_e32 v13, v43, v42
	v_fmac_f32_e32 v13, v48, v47
	s_delay_alu instid0(VALU_DEP_1)
	v_fmac_f32_e32 v13, v8, v7
	s_wait_alu 0xfffe
	s_and_not1_b32 exec_lo, exec_lo, s2
	s_cbranch_execnz .LBB28_15
; %bb.16:
	s_or_b32 exec_lo, exec_lo, s2
.LBB28_17:
	s_wait_alu 0xfffe
	s_or_b32 exec_lo, exec_lo, s3
.LBB28_18:
	v_mbcnt_lo_u32_b32 v0, -1, 0
	s_mov_b32 s2, -1
	s_delay_alu instid0(VALU_DEP_1) | instskip(SKIP_1) | instid1(VALU_DEP_2)
	v_xor_b32_e32 v1, 16, v0
	v_xor_b32_e32 v6, 8, v0
	v_cmp_gt_i32_e32 vcc_lo, 32, v1
	s_wait_alu 0xfffd
	v_cndmask_b32_e32 v1, v0, v1, vcc_lo
	s_delay_alu instid0(VALU_DEP_3) | instskip(SKIP_2) | instid1(VALU_DEP_1)
	v_cmp_gt_i32_e32 vcc_lo, 32, v6
	s_wait_alu 0xfffd
	v_cndmask_b32_e32 v6, v0, v6, vcc_lo
	v_lshlrev_b32_e32 v6, 2, v6
	v_lshlrev_b32_e32 v1, 2, v1
	ds_bpermute_b32 v2, v1, v10
	s_wait_dscnt 0x0
	v_add_f32_e32 v2, v10, v2
	ds_bpermute_b32 v3, v1, v13
	ds_bpermute_b32 v5, v1, v12
	;; [unrolled: 1-line block ×4, first 2 shown]
	s_wait_dscnt 0x3
	v_add_f32_e32 v3, v13, v3
	s_wait_dscnt 0x0
	v_dual_add_f32 v5, v12, v5 :: v_dual_add_f32 v2, v2, v7
	v_add_f32_e32 v1, v11, v1
	ds_bpermute_b32 v8, v6, v3
	ds_bpermute_b32 v10, v6, v5
	v_xor_b32_e32 v11, 4, v0
	ds_bpermute_b32 v6, v6, v1
	v_cmp_gt_i32_e32 vcc_lo, 32, v11
	s_wait_dscnt 0x2
	v_add_f32_e32 v3, v3, v8
	s_wait_dscnt 0x1
	v_add_f32_e32 v5, v5, v10
	;; [unrolled: 2-line block ×3, first 2 shown]
	s_wait_alu 0xfffd
	v_cndmask_b32_e32 v11, v0, v11, vcc_lo
	s_delay_alu instid0(VALU_DEP_1)
	v_lshlrev_b32_e32 v11, 2, v11
	ds_bpermute_b32 v8, v11, v5
	ds_bpermute_b32 v6, v11, v2
	;; [unrolled: 1-line block ×4, first 2 shown]
	v_xor_b32_e32 v11, 2, v0
	s_delay_alu instid0(VALU_DEP_1)
	v_cmp_gt_i32_e32 vcc_lo, 32, v11
	s_wait_dscnt 0x3
	v_add_f32_e32 v5, v5, v8
	s_wait_dscnt 0x2
	s_wait_alu 0xfffd
	v_dual_cndmask_b32 v11, v0, v11 :: v_dual_add_f32 v2, v2, v6
	s_wait_dscnt 0x0
	v_dual_add_f32 v3, v3, v7 :: v_dual_add_f32 v6, v1, v10
	s_delay_alu instid0(VALU_DEP_2)
	v_lshlrev_b32_e32 v11, 2, v11
	ds_bpermute_b32 v1, v11, v2
	ds_bpermute_b32 v7, v11, v3
	;; [unrolled: 1-line block ×4, first 2 shown]
	v_xor_b32_e32 v11, 1, v0
	s_delay_alu instid0(VALU_DEP_1) | instskip(SKIP_4) | instid1(VALU_DEP_2)
	v_cmp_gt_i32_e32 vcc_lo, 32, v11
	s_wait_alu 0xfffd
	v_cndmask_b32_e32 v0, v0, v11, vcc_lo
	v_cmp_eq_u32_e32 vcc_lo, 31, v9
	s_wait_dscnt 0x3
	v_dual_add_f32 v0, v2, v1 :: v_dual_lshlrev_b32 v11, 2, v0
	s_wait_dscnt 0x1
	v_dual_add_f32 v1, v3, v7 :: v_dual_add_f32 v2, v5, v8
	s_wait_dscnt 0x0
	v_add_f32_e32 v3, v6, v10
	ds_bpermute_b32 v5, v11, v0
	ds_bpermute_b32 v6, v11, v1
	;; [unrolled: 1-line block ×4, first 2 shown]
	s_and_b32 exec_lo, exec_lo, vcc_lo
	s_cbranch_execz .LBB28_23
; %bb.19:
	s_load_b64 s[0:1], s[0:1], 0x38
	s_wait_dscnt 0x2
	v_dual_add_f32 v0, v0, v5 :: v_dual_add_f32 v1, v1, v6
	s_wait_dscnt 0x0
	v_dual_add_f32 v2, v2, v7 :: v_dual_add_f32 v3, v3, v8
	v_lshlrev_b32_e32 v4, 2, v4
	s_delay_alu instid0(VALU_DEP_3) | instskip(NEXT) | instid1(VALU_DEP_3)
	v_dual_mul_f32 v0, s14, v0 :: v_dual_mul_f32 v1, s14, v1
	v_dual_mul_f32 v2, s14, v2 :: v_dual_mul_f32 v3, s14, v3
	s_cmp_eq_f32 s12, 0
	s_cbranch_scc0 .LBB28_21
; %bb.20:
	v_ashrrev_i32_e32 v5, 31, v4
	s_mov_b32 s2, 0
	s_delay_alu instid0(VALU_DEP_1) | instskip(SKIP_1) | instid1(VALU_DEP_1)
	v_lshlrev_b64_e32 v[5:6], 2, v[4:5]
	s_wait_kmcnt 0x0
	v_add_co_u32 v5, vcc_lo, s0, v5
	s_wait_alu 0xfffd
	s_delay_alu instid0(VALU_DEP_2)
	v_add_co_ci_u32_e64 v6, null, s1, v6, vcc_lo
	global_store_b128 v[5:6], v[0:3], off
.LBB28_21:
	s_wait_alu 0xfffe
	s_and_not1_b32 vcc_lo, exec_lo, s2
	s_wait_alu 0xfffe
	s_cbranch_vccnz .LBB28_23
; %bb.22:
	v_ashrrev_i32_e32 v5, 31, v4
	s_delay_alu instid0(VALU_DEP_1) | instskip(SKIP_1) | instid1(VALU_DEP_1)
	v_lshlrev_b64_e32 v[4:5], 2, v[4:5]
	s_wait_kmcnt 0x0
	v_add_co_u32 v8, vcc_lo, s0, v4
	s_wait_alu 0xfffd
	s_delay_alu instid0(VALU_DEP_2)
	v_add_co_ci_u32_e64 v9, null, s1, v5, vcc_lo
	global_load_b128 v[4:7], v[8:9], off
	s_wait_loadcnt 0x0
	v_dual_fmac_f32 v0, s12, v4 :: v_dual_fmac_f32 v1, s12, v5
	v_dual_fmac_f32 v2, s12, v6 :: v_dual_fmac_f32 v3, s12, v7
	global_store_b128 v[8:9], v[0:3], off
.LBB28_23:
	s_endpgm
	.section	.rodata,"a",@progbits
	.p2align	6, 0x0
	.amdhsa_kernel _ZN9rocsparseL19gebsrmvn_4xn_kernelILj128ELj7ELj32EfEEvi20rocsparse_direction_NS_24const_host_device_scalarIT2_EEPKiS6_PKS3_S8_S4_PS3_21rocsparse_index_base_b
		.amdhsa_group_segment_fixed_size 0
		.amdhsa_private_segment_fixed_size 0
		.amdhsa_kernarg_size 72
		.amdhsa_user_sgpr_count 2
		.amdhsa_user_sgpr_dispatch_ptr 0
		.amdhsa_user_sgpr_queue_ptr 0
		.amdhsa_user_sgpr_kernarg_segment_ptr 1
		.amdhsa_user_sgpr_dispatch_id 0
		.amdhsa_user_sgpr_private_segment_size 0
		.amdhsa_wavefront_size32 1
		.amdhsa_uses_dynamic_stack 0
		.amdhsa_enable_private_segment 0
		.amdhsa_system_sgpr_workgroup_id_x 1
		.amdhsa_system_sgpr_workgroup_id_y 0
		.amdhsa_system_sgpr_workgroup_id_z 0
		.amdhsa_system_sgpr_workgroup_info 0
		.amdhsa_system_vgpr_workitem_id 0
		.amdhsa_next_free_vgpr 51
		.amdhsa_next_free_sgpr 18
		.amdhsa_reserve_vcc 1
		.amdhsa_float_round_mode_32 0
		.amdhsa_float_round_mode_16_64 0
		.amdhsa_float_denorm_mode_32 3
		.amdhsa_float_denorm_mode_16_64 3
		.amdhsa_fp16_overflow 0
		.amdhsa_workgroup_processor_mode 1
		.amdhsa_memory_ordered 1
		.amdhsa_forward_progress 1
		.amdhsa_inst_pref_size 29
		.amdhsa_round_robin_scheduling 0
		.amdhsa_exception_fp_ieee_invalid_op 0
		.amdhsa_exception_fp_denorm_src 0
		.amdhsa_exception_fp_ieee_div_zero 0
		.amdhsa_exception_fp_ieee_overflow 0
		.amdhsa_exception_fp_ieee_underflow 0
		.amdhsa_exception_fp_ieee_inexact 0
		.amdhsa_exception_int_div_zero 0
	.end_amdhsa_kernel
	.section	.text._ZN9rocsparseL19gebsrmvn_4xn_kernelILj128ELj7ELj32EfEEvi20rocsparse_direction_NS_24const_host_device_scalarIT2_EEPKiS6_PKS3_S8_S4_PS3_21rocsparse_index_base_b,"axG",@progbits,_ZN9rocsparseL19gebsrmvn_4xn_kernelILj128ELj7ELj32EfEEvi20rocsparse_direction_NS_24const_host_device_scalarIT2_EEPKiS6_PKS3_S8_S4_PS3_21rocsparse_index_base_b,comdat
.Lfunc_end28:
	.size	_ZN9rocsparseL19gebsrmvn_4xn_kernelILj128ELj7ELj32EfEEvi20rocsparse_direction_NS_24const_host_device_scalarIT2_EEPKiS6_PKS3_S8_S4_PS3_21rocsparse_index_base_b, .Lfunc_end28-_ZN9rocsparseL19gebsrmvn_4xn_kernelILj128ELj7ELj32EfEEvi20rocsparse_direction_NS_24const_host_device_scalarIT2_EEPKiS6_PKS3_S8_S4_PS3_21rocsparse_index_base_b
                                        ; -- End function
	.set _ZN9rocsparseL19gebsrmvn_4xn_kernelILj128ELj7ELj32EfEEvi20rocsparse_direction_NS_24const_host_device_scalarIT2_EEPKiS6_PKS3_S8_S4_PS3_21rocsparse_index_base_b.num_vgpr, 51
	.set _ZN9rocsparseL19gebsrmvn_4xn_kernelILj128ELj7ELj32EfEEvi20rocsparse_direction_NS_24const_host_device_scalarIT2_EEPKiS6_PKS3_S8_S4_PS3_21rocsparse_index_base_b.num_agpr, 0
	.set _ZN9rocsparseL19gebsrmvn_4xn_kernelILj128ELj7ELj32EfEEvi20rocsparse_direction_NS_24const_host_device_scalarIT2_EEPKiS6_PKS3_S8_S4_PS3_21rocsparse_index_base_b.numbered_sgpr, 18
	.set _ZN9rocsparseL19gebsrmvn_4xn_kernelILj128ELj7ELj32EfEEvi20rocsparse_direction_NS_24const_host_device_scalarIT2_EEPKiS6_PKS3_S8_S4_PS3_21rocsparse_index_base_b.num_named_barrier, 0
	.set _ZN9rocsparseL19gebsrmvn_4xn_kernelILj128ELj7ELj32EfEEvi20rocsparse_direction_NS_24const_host_device_scalarIT2_EEPKiS6_PKS3_S8_S4_PS3_21rocsparse_index_base_b.private_seg_size, 0
	.set _ZN9rocsparseL19gebsrmvn_4xn_kernelILj128ELj7ELj32EfEEvi20rocsparse_direction_NS_24const_host_device_scalarIT2_EEPKiS6_PKS3_S8_S4_PS3_21rocsparse_index_base_b.uses_vcc, 1
	.set _ZN9rocsparseL19gebsrmvn_4xn_kernelILj128ELj7ELj32EfEEvi20rocsparse_direction_NS_24const_host_device_scalarIT2_EEPKiS6_PKS3_S8_S4_PS3_21rocsparse_index_base_b.uses_flat_scratch, 0
	.set _ZN9rocsparseL19gebsrmvn_4xn_kernelILj128ELj7ELj32EfEEvi20rocsparse_direction_NS_24const_host_device_scalarIT2_EEPKiS6_PKS3_S8_S4_PS3_21rocsparse_index_base_b.has_dyn_sized_stack, 0
	.set _ZN9rocsparseL19gebsrmvn_4xn_kernelILj128ELj7ELj32EfEEvi20rocsparse_direction_NS_24const_host_device_scalarIT2_EEPKiS6_PKS3_S8_S4_PS3_21rocsparse_index_base_b.has_recursion, 0
	.set _ZN9rocsparseL19gebsrmvn_4xn_kernelILj128ELj7ELj32EfEEvi20rocsparse_direction_NS_24const_host_device_scalarIT2_EEPKiS6_PKS3_S8_S4_PS3_21rocsparse_index_base_b.has_indirect_call, 0
	.section	.AMDGPU.csdata,"",@progbits
; Kernel info:
; codeLenInByte = 3620
; TotalNumSgprs: 20
; NumVgprs: 51
; ScratchSize: 0
; MemoryBound: 0
; FloatMode: 240
; IeeeMode: 1
; LDSByteSize: 0 bytes/workgroup (compile time only)
; SGPRBlocks: 0
; VGPRBlocks: 6
; NumSGPRsForWavesPerEU: 20
; NumVGPRsForWavesPerEU: 51
; Occupancy: 16
; WaveLimiterHint : 1
; COMPUTE_PGM_RSRC2:SCRATCH_EN: 0
; COMPUTE_PGM_RSRC2:USER_SGPR: 2
; COMPUTE_PGM_RSRC2:TRAP_HANDLER: 0
; COMPUTE_PGM_RSRC2:TGID_X_EN: 1
; COMPUTE_PGM_RSRC2:TGID_Y_EN: 0
; COMPUTE_PGM_RSRC2:TGID_Z_EN: 0
; COMPUTE_PGM_RSRC2:TIDIG_COMP_CNT: 0
	.section	.text._ZN9rocsparseL19gebsrmvn_4xn_kernelILj128ELj7ELj64EfEEvi20rocsparse_direction_NS_24const_host_device_scalarIT2_EEPKiS6_PKS3_S8_S4_PS3_21rocsparse_index_base_b,"axG",@progbits,_ZN9rocsparseL19gebsrmvn_4xn_kernelILj128ELj7ELj64EfEEvi20rocsparse_direction_NS_24const_host_device_scalarIT2_EEPKiS6_PKS3_S8_S4_PS3_21rocsparse_index_base_b,comdat
	.globl	_ZN9rocsparseL19gebsrmvn_4xn_kernelILj128ELj7ELj64EfEEvi20rocsparse_direction_NS_24const_host_device_scalarIT2_EEPKiS6_PKS3_S8_S4_PS3_21rocsparse_index_base_b ; -- Begin function _ZN9rocsparseL19gebsrmvn_4xn_kernelILj128ELj7ELj64EfEEvi20rocsparse_direction_NS_24const_host_device_scalarIT2_EEPKiS6_PKS3_S8_S4_PS3_21rocsparse_index_base_b
	.p2align	8
	.type	_ZN9rocsparseL19gebsrmvn_4xn_kernelILj128ELj7ELj64EfEEvi20rocsparse_direction_NS_24const_host_device_scalarIT2_EEPKiS6_PKS3_S8_S4_PS3_21rocsparse_index_base_b,@function
_ZN9rocsparseL19gebsrmvn_4xn_kernelILj128ELj7ELj64EfEEvi20rocsparse_direction_NS_24const_host_device_scalarIT2_EEPKiS6_PKS3_S8_S4_PS3_21rocsparse_index_base_b: ; @_ZN9rocsparseL19gebsrmvn_4xn_kernelILj128ELj7ELj64EfEEvi20rocsparse_direction_NS_24const_host_device_scalarIT2_EEPKiS6_PKS3_S8_S4_PS3_21rocsparse_index_base_b
; %bb.0:
	s_clause 0x2
	s_load_b64 s[16:17], s[0:1], 0x40
	s_load_b64 s[14:15], s[0:1], 0x8
	;; [unrolled: 1-line block ×3, first 2 shown]
	s_wait_kmcnt 0x0
	s_bitcmp1_b32 s17, 0
	s_cselect_b32 s2, -1, 0
	s_delay_alu instid0(SALU_CYCLE_1)
	s_and_b32 vcc_lo, exec_lo, s2
	s_xor_b32 s2, s2, -1
	s_cbranch_vccnz .LBB29_2
; %bb.1:
	s_load_b32 s14, s[14:15], 0x0
.LBB29_2:
	s_and_not1_b32 vcc_lo, exec_lo, s2
	s_cbranch_vccnz .LBB29_4
; %bb.3:
	s_load_b32 s12, s[12:13], 0x0
.LBB29_4:
	s_wait_kmcnt 0x0
	s_cmp_eq_f32 s14, 0
	s_cselect_b32 s2, -1, 0
	s_cmp_eq_f32 s12, 1.0
	s_cselect_b32 s3, -1, 0
	s_delay_alu instid0(SALU_CYCLE_1) | instskip(NEXT) | instid1(SALU_CYCLE_1)
	s_and_b32 s2, s2, s3
	s_and_b32 vcc_lo, exec_lo, s2
	s_cbranch_vccnz .LBB29_23
; %bb.5:
	s_load_b64 s[2:3], s[0:1], 0x0
	v_lshrrev_b32_e32 v1, 6, v0
	s_delay_alu instid0(VALU_DEP_1) | instskip(SKIP_1) | instid1(VALU_DEP_1)
	v_lshl_or_b32 v4, ttmp9, 1, v1
	s_wait_kmcnt 0x0
	v_cmp_gt_i32_e32 vcc_lo, s2, v4
	s_and_saveexec_b32 s2, vcc_lo
	s_cbranch_execz .LBB29_23
; %bb.6:
	s_load_b256 s[4:11], s[0:1], 0x10
	v_ashrrev_i32_e32 v5, 31, v4
	v_and_b32_e32 v9, 63, v0
	s_cmp_lg_u32 s3, 0
	s_delay_alu instid0(VALU_DEP_2) | instskip(SKIP_1) | instid1(VALU_DEP_1)
	v_lshlrev_b64_e32 v[1:2], 2, v[4:5]
	s_wait_kmcnt 0x0
	v_add_co_u32 v1, vcc_lo, s4, v1
	s_delay_alu instid0(VALU_DEP_1) | instskip(SKIP_4) | instid1(VALU_DEP_2)
	v_add_co_ci_u32_e64 v2, null, s5, v2, vcc_lo
	global_load_b64 v[1:2], v[1:2], off
	s_wait_loadcnt 0x0
	v_subrev_nc_u32_e32 v0, s16, v1
	v_subrev_nc_u32_e32 v14, s16, v2
	v_add_nc_u32_e32 v0, v0, v9
	s_delay_alu instid0(VALU_DEP_1)
	v_cmp_lt_i32_e64 s2, v0, v14
	s_cbranch_scc0 .LBB29_12
; %bb.7:
	v_dual_mov_b32 v10, 0 :: v_dual_mov_b32 v11, 0
	v_dual_mov_b32 v12, 0 :: v_dual_mov_b32 v13, 0
	s_and_saveexec_b32 s3, s2
	s_cbranch_execz .LBB29_11
; %bb.8:
	v_mad_co_u64_u32 v[1:2], null, v0, 28, 24
	v_dual_mov_b32 v6, 0 :: v_dual_mov_b32 v7, v0
	v_dual_mov_b32 v10, 0 :: v_dual_mov_b32 v11, 0
	v_dual_mov_b32 v12, 0 :: v_dual_mov_b32 v13, 0
	s_mov_b32 s4, 0
.LBB29_9:                               ; =>This Inner Loop Header: Depth=1
	s_delay_alu instid0(VALU_DEP_3) | instskip(SKIP_1) | instid1(VALU_DEP_2)
	v_ashrrev_i32_e32 v8, 31, v7
	v_subrev_nc_u32_e32 v5, 24, v1
	v_lshlrev_b64_e32 v[2:3], 2, v[7:8]
	s_delay_alu instid0(VALU_DEP_2) | instskip(SKIP_2) | instid1(VALU_DEP_4)
	v_lshlrev_b64_e32 v[15:16], 2, v[5:6]
	v_subrev_nc_u32_e32 v5, 20, v1
	v_add_nc_u32_e32 v7, 64, v7
	v_add_co_u32 v2, vcc_lo, s6, v2
	s_wait_alu 0xfffd
	v_add_co_ci_u32_e64 v3, null, s7, v3, vcc_lo
	v_lshlrev_b64_e32 v[19:20], 2, v[5:6]
	v_add_co_u32 v15, vcc_lo, s8, v15
	global_load_b32 v8, v[2:3], off
	v_dual_mov_b32 v3, v6 :: v_dual_mov_b32 v2, v6
	s_wait_alu 0xfffd
	v_add_co_ci_u32_e64 v16, null, s9, v16, vcc_lo
	s_delay_alu instid0(VALU_DEP_2) | instskip(NEXT) | instid1(VALU_DEP_1)
	v_lshlrev_b64_e32 v[17:18], 2, v[1:2]
	v_add_co_u32 v39, vcc_lo, s8, v17
	s_wait_alu 0xfffd
	s_delay_alu instid0(VALU_DEP_2)
	v_add_co_ci_u32_e64 v40, null, s9, v18, vcc_lo
	v_add_co_u32 v19, vcc_lo, s8, v19
	s_wait_alu 0xfffd
	v_add_co_ci_u32_e64 v20, null, s9, v20, vcc_lo
	s_clause 0x1
	global_load_b128 v[15:18], v[15:16], off
	global_load_b128 v[19:22], v[19:20], off
	s_wait_loadcnt 0x2
	v_subrev_nc_u32_e32 v2, s16, v8
	s_delay_alu instid0(VALU_DEP_1) | instskip(NEXT) | instid1(VALU_DEP_1)
	v_mul_lo_u32 v2, v2, 7
	v_lshlrev_b64_e32 v[23:24], 2, v[2:3]
	s_delay_alu instid0(VALU_DEP_1) | instskip(SKIP_1) | instid1(VALU_DEP_2)
	v_add_co_u32 v23, vcc_lo, s10, v23
	s_wait_alu 0xfffd
	v_add_co_ci_u32_e64 v24, null, s11, v24, vcc_lo
	global_load_b32 v8, v[23:24], off
	v_add_nc_u32_e32 v5, 1, v2
	s_delay_alu instid0(VALU_DEP_1) | instskip(NEXT) | instid1(VALU_DEP_1)
	v_lshlrev_b64_e32 v[25:26], 2, v[5:6]
	v_add_co_u32 v25, vcc_lo, s10, v25
	s_wait_alu 0xfffd
	s_delay_alu instid0(VALU_DEP_2) | instskip(SKIP_3) | instid1(VALU_DEP_1)
	v_add_co_ci_u32_e64 v26, null, s11, v26, vcc_lo
	global_load_b32 v45, v[25:26], off
	s_wait_loadcnt 0x1
	v_dual_fmac_f32 v12, v17, v8 :: v_dual_add_nc_u32 v5, -16, v1
	v_lshlrev_b64_e32 v[27:28], 2, v[5:6]
	v_dual_fmac_f32 v10, v15, v8 :: v_dual_add_nc_u32 v5, 2, v2
	s_delay_alu instid0(VALU_DEP_2) | instskip(SKIP_1) | instid1(VALU_DEP_3)
	v_add_co_u32 v25, vcc_lo, s8, v27
	s_wait_alu 0xfffd
	v_add_co_ci_u32_e64 v26, null, s9, v28, vcc_lo
	s_wait_loadcnt 0x0
	v_fmac_f32_e32 v10, v19, v45
	v_lshlrev_b64_e32 v[23:24], 2, v[5:6]
	v_fmac_f32_e32 v12, v21, v45
	s_delay_alu instid0(VALU_DEP_2) | instskip(SKIP_1) | instid1(VALU_DEP_3)
	v_add_co_u32 v29, vcc_lo, s10, v23
	s_wait_alu 0xfffd
	v_add_co_ci_u32_e64 v30, null, s11, v24, vcc_lo
	global_load_b128 v[23:26], v[25:26], off
	global_load_b32 v46, v[29:30], off
	v_add_nc_u32_e32 v5, -12, v1
	s_delay_alu instid0(VALU_DEP_1) | instskip(SKIP_1) | instid1(VALU_DEP_1)
	v_lshlrev_b64_e32 v[27:28], 2, v[5:6]
	v_add_nc_u32_e32 v5, 3, v2
	v_lshlrev_b64_e32 v[31:32], 2, v[5:6]
	s_delay_alu instid0(VALU_DEP_3) | instskip(SKIP_1) | instid1(VALU_DEP_4)
	v_add_co_u32 v27, vcc_lo, s8, v27
	s_wait_alu 0xfffd
	v_add_co_ci_u32_e64 v28, null, s9, v28, vcc_lo
	s_delay_alu instid0(VALU_DEP_3)
	v_add_co_u32 v31, vcc_lo, s10, v31
	s_wait_alu 0xfffd
	v_add_co_ci_u32_e64 v32, null, s11, v32, vcc_lo
	global_load_b32 v47, v[31:32], off
	global_load_b128 v[27:30], v[27:28], off
	s_wait_loadcnt 0x2
	v_dual_fmac_f32 v12, v25, v46 :: v_dual_add_nc_u32 v5, -8, v1
	s_delay_alu instid0(VALU_DEP_1) | instskip(SKIP_2) | instid1(VALU_DEP_3)
	v_lshlrev_b64_e32 v[33:34], 2, v[5:6]
	v_fmac_f32_e32 v10, v23, v46
	v_add_nc_u32_e32 v5, 4, v2
	v_add_co_u32 v31, vcc_lo, s8, v33
	s_wait_alu 0xfffd
	s_delay_alu instid0(VALU_DEP_4)
	v_add_co_ci_u32_e64 v32, null, s9, v34, vcc_lo
	global_load_b128 v[31:34], v[31:32], off
	s_wait_loadcnt 0x1
	v_fmac_f32_e32 v10, v27, v47
	v_lshlrev_b64_e32 v[35:36], 2, v[5:6]
	v_dual_fmac_f32 v12, v29, v47 :: v_dual_add_nc_u32 v5, -4, v1
	v_add_nc_u32_e32 v1, 0x700, v1
	s_delay_alu instid0(VALU_DEP_3) | instskip(SKIP_1) | instid1(VALU_DEP_4)
	v_add_co_u32 v35, vcc_lo, s10, v35
	s_wait_alu 0xfffd
	v_add_co_ci_u32_e64 v36, null, s11, v36, vcc_lo
	v_lshlrev_b64_e32 v[37:38], 2, v[5:6]
	global_load_b32 v48, v[35:36], off
	s_wait_loadcnt 0x0
	v_dual_fmac_f32 v10, v31, v48 :: v_dual_add_nc_u32 v5, 5, v2
	s_delay_alu instid0(VALU_DEP_1) | instskip(SKIP_4) | instid1(VALU_DEP_3)
	v_lshlrev_b64_e32 v[41:42], 2, v[5:6]
	v_dual_fmac_f32 v12, v33, v48 :: v_dual_add_nc_u32 v5, 6, v2
	v_add_co_u32 v2, vcc_lo, s8, v37
	s_wait_alu 0xfffd
	v_add_co_ci_u32_e64 v3, null, s9, v38, vcc_lo
	v_lshlrev_b64_e32 v[43:44], 2, v[5:6]
	v_add_co_u32 v41, vcc_lo, s10, v41
	s_wait_alu 0xfffd
	v_add_co_ci_u32_e64 v42, null, s11, v42, vcc_lo
	global_load_b128 v[35:38], v[2:3], off
	global_load_b32 v5, v[41:42], off
	v_add_co_u32 v2, vcc_lo, s10, v43
	s_wait_alu 0xfffd
	v_add_co_ci_u32_e64 v3, null, s11, v44, vcc_lo
	global_load_b128 v[39:42], v[39:40], off
	global_load_b32 v2, v[2:3], off
	v_fmac_f32_e32 v13, v16, v8
	v_fmac_f32_e32 v11, v18, v8
	v_cmp_ge_i32_e32 vcc_lo, v7, v14
	s_wait_alu 0xfffe
	s_or_b32 s4, vcc_lo, s4
	s_wait_loadcnt 0x2
	v_fmac_f32_e32 v10, v35, v5
	v_fmac_f32_e32 v13, v20, v45
	;; [unrolled: 1-line block ×3, first 2 shown]
	s_wait_loadcnt 0x0
	s_delay_alu instid0(VALU_DEP_1) | instskip(NEXT) | instid1(VALU_DEP_1)
	v_dual_fmac_f32 v11, v22, v45 :: v_dual_fmac_f32 v12, v41, v2
	v_fmac_f32_e32 v11, v26, v46
	v_fmac_f32_e32 v10, v39, v2
	;; [unrolled: 1-line block ×3, first 2 shown]
	s_delay_alu instid0(VALU_DEP_3) | instskip(NEXT) | instid1(VALU_DEP_2)
	v_fmac_f32_e32 v11, v30, v47
	v_fmac_f32_e32 v13, v28, v47
	s_delay_alu instid0(VALU_DEP_2) | instskip(NEXT) | instid1(VALU_DEP_2)
	v_fmac_f32_e32 v11, v34, v48
	v_fmac_f32_e32 v13, v32, v48
	s_delay_alu instid0(VALU_DEP_2) | instskip(NEXT) | instid1(VALU_DEP_2)
	;; [unrolled: 3-line block ×3, first 2 shown]
	v_fmac_f32_e32 v11, v42, v2
	v_fmac_f32_e32 v13, v40, v2
	s_wait_alu 0xfffe
	s_and_not1_b32 exec_lo, exec_lo, s4
	s_cbranch_execnz .LBB29_9
; %bb.10:
	s_or_b32 exec_lo, exec_lo, s4
.LBB29_11:
	s_wait_alu 0xfffe
	s_or_b32 exec_lo, exec_lo, s3
	s_cbranch_execz .LBB29_13
	s_branch .LBB29_18
.LBB29_12:
                                        ; implicit-def: $vgpr10
                                        ; implicit-def: $vgpr11
                                        ; implicit-def: $vgpr12
                                        ; implicit-def: $vgpr13
.LBB29_13:
	v_dual_mov_b32 v10, 0 :: v_dual_mov_b32 v11, 0
	v_dual_mov_b32 v12, 0 :: v_dual_mov_b32 v13, 0
	s_and_saveexec_b32 s3, s2
	s_cbranch_execz .LBB29_17
; %bb.14:
	v_mad_co_u64_u32 v[2:3], null, v0, 28, 27
	v_dual_mov_b32 v6, 0 :: v_dual_mov_b32 v11, 0
	v_dual_mov_b32 v10, 0 :: v_dual_mov_b32 v13, 0
	v_mov_b32_e32 v12, 0
	s_mov_b32 s2, 0
.LBB29_15:                              ; =>This Inner Loop Header: Depth=1
	v_ashrrev_i32_e32 v1, 31, v0
	v_subrev_nc_u32_e32 v5, 27, v2
	v_add_nc_u32_e32 v17, -6, v2
	v_dual_mov_b32 v20, v6 :: v_dual_add_nc_u32 v15, -13, v2
	s_delay_alu instid0(VALU_DEP_4) | instskip(SKIP_3) | instid1(VALU_DEP_4)
	v_lshlrev_b64_e32 v[7:8], 2, v[0:1]
	v_dual_mov_b32 v16, v6 :: v_dual_mov_b32 v3, v6
	v_lshlrev_b64_e32 v[21:22], 2, v[5:6]
	v_add_nc_u32_e32 v0, 64, v0
	v_add_co_u32 v7, vcc_lo, s6, v7
	s_wait_alu 0xfffd
	v_add_co_ci_u32_e64 v8, null, s7, v8, vcc_lo
	v_lshlrev_b64_e32 v[15:16], 2, v[15:16]
	v_add_co_u32 v21, vcc_lo, s8, v21
	global_load_b32 v1, v[7:8], off
	v_subrev_nc_u32_e32 v7, 20, v2
	v_mov_b32_e32 v8, v6
	s_wait_alu 0xfffd
	v_add_co_ci_u32_e64 v22, null, s9, v22, vcc_lo
	v_lshlrev_b64_e32 v[23:24], 2, v[2:3]
	s_delay_alu instid0(VALU_DEP_3) | instskip(NEXT) | instid1(VALU_DEP_1)
	v_lshlrev_b64_e32 v[7:8], 2, v[7:8]
	v_add_co_u32 v7, vcc_lo, s8, v7
	s_wait_alu 0xfffd
	s_delay_alu instid0(VALU_DEP_2)
	v_add_co_ci_u32_e64 v8, null, s9, v8, vcc_lo
	v_add_co_u32 v25, vcc_lo, s8, v15
	s_wait_alu 0xfffd
	v_add_co_ci_u32_e64 v26, null, s9, v16, vcc_lo
	s_wait_loadcnt 0x0
	v_subrev_nc_u32_e32 v1, s16, v1
	s_delay_alu instid0(VALU_DEP_1) | instskip(NEXT) | instid1(VALU_DEP_1)
	v_mul_lo_u32 v19, v1, 7
	v_dual_mov_b32 v18, v6 :: v_dual_add_nc_u32 v5, 1, v19
	s_delay_alu instid0(VALU_DEP_1) | instskip(NEXT) | instid1(VALU_DEP_1)
	v_lshlrev_b64_e32 v[17:18], 2, v[17:18]
	v_add_co_u32 v27, vcc_lo, s8, v17
	s_wait_alu 0xfffd
	s_delay_alu instid0(VALU_DEP_2)
	v_add_co_ci_u32_e64 v28, null, s9, v18, vcc_lo
	s_clause 0x3
	global_load_b128 v[15:18], v[21:22], off
	global_load_b32 v3, v[7:8], off
	global_load_b32 v29, v[25:26], off
	;; [unrolled: 1-line block ×3, first 2 shown]
	v_lshlrev_b64_e32 v[7:8], 2, v[19:20]
	v_add_co_u32 v23, vcc_lo, s8, v23
	s_wait_alu 0xfffd
	v_add_co_ci_u32_e64 v24, null, s9, v24, vcc_lo
	v_lshlrev_b64_e32 v[20:21], 2, v[5:6]
	s_delay_alu instid0(VALU_DEP_4)
	v_add_co_u32 v7, vcc_lo, s10, v7
	s_wait_alu 0xfffd
	v_add_co_ci_u32_e64 v8, null, s11, v8, vcc_lo
	v_subrev_nc_u32_e32 v5, 19, v2
	global_load_b32 v1, v[7:8], off
	v_add_co_u32 v7, vcc_lo, s10, v20
	s_wait_alu 0xfffd
	v_add_co_ci_u32_e64 v8, null, s11, v21, vcc_lo
	v_lshlrev_b64_e32 v[25:26], 2, v[5:6]
	v_add_nc_u32_e32 v5, -12, v2
	global_load_b32 v28, v[7:8], off
	v_add_co_u32 v25, vcc_lo, s8, v25
	s_wait_alu 0xfffd
	v_add_co_ci_u32_e64 v26, null, s9, v26, vcc_lo
	global_load_b32 v30, v[25:26], off
	s_wait_loadcnt 0x2
	v_fmac_f32_e32 v10, v15, v1
	v_lshlrev_b64_e32 v[20:21], 2, v[5:6]
	v_dual_fmac_f32 v12, v29, v1 :: v_dual_add_nc_u32 v5, -5, v2
	v_fmac_f32_e32 v13, v3, v1
	v_fmac_f32_e32 v11, v27, v1
	s_delay_alu instid0(VALU_DEP_4)
	v_add_co_u32 v20, vcc_lo, s8, v20
	s_wait_alu 0xfffd
	v_add_co_ci_u32_e64 v21, null, s9, v21, vcc_lo
	v_lshlrev_b64_e32 v[7:8], 2, v[5:6]
	s_wait_loadcnt 0x1
	v_dual_fmac_f32 v10, v16, v28 :: v_dual_add_nc_u32 v5, 2, v19
	global_load_b32 v31, v[20:21], off
	v_add_co_u32 v7, vcc_lo, s8, v7
	v_lshlrev_b64_e32 v[25:26], 2, v[5:6]
	s_wait_alu 0xfffd
	v_add_co_ci_u32_e64 v8, null, s9, v8, vcc_lo
	v_subrev_nc_u32_e32 v5, 18, v2
	global_load_b32 v32, v[7:8], off
	v_add_co_u32 v7, vcc_lo, s10, v25
	s_wait_alu 0xfffd
	v_add_co_ci_u32_e64 v8, null, s11, v26, vcc_lo
	v_lshlrev_b64_e32 v[20:21], 2, v[5:6]
	v_add_nc_u32_e32 v5, -11, v2
	global_load_b32 v33, v[7:8], off
	v_add_co_u32 v20, vcc_lo, s8, v20
	s_wait_alu 0xfffd
	v_add_co_ci_u32_e64 v21, null, s9, v21, vcc_lo
	global_load_b32 v34, v[20:21], off
	s_wait_loadcnt 0x3
	v_fmac_f32_e32 v12, v31, v28
	v_lshlrev_b64_e32 v[25:26], 2, v[5:6]
	v_add_nc_u32_e32 v5, -4, v2
	s_delay_alu instid0(VALU_DEP_2) | instskip(SKIP_1) | instid1(VALU_DEP_3)
	v_add_co_u32 v20, vcc_lo, s8, v25
	s_wait_alu 0xfffd
	v_add_co_ci_u32_e64 v21, null, s9, v26, vcc_lo
	global_load_b32 v35, v[20:21], off
	s_wait_loadcnt 0x2
	v_fmac_f32_e32 v10, v17, v33
	v_lshlrev_b64_e32 v[7:8], 2, v[5:6]
	s_delay_alu instid0(VALU_DEP_1) | instskip(SKIP_1) | instid1(VALU_DEP_2)
	v_add_co_u32 v7, vcc_lo, s8, v7
	s_wait_alu 0xfffd
	v_add_co_ci_u32_e64 v8, null, s9, v8, vcc_lo
	global_load_b32 v36, v[7:8], off
	s_wait_loadcnt 0x1
	v_dual_fmac_f32 v12, v35, v33 :: v_dual_add_nc_u32 v5, 3, v19
	s_delay_alu instid0(VALU_DEP_1) | instskip(SKIP_1) | instid1(VALU_DEP_2)
	v_lshlrev_b64_e32 v[25:26], 2, v[5:6]
	v_subrev_nc_u32_e32 v5, 17, v2
	v_add_co_u32 v7, vcc_lo, s10, v25
	s_wait_alu 0xfffd
	s_delay_alu instid0(VALU_DEP_3) | instskip(NEXT) | instid1(VALU_DEP_3)
	v_add_co_ci_u32_e64 v8, null, s11, v26, vcc_lo
	v_lshlrev_b64_e32 v[20:21], 2, v[5:6]
	global_load_b32 v37, v[7:8], off
	v_add_nc_u32_e32 v5, -10, v2
	v_add_co_u32 v20, vcc_lo, s8, v20
	s_wait_alu 0xfffd
	v_add_co_ci_u32_e64 v21, null, s9, v21, vcc_lo
	global_load_b32 v38, v[20:21], off
	s_wait_loadcnt 0x1
	v_fmac_f32_e32 v10, v18, v37
	v_lshlrev_b64_e32 v[25:26], 2, v[5:6]
	s_delay_alu instid0(VALU_DEP_1) | instskip(SKIP_1) | instid1(VALU_DEP_2)
	v_add_co_u32 v20, vcc_lo, s8, v25
	s_wait_alu 0xfffd
	v_add_co_ci_u32_e64 v21, null, s9, v26, vcc_lo
	global_load_b32 v39, v[20:21], off
	v_add_nc_u32_e32 v5, -3, v2
	s_delay_alu instid0(VALU_DEP_1) | instskip(SKIP_1) | instid1(VALU_DEP_2)
	v_lshlrev_b64_e32 v[7:8], 2, v[5:6]
	v_subrev_nc_u32_e32 v5, 23, v2
	v_add_co_u32 v7, vcc_lo, s8, v7
	s_delay_alu instid0(VALU_DEP_2) | instskip(SKIP_1) | instid1(VALU_DEP_4)
	v_lshlrev_b64_e32 v[25:26], 2, v[5:6]
	s_wait_alu 0xfffd
	v_add_co_ci_u32_e64 v8, null, s9, v8, vcc_lo
	global_load_b32 v40, v[7:8], off
	v_add_co_u32 v7, vcc_lo, s8, v25
	s_wait_alu 0xfffd
	v_add_co_ci_u32_e64 v8, null, s9, v26, vcc_lo
	global_load_b32 v41, v[7:8], off
	v_add_nc_u32_e32 v5, 4, v19
	s_delay_alu instid0(VALU_DEP_1) | instskip(NEXT) | instid1(VALU_DEP_1)
	v_lshlrev_b64_e32 v[20:21], 2, v[5:6]
	v_add_co_u32 v20, vcc_lo, s10, v20
	s_wait_alu 0xfffd
	s_delay_alu instid0(VALU_DEP_2)
	v_add_co_ci_u32_e64 v21, null, s11, v21, vcc_lo
	global_load_b32 v42, v[20:21], off
	s_wait_loadcnt 0x3
	v_fmac_f32_e32 v12, v39, v37
	s_wait_loadcnt 0x0
	v_fmac_f32_e32 v10, v41, v42
	v_add_nc_u32_e32 v5, -16, v2
	s_delay_alu instid0(VALU_DEP_1) | instskip(SKIP_1) | instid1(VALU_DEP_1)
	v_lshlrev_b64_e32 v[25:26], 2, v[5:6]
	v_add_nc_u32_e32 v5, -9, v2
	v_lshlrev_b64_e32 v[7:8], 2, v[5:6]
	s_delay_alu instid0(VALU_DEP_3) | instskip(SKIP_1) | instid1(VALU_DEP_4)
	v_add_co_u32 v20, vcc_lo, s8, v25
	s_wait_alu 0xfffd
	v_add_co_ci_u32_e64 v21, null, s9, v26, vcc_lo
	v_add_nc_u32_e32 v5, -2, v2
	s_delay_alu instid0(VALU_DEP_4)
	v_add_co_u32 v7, vcc_lo, s8, v7
	s_wait_alu 0xfffd
	v_add_co_ci_u32_e64 v8, null, s9, v8, vcc_lo
	global_load_b32 v43, v[20:21], off
	v_lshlrev_b64_e32 v[25:26], 2, v[5:6]
	v_subrev_nc_u32_e32 v5, 22, v2
	global_load_b32 v44, v[7:8], off
	v_lshlrev_b64_e32 v[20:21], 2, v[5:6]
	v_add_nc_u32_e32 v5, 5, v19
	v_add_co_u32 v7, vcc_lo, s8, v25
	s_wait_alu 0xfffd
	v_add_co_ci_u32_e64 v8, null, s9, v26, vcc_lo
	s_delay_alu instid0(VALU_DEP_4)
	v_add_co_u32 v20, vcc_lo, s8, v20
	s_wait_alu 0xfffd
	v_add_co_ci_u32_e64 v21, null, s9, v21, vcc_lo
	s_clause 0x1
	global_load_b32 v45, v[7:8], off
	global_load_b32 v46, v[20:21], off
	s_wait_loadcnt 0x2
	v_fmac_f32_e32 v12, v44, v42
	v_lshlrev_b64_e32 v[25:26], 2, v[5:6]
	v_add_nc_u32_e32 v5, -15, v2
	s_delay_alu instid0(VALU_DEP_1) | instskip(SKIP_1) | instid1(VALU_DEP_4)
	v_lshlrev_b64_e32 v[7:8], 2, v[5:6]
	v_add_nc_u32_e32 v5, -8, v2
	v_add_co_u32 v20, vcc_lo, s10, v25
	s_wait_alu 0xfffd
	v_add_co_ci_u32_e64 v21, null, s11, v26, vcc_lo
	s_delay_alu instid0(VALU_DEP_3)
	v_lshlrev_b64_e32 v[25:26], 2, v[5:6]
	v_add_nc_u32_e32 v5, -1, v2
	v_add_co_u32 v7, vcc_lo, s8, v7
	s_wait_alu 0xfffd
	v_add_co_ci_u32_e64 v8, null, s9, v8, vcc_lo
	global_load_b32 v47, v[20:21], off
	v_lshlrev_b64_e32 v[20:21], 2, v[5:6]
	v_subrev_nc_u32_e32 v5, 21, v2
	global_load_b32 v48, v[7:8], off
	v_add_co_u32 v7, vcc_lo, s8, v25
	s_wait_alu 0xfffd
	v_add_co_ci_u32_e64 v8, null, s9, v26, vcc_lo
	v_lshlrev_b64_e32 v[25:26], 2, v[5:6]
	v_add_nc_u32_e32 v5, 6, v19
	v_add_co_u32 v19, vcc_lo, s8, v20
	s_wait_alu 0xfffd
	v_add_co_ci_u32_e64 v20, null, s9, v21, vcc_lo
	s_clause 0x1
	global_load_b32 v49, v[7:8], off
	global_load_b32 v50, v[19:20], off
	v_lshlrev_b64_e32 v[7:8], 2, v[5:6]
	v_add_nc_u32_e32 v5, -14, v2
	v_add_co_u32 v19, vcc_lo, s8, v25
	s_wait_alu 0xfffd
	v_add_co_ci_u32_e64 v20, null, s9, v26, vcc_lo
	s_delay_alu instid0(VALU_DEP_3) | instskip(SKIP_4) | instid1(VALU_DEP_3)
	v_lshlrev_b64_e32 v[21:22], 2, v[5:6]
	v_add_nc_u32_e32 v5, -7, v2
	v_add_co_u32 v7, vcc_lo, s10, v7
	s_wait_alu 0xfffd
	v_add_co_ci_u32_e64 v8, null, s11, v8, vcc_lo
	v_lshlrev_b64_e32 v[25:26], 2, v[5:6]
	v_add_co_u32 v21, vcc_lo, s8, v21
	s_wait_alu 0xfffd
	v_add_co_ci_u32_e64 v22, null, s9, v22, vcc_lo
	v_add_nc_u32_e32 v2, 0x700, v2
	s_delay_alu instid0(VALU_DEP_4)
	v_add_co_u32 v25, vcc_lo, s8, v25
	s_wait_alu 0xfffd
	v_add_co_ci_u32_e64 v26, null, s9, v26, vcc_lo
	global_load_b32 v5, v[19:20], off
	global_load_b32 v7, v[7:8], off
	s_clause 0x2
	global_load_b32 v8, v[21:22], off
	global_load_b32 v19, v[25:26], off
	;; [unrolled: 1-line block ×3, first 2 shown]
	v_fmac_f32_e32 v11, v32, v28
	v_cmp_ge_i32_e32 vcc_lo, v0, v14
	s_delay_alu instid0(VALU_DEP_2) | instskip(SKIP_2) | instid1(VALU_DEP_1)
	v_fmac_f32_e32 v11, v36, v33
	s_wait_alu 0xfffe
	s_or_b32 s2, vcc_lo, s2
	v_fmac_f32_e32 v11, v40, v37
	s_wait_loadcnt 0x8
	s_delay_alu instid0(VALU_DEP_1) | instskip(SKIP_3) | instid1(VALU_DEP_2)
	v_dual_fmac_f32 v11, v45, v42 :: v_dual_fmac_f32 v10, v46, v47
	s_wait_loadcnt 0x6
	v_dual_fmac_f32 v13, v30, v28 :: v_dual_fmac_f32 v12, v49, v47
	s_wait_loadcnt 0x5
	v_fmac_f32_e32 v11, v50, v47
	s_wait_loadcnt 0x3
	s_delay_alu instid0(VALU_DEP_2)
	v_dual_fmac_f32 v10, v5, v7 :: v_dual_fmac_f32 v13, v34, v33
	s_wait_loadcnt 0x1
	v_fmac_f32_e32 v12, v19, v7
	s_wait_loadcnt 0x0
	v_fmac_f32_e32 v11, v20, v7
	v_fmac_f32_e32 v13, v38, v37
	s_delay_alu instid0(VALU_DEP_1) | instskip(NEXT) | instid1(VALU_DEP_1)
	v_fmac_f32_e32 v13, v43, v42
	v_fmac_f32_e32 v13, v48, v47
	s_delay_alu instid0(VALU_DEP_1)
	v_fmac_f32_e32 v13, v8, v7
	s_wait_alu 0xfffe
	s_and_not1_b32 exec_lo, exec_lo, s2
	s_cbranch_execnz .LBB29_15
; %bb.16:
	s_or_b32 exec_lo, exec_lo, s2
.LBB29_17:
	s_wait_alu 0xfffe
	s_or_b32 exec_lo, exec_lo, s3
.LBB29_18:
	v_mbcnt_lo_u32_b32 v0, -1, 0
	s_mov_b32 s2, -1
	s_delay_alu instid0(VALU_DEP_1) | instskip(SKIP_1) | instid1(VALU_DEP_2)
	v_or_b32_e32 v1, 32, v0
	v_xor_b32_e32 v6, 16, v0
	v_cmp_gt_i32_e32 vcc_lo, 32, v1
	s_wait_alu 0xfffd
	v_cndmask_b32_e32 v1, v0, v1, vcc_lo
	s_delay_alu instid0(VALU_DEP_3) | instskip(SKIP_2) | instid1(VALU_DEP_1)
	v_cmp_gt_i32_e32 vcc_lo, 32, v6
	s_wait_alu 0xfffd
	v_cndmask_b32_e32 v6, v0, v6, vcc_lo
	v_lshlrev_b32_e32 v6, 2, v6
	v_lshlrev_b32_e32 v1, 2, v1
	ds_bpermute_b32 v2, v1, v10
	s_wait_dscnt 0x0
	v_add_f32_e32 v2, v10, v2
	ds_bpermute_b32 v3, v1, v13
	ds_bpermute_b32 v5, v1, v12
	;; [unrolled: 1-line block ×4, first 2 shown]
	s_wait_dscnt 0x3
	v_add_f32_e32 v3, v13, v3
	s_wait_dscnt 0x0
	v_dual_add_f32 v5, v12, v5 :: v_dual_add_f32 v2, v2, v7
	v_add_f32_e32 v1, v11, v1
	ds_bpermute_b32 v8, v6, v3
	ds_bpermute_b32 v10, v6, v5
	v_xor_b32_e32 v11, 8, v0
	ds_bpermute_b32 v6, v6, v1
	v_cmp_gt_i32_e32 vcc_lo, 32, v11
	s_wait_alu 0xfffd
	v_cndmask_b32_e32 v11, v0, v11, vcc_lo
	s_delay_alu instid0(VALU_DEP_1)
	v_lshlrev_b32_e32 v11, 2, v11
	s_wait_dscnt 0x2
	v_add_f32_e32 v3, v3, v8
	s_wait_dscnt 0x1
	v_add_f32_e32 v5, v5, v10
	;; [unrolled: 2-line block ×3, first 2 shown]
	ds_bpermute_b32 v6, v11, v2
	ds_bpermute_b32 v7, v11, v3
	;; [unrolled: 1-line block ×4, first 2 shown]
	v_xor_b32_e32 v11, 4, v0
	s_delay_alu instid0(VALU_DEP_1) | instskip(SKIP_3) | instid1(VALU_DEP_1)
	v_cmp_gt_i32_e32 vcc_lo, 32, v11
	s_wait_alu 0xfffd
	v_cndmask_b32_e32 v11, v0, v11, vcc_lo
	s_wait_dscnt 0x3
	v_dual_add_f32 v2, v2, v6 :: v_dual_lshlrev_b32 v11, 2, v11
	s_wait_dscnt 0x2
	v_add_f32_e32 v3, v3, v7
	s_wait_dscnt 0x1
	v_add_f32_e32 v5, v5, v8
	;; [unrolled: 2-line block ×3, first 2 shown]
	ds_bpermute_b32 v6, v11, v2
	ds_bpermute_b32 v7, v11, v3
	;; [unrolled: 1-line block ×4, first 2 shown]
	v_xor_b32_e32 v11, 2, v0
	s_delay_alu instid0(VALU_DEP_1) | instskip(SKIP_3) | instid1(VALU_DEP_1)
	v_cmp_gt_i32_e32 vcc_lo, 32, v11
	s_wait_alu 0xfffd
	v_cndmask_b32_e32 v11, v0, v11, vcc_lo
	s_wait_dscnt 0x3
	v_dual_add_f32 v2, v2, v6 :: v_dual_lshlrev_b32 v11, 2, v11
	s_wait_dscnt 0x2
	v_add_f32_e32 v3, v3, v7
	s_wait_dscnt 0x1
	v_add_f32_e32 v5, v5, v8
	;; [unrolled: 2-line block ×3, first 2 shown]
	ds_bpermute_b32 v1, v11, v2
	ds_bpermute_b32 v7, v11, v3
	;; [unrolled: 1-line block ×4, first 2 shown]
	v_xor_b32_e32 v11, 1, v0
	s_delay_alu instid0(VALU_DEP_1) | instskip(SKIP_4) | instid1(VALU_DEP_2)
	v_cmp_gt_i32_e32 vcc_lo, 32, v11
	s_wait_alu 0xfffd
	v_cndmask_b32_e32 v0, v0, v11, vcc_lo
	v_cmp_eq_u32_e32 vcc_lo, 63, v9
	s_wait_dscnt 0x3
	v_dual_add_f32 v0, v2, v1 :: v_dual_lshlrev_b32 v11, 2, v0
	s_wait_dscnt 0x1
	v_dual_add_f32 v1, v3, v7 :: v_dual_add_f32 v2, v5, v8
	s_wait_dscnt 0x0
	v_add_f32_e32 v3, v6, v10
	ds_bpermute_b32 v5, v11, v0
	ds_bpermute_b32 v6, v11, v1
	ds_bpermute_b32 v7, v11, v2
	ds_bpermute_b32 v8, v11, v3
	s_and_b32 exec_lo, exec_lo, vcc_lo
	s_cbranch_execz .LBB29_23
; %bb.19:
	s_load_b64 s[0:1], s[0:1], 0x38
	s_wait_dscnt 0x2
	v_dual_add_f32 v0, v0, v5 :: v_dual_add_f32 v1, v1, v6
	s_wait_dscnt 0x0
	v_dual_add_f32 v2, v2, v7 :: v_dual_add_f32 v3, v3, v8
	v_lshlrev_b32_e32 v4, 2, v4
	s_delay_alu instid0(VALU_DEP_3) | instskip(NEXT) | instid1(VALU_DEP_3)
	v_dual_mul_f32 v0, s14, v0 :: v_dual_mul_f32 v1, s14, v1
	v_dual_mul_f32 v2, s14, v2 :: v_dual_mul_f32 v3, s14, v3
	s_cmp_eq_f32 s12, 0
	s_cbranch_scc0 .LBB29_21
; %bb.20:
	v_ashrrev_i32_e32 v5, 31, v4
	s_mov_b32 s2, 0
	s_delay_alu instid0(VALU_DEP_1) | instskip(SKIP_1) | instid1(VALU_DEP_1)
	v_lshlrev_b64_e32 v[5:6], 2, v[4:5]
	s_wait_kmcnt 0x0
	v_add_co_u32 v5, vcc_lo, s0, v5
	s_wait_alu 0xfffd
	s_delay_alu instid0(VALU_DEP_2)
	v_add_co_ci_u32_e64 v6, null, s1, v6, vcc_lo
	global_store_b128 v[5:6], v[0:3], off
.LBB29_21:
	s_wait_alu 0xfffe
	s_and_not1_b32 vcc_lo, exec_lo, s2
	s_wait_alu 0xfffe
	s_cbranch_vccnz .LBB29_23
; %bb.22:
	v_ashrrev_i32_e32 v5, 31, v4
	s_delay_alu instid0(VALU_DEP_1) | instskip(SKIP_1) | instid1(VALU_DEP_1)
	v_lshlrev_b64_e32 v[4:5], 2, v[4:5]
	s_wait_kmcnt 0x0
	v_add_co_u32 v8, vcc_lo, s0, v4
	s_wait_alu 0xfffd
	s_delay_alu instid0(VALU_DEP_2)
	v_add_co_ci_u32_e64 v9, null, s1, v5, vcc_lo
	global_load_b128 v[4:7], v[8:9], off
	s_wait_loadcnt 0x0
	v_dual_fmac_f32 v0, s12, v4 :: v_dual_fmac_f32 v1, s12, v5
	v_dual_fmac_f32 v2, s12, v6 :: v_dual_fmac_f32 v3, s12, v7
	global_store_b128 v[8:9], v[0:3], off
.LBB29_23:
	s_endpgm
	.section	.rodata,"a",@progbits
	.p2align	6, 0x0
	.amdhsa_kernel _ZN9rocsparseL19gebsrmvn_4xn_kernelILj128ELj7ELj64EfEEvi20rocsparse_direction_NS_24const_host_device_scalarIT2_EEPKiS6_PKS3_S8_S4_PS3_21rocsparse_index_base_b
		.amdhsa_group_segment_fixed_size 0
		.amdhsa_private_segment_fixed_size 0
		.amdhsa_kernarg_size 72
		.amdhsa_user_sgpr_count 2
		.amdhsa_user_sgpr_dispatch_ptr 0
		.amdhsa_user_sgpr_queue_ptr 0
		.amdhsa_user_sgpr_kernarg_segment_ptr 1
		.amdhsa_user_sgpr_dispatch_id 0
		.amdhsa_user_sgpr_private_segment_size 0
		.amdhsa_wavefront_size32 1
		.amdhsa_uses_dynamic_stack 0
		.amdhsa_enable_private_segment 0
		.amdhsa_system_sgpr_workgroup_id_x 1
		.amdhsa_system_sgpr_workgroup_id_y 0
		.amdhsa_system_sgpr_workgroup_id_z 0
		.amdhsa_system_sgpr_workgroup_info 0
		.amdhsa_system_vgpr_workitem_id 0
		.amdhsa_next_free_vgpr 51
		.amdhsa_next_free_sgpr 18
		.amdhsa_reserve_vcc 1
		.amdhsa_float_round_mode_32 0
		.amdhsa_float_round_mode_16_64 0
		.amdhsa_float_denorm_mode_32 3
		.amdhsa_float_denorm_mode_16_64 3
		.amdhsa_fp16_overflow 0
		.amdhsa_workgroup_processor_mode 1
		.amdhsa_memory_ordered 1
		.amdhsa_forward_progress 1
		.amdhsa_inst_pref_size 29
		.amdhsa_round_robin_scheduling 0
		.amdhsa_exception_fp_ieee_invalid_op 0
		.amdhsa_exception_fp_denorm_src 0
		.amdhsa_exception_fp_ieee_div_zero 0
		.amdhsa_exception_fp_ieee_overflow 0
		.amdhsa_exception_fp_ieee_underflow 0
		.amdhsa_exception_fp_ieee_inexact 0
		.amdhsa_exception_int_div_zero 0
	.end_amdhsa_kernel
	.section	.text._ZN9rocsparseL19gebsrmvn_4xn_kernelILj128ELj7ELj64EfEEvi20rocsparse_direction_NS_24const_host_device_scalarIT2_EEPKiS6_PKS3_S8_S4_PS3_21rocsparse_index_base_b,"axG",@progbits,_ZN9rocsparseL19gebsrmvn_4xn_kernelILj128ELj7ELj64EfEEvi20rocsparse_direction_NS_24const_host_device_scalarIT2_EEPKiS6_PKS3_S8_S4_PS3_21rocsparse_index_base_b,comdat
.Lfunc_end29:
	.size	_ZN9rocsparseL19gebsrmvn_4xn_kernelILj128ELj7ELj64EfEEvi20rocsparse_direction_NS_24const_host_device_scalarIT2_EEPKiS6_PKS3_S8_S4_PS3_21rocsparse_index_base_b, .Lfunc_end29-_ZN9rocsparseL19gebsrmvn_4xn_kernelILj128ELj7ELj64EfEEvi20rocsparse_direction_NS_24const_host_device_scalarIT2_EEPKiS6_PKS3_S8_S4_PS3_21rocsparse_index_base_b
                                        ; -- End function
	.set _ZN9rocsparseL19gebsrmvn_4xn_kernelILj128ELj7ELj64EfEEvi20rocsparse_direction_NS_24const_host_device_scalarIT2_EEPKiS6_PKS3_S8_S4_PS3_21rocsparse_index_base_b.num_vgpr, 51
	.set _ZN9rocsparseL19gebsrmvn_4xn_kernelILj128ELj7ELj64EfEEvi20rocsparse_direction_NS_24const_host_device_scalarIT2_EEPKiS6_PKS3_S8_S4_PS3_21rocsparse_index_base_b.num_agpr, 0
	.set _ZN9rocsparseL19gebsrmvn_4xn_kernelILj128ELj7ELj64EfEEvi20rocsparse_direction_NS_24const_host_device_scalarIT2_EEPKiS6_PKS3_S8_S4_PS3_21rocsparse_index_base_b.numbered_sgpr, 18
	.set _ZN9rocsparseL19gebsrmvn_4xn_kernelILj128ELj7ELj64EfEEvi20rocsparse_direction_NS_24const_host_device_scalarIT2_EEPKiS6_PKS3_S8_S4_PS3_21rocsparse_index_base_b.num_named_barrier, 0
	.set _ZN9rocsparseL19gebsrmvn_4xn_kernelILj128ELj7ELj64EfEEvi20rocsparse_direction_NS_24const_host_device_scalarIT2_EEPKiS6_PKS3_S8_S4_PS3_21rocsparse_index_base_b.private_seg_size, 0
	.set _ZN9rocsparseL19gebsrmvn_4xn_kernelILj128ELj7ELj64EfEEvi20rocsparse_direction_NS_24const_host_device_scalarIT2_EEPKiS6_PKS3_S8_S4_PS3_21rocsparse_index_base_b.uses_vcc, 1
	.set _ZN9rocsparseL19gebsrmvn_4xn_kernelILj128ELj7ELj64EfEEvi20rocsparse_direction_NS_24const_host_device_scalarIT2_EEPKiS6_PKS3_S8_S4_PS3_21rocsparse_index_base_b.uses_flat_scratch, 0
	.set _ZN9rocsparseL19gebsrmvn_4xn_kernelILj128ELj7ELj64EfEEvi20rocsparse_direction_NS_24const_host_device_scalarIT2_EEPKiS6_PKS3_S8_S4_PS3_21rocsparse_index_base_b.has_dyn_sized_stack, 0
	.set _ZN9rocsparseL19gebsrmvn_4xn_kernelILj128ELj7ELj64EfEEvi20rocsparse_direction_NS_24const_host_device_scalarIT2_EEPKiS6_PKS3_S8_S4_PS3_21rocsparse_index_base_b.has_recursion, 0
	.set _ZN9rocsparseL19gebsrmvn_4xn_kernelILj128ELj7ELj64EfEEvi20rocsparse_direction_NS_24const_host_device_scalarIT2_EEPKiS6_PKS3_S8_S4_PS3_21rocsparse_index_base_b.has_indirect_call, 0
	.section	.AMDGPU.csdata,"",@progbits
; Kernel info:
; codeLenInByte = 3708
; TotalNumSgprs: 20
; NumVgprs: 51
; ScratchSize: 0
; MemoryBound: 0
; FloatMode: 240
; IeeeMode: 1
; LDSByteSize: 0 bytes/workgroup (compile time only)
; SGPRBlocks: 0
; VGPRBlocks: 6
; NumSGPRsForWavesPerEU: 20
; NumVGPRsForWavesPerEU: 51
; Occupancy: 16
; WaveLimiterHint : 1
; COMPUTE_PGM_RSRC2:SCRATCH_EN: 0
; COMPUTE_PGM_RSRC2:USER_SGPR: 2
; COMPUTE_PGM_RSRC2:TRAP_HANDLER: 0
; COMPUTE_PGM_RSRC2:TGID_X_EN: 1
; COMPUTE_PGM_RSRC2:TGID_Y_EN: 0
; COMPUTE_PGM_RSRC2:TGID_Z_EN: 0
; COMPUTE_PGM_RSRC2:TIDIG_COMP_CNT: 0
	.section	.text._ZN9rocsparseL19gebsrmvn_4xn_kernelILj128ELj8ELj4EfEEvi20rocsparse_direction_NS_24const_host_device_scalarIT2_EEPKiS6_PKS3_S8_S4_PS3_21rocsparse_index_base_b,"axG",@progbits,_ZN9rocsparseL19gebsrmvn_4xn_kernelILj128ELj8ELj4EfEEvi20rocsparse_direction_NS_24const_host_device_scalarIT2_EEPKiS6_PKS3_S8_S4_PS3_21rocsparse_index_base_b,comdat
	.globl	_ZN9rocsparseL19gebsrmvn_4xn_kernelILj128ELj8ELj4EfEEvi20rocsparse_direction_NS_24const_host_device_scalarIT2_EEPKiS6_PKS3_S8_S4_PS3_21rocsparse_index_base_b ; -- Begin function _ZN9rocsparseL19gebsrmvn_4xn_kernelILj128ELj8ELj4EfEEvi20rocsparse_direction_NS_24const_host_device_scalarIT2_EEPKiS6_PKS3_S8_S4_PS3_21rocsparse_index_base_b
	.p2align	8
	.type	_ZN9rocsparseL19gebsrmvn_4xn_kernelILj128ELj8ELj4EfEEvi20rocsparse_direction_NS_24const_host_device_scalarIT2_EEPKiS6_PKS3_S8_S4_PS3_21rocsparse_index_base_b,@function
_ZN9rocsparseL19gebsrmvn_4xn_kernelILj128ELj8ELj4EfEEvi20rocsparse_direction_NS_24const_host_device_scalarIT2_EEPKiS6_PKS3_S8_S4_PS3_21rocsparse_index_base_b: ; @_ZN9rocsparseL19gebsrmvn_4xn_kernelILj128ELj8ELj4EfEEvi20rocsparse_direction_NS_24const_host_device_scalarIT2_EEPKiS6_PKS3_S8_S4_PS3_21rocsparse_index_base_b
; %bb.0:
	s_clause 0x2
	s_load_b64 s[16:17], s[0:1], 0x40
	s_load_b64 s[14:15], s[0:1], 0x8
	;; [unrolled: 1-line block ×3, first 2 shown]
	s_wait_kmcnt 0x0
	s_bitcmp1_b32 s17, 0
	s_cselect_b32 s2, -1, 0
	s_delay_alu instid0(SALU_CYCLE_1)
	s_and_b32 vcc_lo, exec_lo, s2
	s_xor_b32 s2, s2, -1
	s_cbranch_vccnz .LBB30_2
; %bb.1:
	s_load_b32 s14, s[14:15], 0x0
.LBB30_2:
	s_and_not1_b32 vcc_lo, exec_lo, s2
	s_cbranch_vccnz .LBB30_4
; %bb.3:
	s_load_b32 s12, s[12:13], 0x0
.LBB30_4:
	s_wait_kmcnt 0x0
	s_cmp_eq_f32 s14, 0
	s_cselect_b32 s2, -1, 0
	s_cmp_eq_f32 s12, 1.0
	s_cselect_b32 s3, -1, 0
	s_delay_alu instid0(SALU_CYCLE_1) | instskip(NEXT) | instid1(SALU_CYCLE_1)
	s_and_b32 s2, s2, s3
	s_and_b32 vcc_lo, exec_lo, s2
	s_cbranch_vccnz .LBB30_23
; %bb.5:
	s_load_b64 s[2:3], s[0:1], 0x0
	v_lshrrev_b32_e32 v1, 2, v0
	s_delay_alu instid0(VALU_DEP_1) | instskip(SKIP_1) | instid1(VALU_DEP_1)
	v_lshl_or_b32 v4, ttmp9, 5, v1
	s_wait_kmcnt 0x0
	v_cmp_gt_i32_e32 vcc_lo, s2, v4
	s_and_saveexec_b32 s2, vcc_lo
	s_cbranch_execz .LBB30_23
; %bb.6:
	s_load_b256 s[4:11], s[0:1], 0x10
	v_ashrrev_i32_e32 v5, 31, v4
	v_and_b32_e32 v7, 3, v0
	s_cmp_lg_u32 s3, 0
	s_delay_alu instid0(VALU_DEP_2) | instskip(SKIP_1) | instid1(VALU_DEP_1)
	v_lshlrev_b64_e32 v[1:2], 2, v[4:5]
	s_wait_kmcnt 0x0
	v_add_co_u32 v1, vcc_lo, s4, v1
	s_delay_alu instid0(VALU_DEP_1) | instskip(SKIP_4) | instid1(VALU_DEP_2)
	v_add_co_ci_u32_e64 v2, null, s5, v2, vcc_lo
	global_load_b64 v[1:2], v[1:2], off
	s_wait_loadcnt 0x0
	v_subrev_nc_u32_e32 v0, s16, v1
	v_subrev_nc_u32_e32 v12, s16, v2
	v_add_nc_u32_e32 v0, v0, v7
	s_delay_alu instid0(VALU_DEP_1)
	v_cmp_lt_i32_e64 s2, v0, v12
	s_cbranch_scc0 .LBB30_12
; %bb.7:
	v_dual_mov_b32 v8, 0 :: v_dual_mov_b32 v9, 0
	v_dual_mov_b32 v10, 0 :: v_dual_mov_b32 v11, 0
	s_and_saveexec_b32 s3, s2
	s_cbranch_execz .LBB30_11
; %bb.8:
	v_dual_mov_b32 v2, 0 :: v_dual_lshlrev_b32 v1, 5, v0
	v_mov_b32_e32 v5, v0
	s_mov_b32 s4, 0
	s_delay_alu instid0(VALU_DEP_2)
	v_dual_mov_b32 v8, v2 :: v_dual_mov_b32 v9, v2
	v_dual_mov_b32 v10, v2 :: v_dual_mov_b32 v11, v2
.LBB30_9:                               ; =>This Inner Loop Header: Depth=1
	s_delay_alu instid0(VALU_DEP_3) | instskip(NEXT) | instid1(VALU_DEP_1)
	v_ashrrev_i32_e32 v6, 31, v5
	v_lshlrev_b64_e32 v[13:14], 2, v[5:6]
	s_delay_alu instid0(VALU_DEP_1) | instskip(SKIP_1) | instid1(VALU_DEP_2)
	v_add_co_u32 v13, vcc_lo, s6, v13
	s_wait_alu 0xfffd
	v_add_co_ci_u32_e64 v14, null, s7, v14, vcc_lo
	global_load_b32 v3, v[13:14], off
	v_lshlrev_b64_e32 v[13:14], 2, v[1:2]
	s_delay_alu instid0(VALU_DEP_1) | instskip(SKIP_1) | instid1(VALU_DEP_2)
	v_add_co_u32 v49, vcc_lo, s8, v13
	s_wait_alu 0xfffd
	v_add_co_ci_u32_e64 v50, null, s9, v14, vcc_lo
	global_load_b128 v[13:16], v[49:50], off offset:16
	s_wait_loadcnt 0x1
	v_subrev_nc_u32_e32 v3, s16, v3
	s_delay_alu instid0(VALU_DEP_1) | instskip(NEXT) | instid1(VALU_DEP_1)
	v_dual_mov_b32 v18, v2 :: v_dual_lshlrev_b32 v17, 3, v3
	v_lshlrev_b64_e32 v[17:18], 2, v[17:18]
	s_delay_alu instid0(VALU_DEP_1) | instskip(SKIP_1) | instid1(VALU_DEP_2)
	v_add_co_u32 v25, vcc_lo, s10, v17
	s_wait_alu 0xfffd
	v_add_co_ci_u32_e64 v26, null, s11, v18, vcc_lo
	global_load_b128 v[17:20], v[49:50], off
	s_clause 0x1
	global_load_b128 v[21:24], v[25:26], off
	global_load_b128 v[25:28], v[25:26], off offset:16
	s_clause 0x5
	global_load_b128 v[29:32], v[49:50], off offset:32
	global_load_b128 v[33:36], v[49:50], off offset:48
	;; [unrolled: 1-line block ×6, first 2 shown]
	s_wait_loadcnt 0x7
	v_fmac_f32_e32 v11, v18, v21
	v_fmac_f32_e32 v8, v17, v21
	;; [unrolled: 1-line block ×3, first 2 shown]
	s_delay_alu instid0(VALU_DEP_3) | instskip(NEXT) | instid1(VALU_DEP_3)
	v_dual_fmac_f32 v10, v19, v21 :: v_dual_fmac_f32 v11, v14, v22
	v_fmac_f32_e32 v8, v13, v22
	s_delay_alu instid0(VALU_DEP_3) | instskip(SKIP_1) | instid1(VALU_DEP_3)
	v_fmac_f32_e32 v9, v16, v22
	s_wait_loadcnt 0x5
	v_dual_fmac_f32 v10, v15, v22 :: v_dual_fmac_f32 v11, v30, v23
	s_delay_alu instid0(VALU_DEP_3) | instskip(NEXT) | instid1(VALU_DEP_3)
	v_fmac_f32_e32 v8, v29, v23
	v_fmac_f32_e32 v9, v32, v23
	s_wait_loadcnt 0x4
	s_delay_alu instid0(VALU_DEP_3) | instskip(NEXT) | instid1(VALU_DEP_3)
	v_dual_fmac_f32 v10, v31, v23 :: v_dual_fmac_f32 v11, v34, v24
	v_fmac_f32_e32 v8, v33, v24
	s_delay_alu instid0(VALU_DEP_3) | instskip(SKIP_1) | instid1(VALU_DEP_3)
	v_fmac_f32_e32 v9, v36, v24
	s_wait_loadcnt 0x3
	v_dual_fmac_f32 v10, v35, v24 :: v_dual_fmac_f32 v11, v38, v25
	s_delay_alu instid0(VALU_DEP_3) | instskip(NEXT) | instid1(VALU_DEP_3)
	v_fmac_f32_e32 v8, v37, v25
	v_fmac_f32_e32 v9, v40, v25
	s_wait_loadcnt 0x2
	s_delay_alu instid0(VALU_DEP_3) | instskip(NEXT) | instid1(VALU_DEP_3)
	v_dual_fmac_f32 v10, v39, v25 :: v_dual_fmac_f32 v11, v42, v26
	v_fmac_f32_e32 v8, v41, v26
	s_delay_alu instid0(VALU_DEP_3) | instskip(NEXT) | instid1(VALU_DEP_3)
	v_fmac_f32_e32 v9, v44, v26
	v_dual_fmac_f32 v10, v43, v26 :: v_dual_add_nc_u32 v5, 4, v5
	s_wait_loadcnt 0x1
	s_delay_alu instid0(VALU_DEP_3) | instskip(SKIP_1) | instid1(VALU_DEP_3)
	v_dual_fmac_f32 v8, v45, v27 :: v_dual_add_nc_u32 v1, 0x80, v1
	v_fmac_f32_e32 v11, v46, v27
	v_fmac_f32_e32 v10, v47, v27
	;; [unrolled: 1-line block ×3, first 2 shown]
	v_cmp_ge_i32_e32 vcc_lo, v5, v12
	s_wait_loadcnt 0x0
	v_fmac_f32_e32 v8, v49, v28
	v_fmac_f32_e32 v11, v50, v28
	;; [unrolled: 1-line block ×4, first 2 shown]
	s_wait_alu 0xfffe
	s_or_b32 s4, vcc_lo, s4
	s_wait_alu 0xfffe
	s_and_not1_b32 exec_lo, exec_lo, s4
	s_cbranch_execnz .LBB30_9
; %bb.10:
	s_or_b32 exec_lo, exec_lo, s4
.LBB30_11:
	s_wait_alu 0xfffe
	s_or_b32 exec_lo, exec_lo, s3
	s_cbranch_execz .LBB30_13
	s_branch .LBB30_18
.LBB30_12:
                                        ; implicit-def: $vgpr8
                                        ; implicit-def: $vgpr9
                                        ; implicit-def: $vgpr10
                                        ; implicit-def: $vgpr11
.LBB30_13:
	v_dual_mov_b32 v8, 0 :: v_dual_mov_b32 v9, 0
	v_dual_mov_b32 v10, 0 :: v_dual_mov_b32 v11, 0
	s_and_saveexec_b32 s3, s2
	s_cbranch_execz .LBB30_17
; %bb.14:
	v_dual_mov_b32 v3, 0 :: v_dual_lshlrev_b32 v2, 5, v0
	s_mov_b32 s2, 0
	s_delay_alu instid0(VALU_DEP_1)
	v_dual_mov_b32 v8, v3 :: v_dual_mov_b32 v9, v3
	v_dual_mov_b32 v10, v3 :: v_dual_mov_b32 v11, v3
.LBB30_15:                              ; =>This Inner Loop Header: Depth=1
	v_ashrrev_i32_e32 v1, 31, v0
	s_delay_alu instid0(VALU_DEP_1) | instskip(NEXT) | instid1(VALU_DEP_1)
	v_lshlrev_b64_e32 v[5:6], 2, v[0:1]
	v_add_co_u32 v5, vcc_lo, s6, v5
	s_wait_alu 0xfffd
	s_delay_alu instid0(VALU_DEP_2) | instskip(SKIP_3) | instid1(VALU_DEP_2)
	v_add_co_ci_u32_e64 v6, null, s7, v6, vcc_lo
	global_load_b32 v1, v[5:6], off
	v_lshlrev_b64_e32 v[5:6], 2, v[2:3]
	v_add_nc_u32_e32 v2, 0x80, v2
	v_add_co_u32 v5, vcc_lo, s8, v5
	s_wait_alu 0xfffd
	s_delay_alu instid0(VALU_DEP_3)
	v_add_co_ci_u32_e64 v6, null, s9, v6, vcc_lo
	s_clause 0x6
	global_load_b128 v[13:16], v[5:6], off offset:48
	global_load_b128 v[17:20], v[5:6], off offset:32
	;; [unrolled: 1-line block ×3, first 2 shown]
	global_load_b128 v[25:28], v[5:6], off
	global_load_b128 v[29:32], v[5:6], off offset:80
	global_load_b128 v[33:36], v[5:6], off offset:112
	;; [unrolled: 1-line block ×3, first 2 shown]
	s_wait_loadcnt 0x7
	v_subrev_nc_u32_e32 v1, s16, v1
	s_delay_alu instid0(VALU_DEP_1) | instskip(NEXT) | instid1(VALU_DEP_1)
	v_dual_mov_b32 v42, v3 :: v_dual_lshlrev_b32 v41, 3, v1
	v_lshlrev_b64_e32 v[41:42], 2, v[41:42]
	s_delay_alu instid0(VALU_DEP_1) | instskip(SKIP_1) | instid1(VALU_DEP_2)
	v_add_co_u32 v49, vcc_lo, s10, v41
	s_wait_alu 0xfffd
	v_add_co_ci_u32_e64 v50, null, s11, v42, vcc_lo
	global_load_b128 v[41:44], v[5:6], off offset:64
	s_clause 0x1
	global_load_b128 v[45:48], v[49:50], off
	global_load_b128 v[49:52], v[49:50], off offset:16
	s_wait_loadcnt 0x1
	v_fmac_f32_e32 v11, v17, v45
	v_fmac_f32_e32 v8, v25, v45
	v_fmac_f32_e32 v9, v37, v45
	s_delay_alu instid0(VALU_DEP_3) | instskip(NEXT) | instid1(VALU_DEP_3)
	v_dual_fmac_f32 v10, v41, v45 :: v_dual_fmac_f32 v11, v18, v46
	v_fmac_f32_e32 v8, v26, v46
	s_delay_alu instid0(VALU_DEP_3) | instskip(NEXT) | instid1(VALU_DEP_3)
	v_fmac_f32_e32 v9, v38, v46
	v_dual_fmac_f32 v10, v42, v46 :: v_dual_fmac_f32 v11, v19, v47
	s_delay_alu instid0(VALU_DEP_3) | instskip(NEXT) | instid1(VALU_DEP_3)
	v_fmac_f32_e32 v8, v27, v47
	v_fmac_f32_e32 v9, v39, v47
	s_delay_alu instid0(VALU_DEP_3) | instskip(NEXT) | instid1(VALU_DEP_3)
	v_dual_fmac_f32 v10, v43, v47 :: v_dual_fmac_f32 v11, v20, v48
	v_fmac_f32_e32 v8, v28, v48
	s_delay_alu instid0(VALU_DEP_3) | instskip(SKIP_1) | instid1(VALU_DEP_3)
	v_fmac_f32_e32 v9, v40, v48
	s_wait_loadcnt 0x0
	v_dual_fmac_f32 v10, v44, v48 :: v_dual_fmac_f32 v11, v13, v49
	s_delay_alu instid0(VALU_DEP_1) | instskip(NEXT) | instid1(VALU_DEP_1)
	v_dual_fmac_f32 v8, v21, v49 :: v_dual_fmac_f32 v11, v14, v50
	v_dual_fmac_f32 v9, v33, v49 :: v_dual_fmac_f32 v8, v22, v50
	s_delay_alu instid0(VALU_DEP_2) | instskip(NEXT) | instid1(VALU_DEP_2)
	v_dual_fmac_f32 v10, v29, v49 :: v_dual_fmac_f32 v11, v15, v51
	v_dual_fmac_f32 v9, v34, v50 :: v_dual_add_nc_u32 v0, 4, v0
	s_delay_alu instid0(VALU_DEP_2) | instskip(NEXT) | instid1(VALU_DEP_3)
	v_fmac_f32_e32 v10, v30, v50
	v_dual_fmac_f32 v8, v23, v51 :: v_dual_fmac_f32 v11, v16, v52
	s_delay_alu instid0(VALU_DEP_3) | instskip(NEXT) | instid1(VALU_DEP_4)
	v_fmac_f32_e32 v9, v35, v51
	v_cmp_ge_i32_e32 vcc_lo, v0, v12
	s_delay_alu instid0(VALU_DEP_4) | instskip(NEXT) | instid1(VALU_DEP_4)
	v_fmac_f32_e32 v10, v31, v51
	v_fmac_f32_e32 v8, v24, v52
	s_delay_alu instid0(VALU_DEP_4)
	v_fmac_f32_e32 v9, v36, v52
	s_wait_alu 0xfffe
	s_or_b32 s2, vcc_lo, s2
	v_fmac_f32_e32 v10, v32, v52
	s_wait_alu 0xfffe
	s_and_not1_b32 exec_lo, exec_lo, s2
	s_cbranch_execnz .LBB30_15
; %bb.16:
	s_or_b32 exec_lo, exec_lo, s2
.LBB30_17:
	s_wait_alu 0xfffe
	s_or_b32 exec_lo, exec_lo, s3
.LBB30_18:
	v_mbcnt_lo_u32_b32 v0, -1, 0
	s_mov_b32 s2, -1
	s_delay_alu instid0(VALU_DEP_1) | instskip(NEXT) | instid1(VALU_DEP_1)
	v_xor_b32_e32 v1, 2, v0
	v_cmp_gt_i32_e32 vcc_lo, 32, v1
	s_wait_alu 0xfffd
	v_cndmask_b32_e32 v1, v0, v1, vcc_lo
	s_delay_alu instid0(VALU_DEP_1)
	v_lshlrev_b32_e32 v1, 2, v1
	ds_bpermute_b32 v2, v1, v8
	ds_bpermute_b32 v3, v1, v11
	;; [unrolled: 1-line block ×4, first 2 shown]
	v_xor_b32_e32 v1, 1, v0
	s_delay_alu instid0(VALU_DEP_1) | instskip(SKIP_4) | instid1(VALU_DEP_2)
	v_cmp_gt_i32_e32 vcc_lo, 32, v1
	s_wait_alu 0xfffd
	v_cndmask_b32_e32 v0, v0, v1, vcc_lo
	v_cmp_eq_u32_e32 vcc_lo, 3, v7
	s_wait_dscnt 0x2
	v_dual_add_f32 v1, v11, v3 :: v_dual_lshlrev_b32 v12, 2, v0
	v_add_f32_e32 v0, v8, v2
	s_wait_dscnt 0x0
	v_dual_add_f32 v2, v10, v5 :: v_dual_add_f32 v3, v9, v6
	ds_bpermute_b32 v6, v12, v1
	ds_bpermute_b32 v5, v12, v0
	;; [unrolled: 1-line block ×4, first 2 shown]
	s_and_b32 exec_lo, exec_lo, vcc_lo
	s_cbranch_execz .LBB30_23
; %bb.19:
	s_load_b64 s[0:1], s[0:1], 0x38
	s_wait_dscnt 0x2
	v_dual_add_f32 v0, v0, v5 :: v_dual_add_f32 v1, v1, v6
	s_wait_dscnt 0x0
	v_dual_add_f32 v2, v2, v8 :: v_dual_add_f32 v3, v3, v9
	v_lshlrev_b32_e32 v4, 2, v4
	s_delay_alu instid0(VALU_DEP_3) | instskip(NEXT) | instid1(VALU_DEP_3)
	v_dual_mul_f32 v0, s14, v0 :: v_dual_mul_f32 v1, s14, v1
	v_dual_mul_f32 v2, s14, v2 :: v_dual_mul_f32 v3, s14, v3
	s_cmp_eq_f32 s12, 0
	s_cbranch_scc0 .LBB30_21
; %bb.20:
	v_ashrrev_i32_e32 v5, 31, v4
	s_mov_b32 s2, 0
	s_delay_alu instid0(VALU_DEP_1) | instskip(SKIP_1) | instid1(VALU_DEP_1)
	v_lshlrev_b64_e32 v[5:6], 2, v[4:5]
	s_wait_kmcnt 0x0
	v_add_co_u32 v5, vcc_lo, s0, v5
	s_wait_alu 0xfffd
	s_delay_alu instid0(VALU_DEP_2)
	v_add_co_ci_u32_e64 v6, null, s1, v6, vcc_lo
	global_store_b128 v[5:6], v[0:3], off
.LBB30_21:
	s_wait_alu 0xfffe
	s_and_not1_b32 vcc_lo, exec_lo, s2
	s_wait_alu 0xfffe
	s_cbranch_vccnz .LBB30_23
; %bb.22:
	v_ashrrev_i32_e32 v5, 31, v4
	s_delay_alu instid0(VALU_DEP_1) | instskip(SKIP_1) | instid1(VALU_DEP_1)
	v_lshlrev_b64_e32 v[4:5], 2, v[4:5]
	s_wait_kmcnt 0x0
	v_add_co_u32 v8, vcc_lo, s0, v4
	s_wait_alu 0xfffd
	s_delay_alu instid0(VALU_DEP_2)
	v_add_co_ci_u32_e64 v9, null, s1, v5, vcc_lo
	global_load_b128 v[4:7], v[8:9], off
	s_wait_loadcnt 0x0
	v_dual_fmac_f32 v0, s12, v4 :: v_dual_fmac_f32 v1, s12, v5
	v_dual_fmac_f32 v2, s12, v6 :: v_dual_fmac_f32 v3, s12, v7
	global_store_b128 v[8:9], v[0:3], off
.LBB30_23:
	s_endpgm
	.section	.rodata,"a",@progbits
	.p2align	6, 0x0
	.amdhsa_kernel _ZN9rocsparseL19gebsrmvn_4xn_kernelILj128ELj8ELj4EfEEvi20rocsparse_direction_NS_24const_host_device_scalarIT2_EEPKiS6_PKS3_S8_S4_PS3_21rocsparse_index_base_b
		.amdhsa_group_segment_fixed_size 0
		.amdhsa_private_segment_fixed_size 0
		.amdhsa_kernarg_size 72
		.amdhsa_user_sgpr_count 2
		.amdhsa_user_sgpr_dispatch_ptr 0
		.amdhsa_user_sgpr_queue_ptr 0
		.amdhsa_user_sgpr_kernarg_segment_ptr 1
		.amdhsa_user_sgpr_dispatch_id 0
		.amdhsa_user_sgpr_private_segment_size 0
		.amdhsa_wavefront_size32 1
		.amdhsa_uses_dynamic_stack 0
		.amdhsa_enable_private_segment 0
		.amdhsa_system_sgpr_workgroup_id_x 1
		.amdhsa_system_sgpr_workgroup_id_y 0
		.amdhsa_system_sgpr_workgroup_id_z 0
		.amdhsa_system_sgpr_workgroup_info 0
		.amdhsa_system_vgpr_workitem_id 0
		.amdhsa_next_free_vgpr 53
		.amdhsa_next_free_sgpr 18
		.amdhsa_reserve_vcc 1
		.amdhsa_float_round_mode_32 0
		.amdhsa_float_round_mode_16_64 0
		.amdhsa_float_denorm_mode_32 3
		.amdhsa_float_denorm_mode_16_64 3
		.amdhsa_fp16_overflow 0
		.amdhsa_workgroup_processor_mode 1
		.amdhsa_memory_ordered 1
		.amdhsa_forward_progress 1
		.amdhsa_inst_pref_size 14
		.amdhsa_round_robin_scheduling 0
		.amdhsa_exception_fp_ieee_invalid_op 0
		.amdhsa_exception_fp_denorm_src 0
		.amdhsa_exception_fp_ieee_div_zero 0
		.amdhsa_exception_fp_ieee_overflow 0
		.amdhsa_exception_fp_ieee_underflow 0
		.amdhsa_exception_fp_ieee_inexact 0
		.amdhsa_exception_int_div_zero 0
	.end_amdhsa_kernel
	.section	.text._ZN9rocsparseL19gebsrmvn_4xn_kernelILj128ELj8ELj4EfEEvi20rocsparse_direction_NS_24const_host_device_scalarIT2_EEPKiS6_PKS3_S8_S4_PS3_21rocsparse_index_base_b,"axG",@progbits,_ZN9rocsparseL19gebsrmvn_4xn_kernelILj128ELj8ELj4EfEEvi20rocsparse_direction_NS_24const_host_device_scalarIT2_EEPKiS6_PKS3_S8_S4_PS3_21rocsparse_index_base_b,comdat
.Lfunc_end30:
	.size	_ZN9rocsparseL19gebsrmvn_4xn_kernelILj128ELj8ELj4EfEEvi20rocsparse_direction_NS_24const_host_device_scalarIT2_EEPKiS6_PKS3_S8_S4_PS3_21rocsparse_index_base_b, .Lfunc_end30-_ZN9rocsparseL19gebsrmvn_4xn_kernelILj128ELj8ELj4EfEEvi20rocsparse_direction_NS_24const_host_device_scalarIT2_EEPKiS6_PKS3_S8_S4_PS3_21rocsparse_index_base_b
                                        ; -- End function
	.set _ZN9rocsparseL19gebsrmvn_4xn_kernelILj128ELj8ELj4EfEEvi20rocsparse_direction_NS_24const_host_device_scalarIT2_EEPKiS6_PKS3_S8_S4_PS3_21rocsparse_index_base_b.num_vgpr, 53
	.set _ZN9rocsparseL19gebsrmvn_4xn_kernelILj128ELj8ELj4EfEEvi20rocsparse_direction_NS_24const_host_device_scalarIT2_EEPKiS6_PKS3_S8_S4_PS3_21rocsparse_index_base_b.num_agpr, 0
	.set _ZN9rocsparseL19gebsrmvn_4xn_kernelILj128ELj8ELj4EfEEvi20rocsparse_direction_NS_24const_host_device_scalarIT2_EEPKiS6_PKS3_S8_S4_PS3_21rocsparse_index_base_b.numbered_sgpr, 18
	.set _ZN9rocsparseL19gebsrmvn_4xn_kernelILj128ELj8ELj4EfEEvi20rocsparse_direction_NS_24const_host_device_scalarIT2_EEPKiS6_PKS3_S8_S4_PS3_21rocsparse_index_base_b.num_named_barrier, 0
	.set _ZN9rocsparseL19gebsrmvn_4xn_kernelILj128ELj8ELj4EfEEvi20rocsparse_direction_NS_24const_host_device_scalarIT2_EEPKiS6_PKS3_S8_S4_PS3_21rocsparse_index_base_b.private_seg_size, 0
	.set _ZN9rocsparseL19gebsrmvn_4xn_kernelILj128ELj8ELj4EfEEvi20rocsparse_direction_NS_24const_host_device_scalarIT2_EEPKiS6_PKS3_S8_S4_PS3_21rocsparse_index_base_b.uses_vcc, 1
	.set _ZN9rocsparseL19gebsrmvn_4xn_kernelILj128ELj8ELj4EfEEvi20rocsparse_direction_NS_24const_host_device_scalarIT2_EEPKiS6_PKS3_S8_S4_PS3_21rocsparse_index_base_b.uses_flat_scratch, 0
	.set _ZN9rocsparseL19gebsrmvn_4xn_kernelILj128ELj8ELj4EfEEvi20rocsparse_direction_NS_24const_host_device_scalarIT2_EEPKiS6_PKS3_S8_S4_PS3_21rocsparse_index_base_b.has_dyn_sized_stack, 0
	.set _ZN9rocsparseL19gebsrmvn_4xn_kernelILj128ELj8ELj4EfEEvi20rocsparse_direction_NS_24const_host_device_scalarIT2_EEPKiS6_PKS3_S8_S4_PS3_21rocsparse_index_base_b.has_recursion, 0
	.set _ZN9rocsparseL19gebsrmvn_4xn_kernelILj128ELj8ELj4EfEEvi20rocsparse_direction_NS_24const_host_device_scalarIT2_EEPKiS6_PKS3_S8_S4_PS3_21rocsparse_index_base_b.has_indirect_call, 0
	.section	.AMDGPU.csdata,"",@progbits
; Kernel info:
; codeLenInByte = 1736
; TotalNumSgprs: 20
; NumVgprs: 53
; ScratchSize: 0
; MemoryBound: 0
; FloatMode: 240
; IeeeMode: 1
; LDSByteSize: 0 bytes/workgroup (compile time only)
; SGPRBlocks: 0
; VGPRBlocks: 6
; NumSGPRsForWavesPerEU: 20
; NumVGPRsForWavesPerEU: 53
; Occupancy: 16
; WaveLimiterHint : 1
; COMPUTE_PGM_RSRC2:SCRATCH_EN: 0
; COMPUTE_PGM_RSRC2:USER_SGPR: 2
; COMPUTE_PGM_RSRC2:TRAP_HANDLER: 0
; COMPUTE_PGM_RSRC2:TGID_X_EN: 1
; COMPUTE_PGM_RSRC2:TGID_Y_EN: 0
; COMPUTE_PGM_RSRC2:TGID_Z_EN: 0
; COMPUTE_PGM_RSRC2:TIDIG_COMP_CNT: 0
	.section	.text._ZN9rocsparseL19gebsrmvn_4xn_kernelILj128ELj8ELj8EfEEvi20rocsparse_direction_NS_24const_host_device_scalarIT2_EEPKiS6_PKS3_S8_S4_PS3_21rocsparse_index_base_b,"axG",@progbits,_ZN9rocsparseL19gebsrmvn_4xn_kernelILj128ELj8ELj8EfEEvi20rocsparse_direction_NS_24const_host_device_scalarIT2_EEPKiS6_PKS3_S8_S4_PS3_21rocsparse_index_base_b,comdat
	.globl	_ZN9rocsparseL19gebsrmvn_4xn_kernelILj128ELj8ELj8EfEEvi20rocsparse_direction_NS_24const_host_device_scalarIT2_EEPKiS6_PKS3_S8_S4_PS3_21rocsparse_index_base_b ; -- Begin function _ZN9rocsparseL19gebsrmvn_4xn_kernelILj128ELj8ELj8EfEEvi20rocsparse_direction_NS_24const_host_device_scalarIT2_EEPKiS6_PKS3_S8_S4_PS3_21rocsparse_index_base_b
	.p2align	8
	.type	_ZN9rocsparseL19gebsrmvn_4xn_kernelILj128ELj8ELj8EfEEvi20rocsparse_direction_NS_24const_host_device_scalarIT2_EEPKiS6_PKS3_S8_S4_PS3_21rocsparse_index_base_b,@function
_ZN9rocsparseL19gebsrmvn_4xn_kernelILj128ELj8ELj8EfEEvi20rocsparse_direction_NS_24const_host_device_scalarIT2_EEPKiS6_PKS3_S8_S4_PS3_21rocsparse_index_base_b: ; @_ZN9rocsparseL19gebsrmvn_4xn_kernelILj128ELj8ELj8EfEEvi20rocsparse_direction_NS_24const_host_device_scalarIT2_EEPKiS6_PKS3_S8_S4_PS3_21rocsparse_index_base_b
; %bb.0:
	s_clause 0x2
	s_load_b64 s[16:17], s[0:1], 0x40
	s_load_b64 s[14:15], s[0:1], 0x8
	;; [unrolled: 1-line block ×3, first 2 shown]
	s_wait_kmcnt 0x0
	s_bitcmp1_b32 s17, 0
	s_cselect_b32 s2, -1, 0
	s_delay_alu instid0(SALU_CYCLE_1)
	s_and_b32 vcc_lo, exec_lo, s2
	s_xor_b32 s2, s2, -1
	s_cbranch_vccnz .LBB31_2
; %bb.1:
	s_load_b32 s14, s[14:15], 0x0
.LBB31_2:
	s_and_not1_b32 vcc_lo, exec_lo, s2
	s_cbranch_vccnz .LBB31_4
; %bb.3:
	s_load_b32 s12, s[12:13], 0x0
.LBB31_4:
	s_wait_kmcnt 0x0
	s_cmp_eq_f32 s14, 0
	s_cselect_b32 s2, -1, 0
	s_cmp_eq_f32 s12, 1.0
	s_cselect_b32 s3, -1, 0
	s_delay_alu instid0(SALU_CYCLE_1) | instskip(NEXT) | instid1(SALU_CYCLE_1)
	s_and_b32 s2, s2, s3
	s_and_b32 vcc_lo, exec_lo, s2
	s_cbranch_vccnz .LBB31_23
; %bb.5:
	s_load_b64 s[2:3], s[0:1], 0x0
	v_lshrrev_b32_e32 v1, 3, v0
	s_delay_alu instid0(VALU_DEP_1) | instskip(SKIP_1) | instid1(VALU_DEP_1)
	v_lshl_or_b32 v4, ttmp9, 4, v1
	s_wait_kmcnt 0x0
	v_cmp_gt_i32_e32 vcc_lo, s2, v4
	s_and_saveexec_b32 s2, vcc_lo
	s_cbranch_execz .LBB31_23
; %bb.6:
	s_load_b256 s[4:11], s[0:1], 0x10
	v_ashrrev_i32_e32 v5, 31, v4
	v_and_b32_e32 v7, 7, v0
	s_cmp_lg_u32 s3, 0
	s_delay_alu instid0(VALU_DEP_2) | instskip(SKIP_1) | instid1(VALU_DEP_1)
	v_lshlrev_b64_e32 v[1:2], 2, v[4:5]
	s_wait_kmcnt 0x0
	v_add_co_u32 v1, vcc_lo, s4, v1
	s_delay_alu instid0(VALU_DEP_1) | instskip(SKIP_4) | instid1(VALU_DEP_2)
	v_add_co_ci_u32_e64 v2, null, s5, v2, vcc_lo
	global_load_b64 v[1:2], v[1:2], off
	s_wait_loadcnt 0x0
	v_subrev_nc_u32_e32 v0, s16, v1
	v_subrev_nc_u32_e32 v12, s16, v2
	v_add_nc_u32_e32 v0, v0, v7
	s_delay_alu instid0(VALU_DEP_1)
	v_cmp_lt_i32_e64 s2, v0, v12
	s_cbranch_scc0 .LBB31_12
; %bb.7:
	v_dual_mov_b32 v8, 0 :: v_dual_mov_b32 v9, 0
	v_dual_mov_b32 v10, 0 :: v_dual_mov_b32 v11, 0
	s_and_saveexec_b32 s3, s2
	s_cbranch_execz .LBB31_11
; %bb.8:
	v_dual_mov_b32 v2, 0 :: v_dual_lshlrev_b32 v1, 5, v0
	v_mov_b32_e32 v5, v0
	s_mov_b32 s4, 0
	s_delay_alu instid0(VALU_DEP_2)
	v_dual_mov_b32 v8, v2 :: v_dual_mov_b32 v9, v2
	v_dual_mov_b32 v10, v2 :: v_dual_mov_b32 v11, v2
.LBB31_9:                               ; =>This Inner Loop Header: Depth=1
	s_delay_alu instid0(VALU_DEP_3) | instskip(NEXT) | instid1(VALU_DEP_1)
	v_ashrrev_i32_e32 v6, 31, v5
	v_lshlrev_b64_e32 v[13:14], 2, v[5:6]
	s_delay_alu instid0(VALU_DEP_1) | instskip(SKIP_1) | instid1(VALU_DEP_2)
	v_add_co_u32 v13, vcc_lo, s6, v13
	s_wait_alu 0xfffd
	v_add_co_ci_u32_e64 v14, null, s7, v14, vcc_lo
	global_load_b32 v3, v[13:14], off
	v_lshlrev_b64_e32 v[13:14], 2, v[1:2]
	s_delay_alu instid0(VALU_DEP_1) | instskip(SKIP_1) | instid1(VALU_DEP_2)
	v_add_co_u32 v49, vcc_lo, s8, v13
	s_wait_alu 0xfffd
	v_add_co_ci_u32_e64 v50, null, s9, v14, vcc_lo
	global_load_b128 v[13:16], v[49:50], off offset:16
	s_wait_loadcnt 0x1
	v_subrev_nc_u32_e32 v3, s16, v3
	s_delay_alu instid0(VALU_DEP_1) | instskip(NEXT) | instid1(VALU_DEP_1)
	v_dual_mov_b32 v18, v2 :: v_dual_lshlrev_b32 v17, 3, v3
	v_lshlrev_b64_e32 v[17:18], 2, v[17:18]
	s_delay_alu instid0(VALU_DEP_1) | instskip(SKIP_1) | instid1(VALU_DEP_2)
	v_add_co_u32 v25, vcc_lo, s10, v17
	s_wait_alu 0xfffd
	v_add_co_ci_u32_e64 v26, null, s11, v18, vcc_lo
	global_load_b128 v[17:20], v[49:50], off
	s_clause 0x1
	global_load_b128 v[21:24], v[25:26], off
	global_load_b128 v[25:28], v[25:26], off offset:16
	s_clause 0x5
	global_load_b128 v[29:32], v[49:50], off offset:32
	global_load_b128 v[33:36], v[49:50], off offset:48
	;; [unrolled: 1-line block ×6, first 2 shown]
	s_wait_loadcnt 0x7
	v_fmac_f32_e32 v11, v18, v21
	v_fmac_f32_e32 v8, v17, v21
	;; [unrolled: 1-line block ×3, first 2 shown]
	s_delay_alu instid0(VALU_DEP_3) | instskip(NEXT) | instid1(VALU_DEP_3)
	v_dual_fmac_f32 v10, v19, v21 :: v_dual_fmac_f32 v11, v14, v22
	v_fmac_f32_e32 v8, v13, v22
	s_delay_alu instid0(VALU_DEP_3) | instskip(SKIP_1) | instid1(VALU_DEP_3)
	v_fmac_f32_e32 v9, v16, v22
	s_wait_loadcnt 0x5
	v_dual_fmac_f32 v10, v15, v22 :: v_dual_fmac_f32 v11, v30, v23
	s_delay_alu instid0(VALU_DEP_3) | instskip(NEXT) | instid1(VALU_DEP_3)
	v_fmac_f32_e32 v8, v29, v23
	v_fmac_f32_e32 v9, v32, v23
	s_wait_loadcnt 0x4
	s_delay_alu instid0(VALU_DEP_3) | instskip(NEXT) | instid1(VALU_DEP_3)
	v_dual_fmac_f32 v10, v31, v23 :: v_dual_fmac_f32 v11, v34, v24
	v_fmac_f32_e32 v8, v33, v24
	s_delay_alu instid0(VALU_DEP_3) | instskip(SKIP_1) | instid1(VALU_DEP_3)
	v_fmac_f32_e32 v9, v36, v24
	s_wait_loadcnt 0x3
	v_dual_fmac_f32 v10, v35, v24 :: v_dual_fmac_f32 v11, v38, v25
	s_delay_alu instid0(VALU_DEP_3) | instskip(NEXT) | instid1(VALU_DEP_3)
	v_fmac_f32_e32 v8, v37, v25
	v_fmac_f32_e32 v9, v40, v25
	s_wait_loadcnt 0x2
	s_delay_alu instid0(VALU_DEP_3) | instskip(NEXT) | instid1(VALU_DEP_3)
	v_dual_fmac_f32 v10, v39, v25 :: v_dual_fmac_f32 v11, v42, v26
	v_fmac_f32_e32 v8, v41, v26
	s_delay_alu instid0(VALU_DEP_3) | instskip(NEXT) | instid1(VALU_DEP_3)
	v_fmac_f32_e32 v9, v44, v26
	v_dual_fmac_f32 v10, v43, v26 :: v_dual_add_nc_u32 v5, 8, v5
	s_wait_loadcnt 0x1
	s_delay_alu instid0(VALU_DEP_3) | instskip(SKIP_1) | instid1(VALU_DEP_3)
	v_dual_fmac_f32 v8, v45, v27 :: v_dual_add_nc_u32 v1, 0x100, v1
	v_fmac_f32_e32 v11, v46, v27
	v_fmac_f32_e32 v10, v47, v27
	;; [unrolled: 1-line block ×3, first 2 shown]
	v_cmp_ge_i32_e32 vcc_lo, v5, v12
	s_wait_loadcnt 0x0
	v_fmac_f32_e32 v8, v49, v28
	v_fmac_f32_e32 v11, v50, v28
	;; [unrolled: 1-line block ×4, first 2 shown]
	s_wait_alu 0xfffe
	s_or_b32 s4, vcc_lo, s4
	s_wait_alu 0xfffe
	s_and_not1_b32 exec_lo, exec_lo, s4
	s_cbranch_execnz .LBB31_9
; %bb.10:
	s_or_b32 exec_lo, exec_lo, s4
.LBB31_11:
	s_wait_alu 0xfffe
	s_or_b32 exec_lo, exec_lo, s3
	s_cbranch_execz .LBB31_13
	s_branch .LBB31_18
.LBB31_12:
                                        ; implicit-def: $vgpr8
                                        ; implicit-def: $vgpr9
                                        ; implicit-def: $vgpr10
                                        ; implicit-def: $vgpr11
.LBB31_13:
	v_dual_mov_b32 v8, 0 :: v_dual_mov_b32 v9, 0
	v_dual_mov_b32 v10, 0 :: v_dual_mov_b32 v11, 0
	s_and_saveexec_b32 s3, s2
	s_cbranch_execz .LBB31_17
; %bb.14:
	v_dual_mov_b32 v3, 0 :: v_dual_lshlrev_b32 v2, 5, v0
	s_mov_b32 s2, 0
	s_delay_alu instid0(VALU_DEP_1)
	v_dual_mov_b32 v8, v3 :: v_dual_mov_b32 v9, v3
	v_dual_mov_b32 v10, v3 :: v_dual_mov_b32 v11, v3
.LBB31_15:                              ; =>This Inner Loop Header: Depth=1
	v_ashrrev_i32_e32 v1, 31, v0
	s_delay_alu instid0(VALU_DEP_1) | instskip(NEXT) | instid1(VALU_DEP_1)
	v_lshlrev_b64_e32 v[5:6], 2, v[0:1]
	v_add_co_u32 v5, vcc_lo, s6, v5
	s_wait_alu 0xfffd
	s_delay_alu instid0(VALU_DEP_2) | instskip(SKIP_3) | instid1(VALU_DEP_2)
	v_add_co_ci_u32_e64 v6, null, s7, v6, vcc_lo
	global_load_b32 v1, v[5:6], off
	v_lshlrev_b64_e32 v[5:6], 2, v[2:3]
	v_add_nc_u32_e32 v2, 0x100, v2
	v_add_co_u32 v5, vcc_lo, s8, v5
	s_wait_alu 0xfffd
	s_delay_alu instid0(VALU_DEP_3)
	v_add_co_ci_u32_e64 v6, null, s9, v6, vcc_lo
	s_clause 0x6
	global_load_b128 v[13:16], v[5:6], off offset:48
	global_load_b128 v[17:20], v[5:6], off offset:32
	;; [unrolled: 1-line block ×3, first 2 shown]
	global_load_b128 v[25:28], v[5:6], off
	global_load_b128 v[29:32], v[5:6], off offset:80
	global_load_b128 v[33:36], v[5:6], off offset:112
	;; [unrolled: 1-line block ×3, first 2 shown]
	s_wait_loadcnt 0x7
	v_subrev_nc_u32_e32 v1, s16, v1
	s_delay_alu instid0(VALU_DEP_1) | instskip(NEXT) | instid1(VALU_DEP_1)
	v_dual_mov_b32 v42, v3 :: v_dual_lshlrev_b32 v41, 3, v1
	v_lshlrev_b64_e32 v[41:42], 2, v[41:42]
	s_delay_alu instid0(VALU_DEP_1) | instskip(SKIP_1) | instid1(VALU_DEP_2)
	v_add_co_u32 v49, vcc_lo, s10, v41
	s_wait_alu 0xfffd
	v_add_co_ci_u32_e64 v50, null, s11, v42, vcc_lo
	global_load_b128 v[41:44], v[5:6], off offset:64
	s_clause 0x1
	global_load_b128 v[45:48], v[49:50], off
	global_load_b128 v[49:52], v[49:50], off offset:16
	s_wait_loadcnt 0x1
	v_fmac_f32_e32 v11, v17, v45
	v_fmac_f32_e32 v8, v25, v45
	;; [unrolled: 1-line block ×3, first 2 shown]
	s_delay_alu instid0(VALU_DEP_3) | instskip(NEXT) | instid1(VALU_DEP_3)
	v_dual_fmac_f32 v10, v41, v45 :: v_dual_fmac_f32 v11, v18, v46
	v_fmac_f32_e32 v8, v26, v46
	s_delay_alu instid0(VALU_DEP_3) | instskip(NEXT) | instid1(VALU_DEP_3)
	v_fmac_f32_e32 v9, v38, v46
	v_dual_fmac_f32 v10, v42, v46 :: v_dual_fmac_f32 v11, v19, v47
	s_delay_alu instid0(VALU_DEP_3) | instskip(NEXT) | instid1(VALU_DEP_3)
	v_fmac_f32_e32 v8, v27, v47
	v_fmac_f32_e32 v9, v39, v47
	s_delay_alu instid0(VALU_DEP_3) | instskip(NEXT) | instid1(VALU_DEP_3)
	v_dual_fmac_f32 v10, v43, v47 :: v_dual_fmac_f32 v11, v20, v48
	v_fmac_f32_e32 v8, v28, v48
	s_delay_alu instid0(VALU_DEP_3) | instskip(SKIP_1) | instid1(VALU_DEP_3)
	v_fmac_f32_e32 v9, v40, v48
	s_wait_loadcnt 0x0
	v_dual_fmac_f32 v10, v44, v48 :: v_dual_fmac_f32 v11, v13, v49
	s_delay_alu instid0(VALU_DEP_1) | instskip(NEXT) | instid1(VALU_DEP_1)
	v_dual_fmac_f32 v8, v21, v49 :: v_dual_fmac_f32 v11, v14, v50
	v_dual_fmac_f32 v9, v33, v49 :: v_dual_fmac_f32 v8, v22, v50
	s_delay_alu instid0(VALU_DEP_2) | instskip(NEXT) | instid1(VALU_DEP_2)
	v_dual_fmac_f32 v10, v29, v49 :: v_dual_fmac_f32 v11, v15, v51
	v_dual_fmac_f32 v9, v34, v50 :: v_dual_add_nc_u32 v0, 8, v0
	s_delay_alu instid0(VALU_DEP_2) | instskip(NEXT) | instid1(VALU_DEP_3)
	v_fmac_f32_e32 v10, v30, v50
	v_dual_fmac_f32 v8, v23, v51 :: v_dual_fmac_f32 v11, v16, v52
	s_delay_alu instid0(VALU_DEP_3) | instskip(NEXT) | instid1(VALU_DEP_4)
	v_fmac_f32_e32 v9, v35, v51
	v_cmp_ge_i32_e32 vcc_lo, v0, v12
	s_delay_alu instid0(VALU_DEP_4) | instskip(NEXT) | instid1(VALU_DEP_4)
	v_fmac_f32_e32 v10, v31, v51
	v_fmac_f32_e32 v8, v24, v52
	s_delay_alu instid0(VALU_DEP_4)
	v_fmac_f32_e32 v9, v36, v52
	s_wait_alu 0xfffe
	s_or_b32 s2, vcc_lo, s2
	v_fmac_f32_e32 v10, v32, v52
	s_wait_alu 0xfffe
	s_and_not1_b32 exec_lo, exec_lo, s2
	s_cbranch_execnz .LBB31_15
; %bb.16:
	s_or_b32 exec_lo, exec_lo, s2
.LBB31_17:
	s_wait_alu 0xfffe
	s_or_b32 exec_lo, exec_lo, s3
.LBB31_18:
	v_mbcnt_lo_u32_b32 v0, -1, 0
	s_mov_b32 s2, -1
	s_delay_alu instid0(VALU_DEP_1) | instskip(SKIP_1) | instid1(VALU_DEP_2)
	v_xor_b32_e32 v1, 4, v0
	v_xor_b32_e32 v6, 2, v0
	v_cmp_gt_i32_e32 vcc_lo, 32, v1
	s_wait_alu 0xfffd
	v_cndmask_b32_e32 v1, v0, v1, vcc_lo
	s_delay_alu instid0(VALU_DEP_3) | instskip(SKIP_2) | instid1(VALU_DEP_1)
	v_cmp_gt_i32_e32 vcc_lo, 32, v6
	s_wait_alu 0xfffd
	v_cndmask_b32_e32 v6, v0, v6, vcc_lo
	v_lshlrev_b32_e32 v6, 2, v6
	v_lshlrev_b32_e32 v1, 2, v1
	ds_bpermute_b32 v2, v1, v8
	s_wait_dscnt 0x0
	v_add_f32_e32 v2, v8, v2
	ds_bpermute_b32 v3, v1, v11
	ds_bpermute_b32 v5, v1, v10
	;; [unrolled: 1-line block ×3, first 2 shown]
	s_wait_dscnt 0x2
	v_add_f32_e32 v3, v11, v3
	v_xor_b32_e32 v11, 1, v0
	s_delay_alu instid0(VALU_DEP_1)
	v_cmp_gt_i32_e32 vcc_lo, 32, v11
	s_wait_dscnt 0x1
	s_wait_alu 0xfffd
	v_dual_add_f32 v5, v10, v5 :: v_dual_cndmask_b32 v0, v0, v11
	s_wait_dscnt 0x0
	v_add_f32_e32 v8, v9, v1
	ds_bpermute_b32 v1, v6, v2
	ds_bpermute_b32 v9, v6, v3
	;; [unrolled: 1-line block ×3, first 2 shown]
	v_lshlrev_b32_e32 v11, 2, v0
	ds_bpermute_b32 v6, v6, v8
	v_cmp_eq_u32_e32 vcc_lo, 7, v7
	s_wait_dscnt 0x3
	v_add_f32_e32 v0, v2, v1
	s_wait_dscnt 0x1
	v_dual_add_f32 v1, v3, v9 :: v_dual_add_f32 v2, v5, v10
	s_wait_dscnt 0x0
	v_add_f32_e32 v3, v8, v6
	ds_bpermute_b32 v5, v11, v0
	ds_bpermute_b32 v6, v11, v1
	;; [unrolled: 1-line block ×4, first 2 shown]
	s_and_b32 exec_lo, exec_lo, vcc_lo
	s_cbranch_execz .LBB31_23
; %bb.19:
	s_load_b64 s[0:1], s[0:1], 0x38
	s_wait_dscnt 0x2
	v_dual_add_f32 v0, v0, v5 :: v_dual_add_f32 v1, v1, v6
	s_wait_dscnt 0x0
	v_dual_add_f32 v2, v2, v8 :: v_dual_add_f32 v3, v3, v9
	v_lshlrev_b32_e32 v4, 2, v4
	s_delay_alu instid0(VALU_DEP_3) | instskip(NEXT) | instid1(VALU_DEP_3)
	v_dual_mul_f32 v0, s14, v0 :: v_dual_mul_f32 v1, s14, v1
	v_dual_mul_f32 v2, s14, v2 :: v_dual_mul_f32 v3, s14, v3
	s_cmp_eq_f32 s12, 0
	s_cbranch_scc0 .LBB31_21
; %bb.20:
	v_ashrrev_i32_e32 v5, 31, v4
	s_mov_b32 s2, 0
	s_delay_alu instid0(VALU_DEP_1) | instskip(SKIP_1) | instid1(VALU_DEP_1)
	v_lshlrev_b64_e32 v[5:6], 2, v[4:5]
	s_wait_kmcnt 0x0
	v_add_co_u32 v5, vcc_lo, s0, v5
	s_wait_alu 0xfffd
	s_delay_alu instid0(VALU_DEP_2)
	v_add_co_ci_u32_e64 v6, null, s1, v6, vcc_lo
	global_store_b128 v[5:6], v[0:3], off
.LBB31_21:
	s_wait_alu 0xfffe
	s_and_not1_b32 vcc_lo, exec_lo, s2
	s_wait_alu 0xfffe
	s_cbranch_vccnz .LBB31_23
; %bb.22:
	v_ashrrev_i32_e32 v5, 31, v4
	s_delay_alu instid0(VALU_DEP_1) | instskip(SKIP_1) | instid1(VALU_DEP_1)
	v_lshlrev_b64_e32 v[4:5], 2, v[4:5]
	s_wait_kmcnt 0x0
	v_add_co_u32 v8, vcc_lo, s0, v4
	s_wait_alu 0xfffd
	s_delay_alu instid0(VALU_DEP_2)
	v_add_co_ci_u32_e64 v9, null, s1, v5, vcc_lo
	global_load_b128 v[4:7], v[8:9], off
	s_wait_loadcnt 0x0
	v_dual_fmac_f32 v0, s12, v4 :: v_dual_fmac_f32 v1, s12, v5
	v_dual_fmac_f32 v2, s12, v6 :: v_dual_fmac_f32 v3, s12, v7
	global_store_b128 v[8:9], v[0:3], off
.LBB31_23:
	s_endpgm
	.section	.rodata,"a",@progbits
	.p2align	6, 0x0
	.amdhsa_kernel _ZN9rocsparseL19gebsrmvn_4xn_kernelILj128ELj8ELj8EfEEvi20rocsparse_direction_NS_24const_host_device_scalarIT2_EEPKiS6_PKS3_S8_S4_PS3_21rocsparse_index_base_b
		.amdhsa_group_segment_fixed_size 0
		.amdhsa_private_segment_fixed_size 0
		.amdhsa_kernarg_size 72
		.amdhsa_user_sgpr_count 2
		.amdhsa_user_sgpr_dispatch_ptr 0
		.amdhsa_user_sgpr_queue_ptr 0
		.amdhsa_user_sgpr_kernarg_segment_ptr 1
		.amdhsa_user_sgpr_dispatch_id 0
		.amdhsa_user_sgpr_private_segment_size 0
		.amdhsa_wavefront_size32 1
		.amdhsa_uses_dynamic_stack 0
		.amdhsa_enable_private_segment 0
		.amdhsa_system_sgpr_workgroup_id_x 1
		.amdhsa_system_sgpr_workgroup_id_y 0
		.amdhsa_system_sgpr_workgroup_id_z 0
		.amdhsa_system_sgpr_workgroup_info 0
		.amdhsa_system_vgpr_workitem_id 0
		.amdhsa_next_free_vgpr 53
		.amdhsa_next_free_sgpr 18
		.amdhsa_reserve_vcc 1
		.amdhsa_float_round_mode_32 0
		.amdhsa_float_round_mode_16_64 0
		.amdhsa_float_denorm_mode_32 3
		.amdhsa_float_denorm_mode_16_64 3
		.amdhsa_fp16_overflow 0
		.amdhsa_workgroup_processor_mode 1
		.amdhsa_memory_ordered 1
		.amdhsa_forward_progress 1
		.amdhsa_inst_pref_size 15
		.amdhsa_round_robin_scheduling 0
		.amdhsa_exception_fp_ieee_invalid_op 0
		.amdhsa_exception_fp_denorm_src 0
		.amdhsa_exception_fp_ieee_div_zero 0
		.amdhsa_exception_fp_ieee_overflow 0
		.amdhsa_exception_fp_ieee_underflow 0
		.amdhsa_exception_fp_ieee_inexact 0
		.amdhsa_exception_int_div_zero 0
	.end_amdhsa_kernel
	.section	.text._ZN9rocsparseL19gebsrmvn_4xn_kernelILj128ELj8ELj8EfEEvi20rocsparse_direction_NS_24const_host_device_scalarIT2_EEPKiS6_PKS3_S8_S4_PS3_21rocsparse_index_base_b,"axG",@progbits,_ZN9rocsparseL19gebsrmvn_4xn_kernelILj128ELj8ELj8EfEEvi20rocsparse_direction_NS_24const_host_device_scalarIT2_EEPKiS6_PKS3_S8_S4_PS3_21rocsparse_index_base_b,comdat
.Lfunc_end31:
	.size	_ZN9rocsparseL19gebsrmvn_4xn_kernelILj128ELj8ELj8EfEEvi20rocsparse_direction_NS_24const_host_device_scalarIT2_EEPKiS6_PKS3_S8_S4_PS3_21rocsparse_index_base_b, .Lfunc_end31-_ZN9rocsparseL19gebsrmvn_4xn_kernelILj128ELj8ELj8EfEEvi20rocsparse_direction_NS_24const_host_device_scalarIT2_EEPKiS6_PKS3_S8_S4_PS3_21rocsparse_index_base_b
                                        ; -- End function
	.set _ZN9rocsparseL19gebsrmvn_4xn_kernelILj128ELj8ELj8EfEEvi20rocsparse_direction_NS_24const_host_device_scalarIT2_EEPKiS6_PKS3_S8_S4_PS3_21rocsparse_index_base_b.num_vgpr, 53
	.set _ZN9rocsparseL19gebsrmvn_4xn_kernelILj128ELj8ELj8EfEEvi20rocsparse_direction_NS_24const_host_device_scalarIT2_EEPKiS6_PKS3_S8_S4_PS3_21rocsparse_index_base_b.num_agpr, 0
	.set _ZN9rocsparseL19gebsrmvn_4xn_kernelILj128ELj8ELj8EfEEvi20rocsparse_direction_NS_24const_host_device_scalarIT2_EEPKiS6_PKS3_S8_S4_PS3_21rocsparse_index_base_b.numbered_sgpr, 18
	.set _ZN9rocsparseL19gebsrmvn_4xn_kernelILj128ELj8ELj8EfEEvi20rocsparse_direction_NS_24const_host_device_scalarIT2_EEPKiS6_PKS3_S8_S4_PS3_21rocsparse_index_base_b.num_named_barrier, 0
	.set _ZN9rocsparseL19gebsrmvn_4xn_kernelILj128ELj8ELj8EfEEvi20rocsparse_direction_NS_24const_host_device_scalarIT2_EEPKiS6_PKS3_S8_S4_PS3_21rocsparse_index_base_b.private_seg_size, 0
	.set _ZN9rocsparseL19gebsrmvn_4xn_kernelILj128ELj8ELj8EfEEvi20rocsparse_direction_NS_24const_host_device_scalarIT2_EEPKiS6_PKS3_S8_S4_PS3_21rocsparse_index_base_b.uses_vcc, 1
	.set _ZN9rocsparseL19gebsrmvn_4xn_kernelILj128ELj8ELj8EfEEvi20rocsparse_direction_NS_24const_host_device_scalarIT2_EEPKiS6_PKS3_S8_S4_PS3_21rocsparse_index_base_b.uses_flat_scratch, 0
	.set _ZN9rocsparseL19gebsrmvn_4xn_kernelILj128ELj8ELj8EfEEvi20rocsparse_direction_NS_24const_host_device_scalarIT2_EEPKiS6_PKS3_S8_S4_PS3_21rocsparse_index_base_b.has_dyn_sized_stack, 0
	.set _ZN9rocsparseL19gebsrmvn_4xn_kernelILj128ELj8ELj8EfEEvi20rocsparse_direction_NS_24const_host_device_scalarIT2_EEPKiS6_PKS3_S8_S4_PS3_21rocsparse_index_base_b.has_recursion, 0
	.set _ZN9rocsparseL19gebsrmvn_4xn_kernelILj128ELj8ELj8EfEEvi20rocsparse_direction_NS_24const_host_device_scalarIT2_EEPKiS6_PKS3_S8_S4_PS3_21rocsparse_index_base_b.has_indirect_call, 0
	.section	.AMDGPU.csdata,"",@progbits
; Kernel info:
; codeLenInByte = 1824
; TotalNumSgprs: 20
; NumVgprs: 53
; ScratchSize: 0
; MemoryBound: 0
; FloatMode: 240
; IeeeMode: 1
; LDSByteSize: 0 bytes/workgroup (compile time only)
; SGPRBlocks: 0
; VGPRBlocks: 6
; NumSGPRsForWavesPerEU: 20
; NumVGPRsForWavesPerEU: 53
; Occupancy: 16
; WaveLimiterHint : 1
; COMPUTE_PGM_RSRC2:SCRATCH_EN: 0
; COMPUTE_PGM_RSRC2:USER_SGPR: 2
; COMPUTE_PGM_RSRC2:TRAP_HANDLER: 0
; COMPUTE_PGM_RSRC2:TGID_X_EN: 1
; COMPUTE_PGM_RSRC2:TGID_Y_EN: 0
; COMPUTE_PGM_RSRC2:TGID_Z_EN: 0
; COMPUTE_PGM_RSRC2:TIDIG_COMP_CNT: 0
	.section	.text._ZN9rocsparseL19gebsrmvn_4xn_kernelILj128ELj8ELj16EfEEvi20rocsparse_direction_NS_24const_host_device_scalarIT2_EEPKiS6_PKS3_S8_S4_PS3_21rocsparse_index_base_b,"axG",@progbits,_ZN9rocsparseL19gebsrmvn_4xn_kernelILj128ELj8ELj16EfEEvi20rocsparse_direction_NS_24const_host_device_scalarIT2_EEPKiS6_PKS3_S8_S4_PS3_21rocsparse_index_base_b,comdat
	.globl	_ZN9rocsparseL19gebsrmvn_4xn_kernelILj128ELj8ELj16EfEEvi20rocsparse_direction_NS_24const_host_device_scalarIT2_EEPKiS6_PKS3_S8_S4_PS3_21rocsparse_index_base_b ; -- Begin function _ZN9rocsparseL19gebsrmvn_4xn_kernelILj128ELj8ELj16EfEEvi20rocsparse_direction_NS_24const_host_device_scalarIT2_EEPKiS6_PKS3_S8_S4_PS3_21rocsparse_index_base_b
	.p2align	8
	.type	_ZN9rocsparseL19gebsrmvn_4xn_kernelILj128ELj8ELj16EfEEvi20rocsparse_direction_NS_24const_host_device_scalarIT2_EEPKiS6_PKS3_S8_S4_PS3_21rocsparse_index_base_b,@function
_ZN9rocsparseL19gebsrmvn_4xn_kernelILj128ELj8ELj16EfEEvi20rocsparse_direction_NS_24const_host_device_scalarIT2_EEPKiS6_PKS3_S8_S4_PS3_21rocsparse_index_base_b: ; @_ZN9rocsparseL19gebsrmvn_4xn_kernelILj128ELj8ELj16EfEEvi20rocsparse_direction_NS_24const_host_device_scalarIT2_EEPKiS6_PKS3_S8_S4_PS3_21rocsparse_index_base_b
; %bb.0:
	s_clause 0x2
	s_load_b64 s[16:17], s[0:1], 0x40
	s_load_b64 s[14:15], s[0:1], 0x8
	;; [unrolled: 1-line block ×3, first 2 shown]
	s_wait_kmcnt 0x0
	s_bitcmp1_b32 s17, 0
	s_cselect_b32 s2, -1, 0
	s_delay_alu instid0(SALU_CYCLE_1)
	s_and_b32 vcc_lo, exec_lo, s2
	s_xor_b32 s2, s2, -1
	s_cbranch_vccnz .LBB32_2
; %bb.1:
	s_load_b32 s14, s[14:15], 0x0
.LBB32_2:
	s_and_not1_b32 vcc_lo, exec_lo, s2
	s_cbranch_vccnz .LBB32_4
; %bb.3:
	s_load_b32 s12, s[12:13], 0x0
.LBB32_4:
	s_wait_kmcnt 0x0
	s_cmp_eq_f32 s14, 0
	s_cselect_b32 s2, -1, 0
	s_cmp_eq_f32 s12, 1.0
	s_cselect_b32 s3, -1, 0
	s_delay_alu instid0(SALU_CYCLE_1) | instskip(NEXT) | instid1(SALU_CYCLE_1)
	s_and_b32 s2, s2, s3
	s_and_b32 vcc_lo, exec_lo, s2
	s_cbranch_vccnz .LBB32_23
; %bb.5:
	s_load_b64 s[2:3], s[0:1], 0x0
	v_lshrrev_b32_e32 v1, 4, v0
	s_delay_alu instid0(VALU_DEP_1) | instskip(SKIP_1) | instid1(VALU_DEP_1)
	v_lshl_or_b32 v4, ttmp9, 3, v1
	s_wait_kmcnt 0x0
	v_cmp_gt_i32_e32 vcc_lo, s2, v4
	s_and_saveexec_b32 s2, vcc_lo
	s_cbranch_execz .LBB32_23
; %bb.6:
	s_load_b256 s[4:11], s[0:1], 0x10
	v_ashrrev_i32_e32 v5, 31, v4
	v_and_b32_e32 v7, 15, v0
	s_cmp_lg_u32 s3, 0
	s_delay_alu instid0(VALU_DEP_2) | instskip(SKIP_1) | instid1(VALU_DEP_1)
	v_lshlrev_b64_e32 v[1:2], 2, v[4:5]
	s_wait_kmcnt 0x0
	v_add_co_u32 v1, vcc_lo, s4, v1
	s_delay_alu instid0(VALU_DEP_1) | instskip(SKIP_4) | instid1(VALU_DEP_2)
	v_add_co_ci_u32_e64 v2, null, s5, v2, vcc_lo
	global_load_b64 v[1:2], v[1:2], off
	s_wait_loadcnt 0x0
	v_subrev_nc_u32_e32 v0, s16, v1
	v_subrev_nc_u32_e32 v12, s16, v2
	v_add_nc_u32_e32 v0, v0, v7
	s_delay_alu instid0(VALU_DEP_1)
	v_cmp_lt_i32_e64 s2, v0, v12
	s_cbranch_scc0 .LBB32_12
; %bb.7:
	v_dual_mov_b32 v8, 0 :: v_dual_mov_b32 v9, 0
	v_dual_mov_b32 v10, 0 :: v_dual_mov_b32 v11, 0
	s_and_saveexec_b32 s3, s2
	s_cbranch_execz .LBB32_11
; %bb.8:
	v_dual_mov_b32 v2, 0 :: v_dual_lshlrev_b32 v1, 5, v0
	v_mov_b32_e32 v5, v0
	s_mov_b32 s4, 0
	s_delay_alu instid0(VALU_DEP_2)
	v_dual_mov_b32 v8, v2 :: v_dual_mov_b32 v9, v2
	v_dual_mov_b32 v10, v2 :: v_dual_mov_b32 v11, v2
.LBB32_9:                               ; =>This Inner Loop Header: Depth=1
	s_delay_alu instid0(VALU_DEP_3) | instskip(NEXT) | instid1(VALU_DEP_1)
	v_ashrrev_i32_e32 v6, 31, v5
	v_lshlrev_b64_e32 v[13:14], 2, v[5:6]
	s_delay_alu instid0(VALU_DEP_1) | instskip(SKIP_1) | instid1(VALU_DEP_2)
	v_add_co_u32 v13, vcc_lo, s6, v13
	s_wait_alu 0xfffd
	v_add_co_ci_u32_e64 v14, null, s7, v14, vcc_lo
	global_load_b32 v3, v[13:14], off
	v_lshlrev_b64_e32 v[13:14], 2, v[1:2]
	s_delay_alu instid0(VALU_DEP_1) | instskip(SKIP_1) | instid1(VALU_DEP_2)
	v_add_co_u32 v49, vcc_lo, s8, v13
	s_wait_alu 0xfffd
	v_add_co_ci_u32_e64 v50, null, s9, v14, vcc_lo
	global_load_b128 v[13:16], v[49:50], off offset:16
	s_wait_loadcnt 0x1
	v_subrev_nc_u32_e32 v3, s16, v3
	s_delay_alu instid0(VALU_DEP_1) | instskip(NEXT) | instid1(VALU_DEP_1)
	v_dual_mov_b32 v18, v2 :: v_dual_lshlrev_b32 v17, 3, v3
	v_lshlrev_b64_e32 v[17:18], 2, v[17:18]
	s_delay_alu instid0(VALU_DEP_1) | instskip(SKIP_1) | instid1(VALU_DEP_2)
	v_add_co_u32 v25, vcc_lo, s10, v17
	s_wait_alu 0xfffd
	v_add_co_ci_u32_e64 v26, null, s11, v18, vcc_lo
	global_load_b128 v[17:20], v[49:50], off
	s_clause 0x1
	global_load_b128 v[21:24], v[25:26], off
	global_load_b128 v[25:28], v[25:26], off offset:16
	s_clause 0x5
	global_load_b128 v[29:32], v[49:50], off offset:32
	global_load_b128 v[33:36], v[49:50], off offset:48
	;; [unrolled: 1-line block ×6, first 2 shown]
	s_wait_loadcnt 0x7
	v_fmac_f32_e32 v11, v18, v21
	v_fmac_f32_e32 v8, v17, v21
	;; [unrolled: 1-line block ×3, first 2 shown]
	s_delay_alu instid0(VALU_DEP_3) | instskip(NEXT) | instid1(VALU_DEP_3)
	v_dual_fmac_f32 v10, v19, v21 :: v_dual_fmac_f32 v11, v14, v22
	v_fmac_f32_e32 v8, v13, v22
	s_delay_alu instid0(VALU_DEP_3) | instskip(SKIP_1) | instid1(VALU_DEP_3)
	v_fmac_f32_e32 v9, v16, v22
	s_wait_loadcnt 0x5
	v_dual_fmac_f32 v10, v15, v22 :: v_dual_fmac_f32 v11, v30, v23
	s_delay_alu instid0(VALU_DEP_3) | instskip(NEXT) | instid1(VALU_DEP_3)
	v_fmac_f32_e32 v8, v29, v23
	v_fmac_f32_e32 v9, v32, v23
	s_wait_loadcnt 0x4
	s_delay_alu instid0(VALU_DEP_3) | instskip(NEXT) | instid1(VALU_DEP_3)
	v_dual_fmac_f32 v10, v31, v23 :: v_dual_fmac_f32 v11, v34, v24
	v_fmac_f32_e32 v8, v33, v24
	s_delay_alu instid0(VALU_DEP_3) | instskip(SKIP_1) | instid1(VALU_DEP_3)
	v_fmac_f32_e32 v9, v36, v24
	s_wait_loadcnt 0x3
	v_dual_fmac_f32 v10, v35, v24 :: v_dual_fmac_f32 v11, v38, v25
	s_delay_alu instid0(VALU_DEP_3) | instskip(NEXT) | instid1(VALU_DEP_3)
	v_fmac_f32_e32 v8, v37, v25
	v_fmac_f32_e32 v9, v40, v25
	s_wait_loadcnt 0x2
	s_delay_alu instid0(VALU_DEP_3) | instskip(NEXT) | instid1(VALU_DEP_3)
	v_dual_fmac_f32 v10, v39, v25 :: v_dual_fmac_f32 v11, v42, v26
	v_fmac_f32_e32 v8, v41, v26
	s_delay_alu instid0(VALU_DEP_3) | instskip(NEXT) | instid1(VALU_DEP_3)
	v_fmac_f32_e32 v9, v44, v26
	v_dual_fmac_f32 v10, v43, v26 :: v_dual_add_nc_u32 v5, 16, v5
	s_wait_loadcnt 0x1
	s_delay_alu instid0(VALU_DEP_3) | instskip(SKIP_1) | instid1(VALU_DEP_3)
	v_dual_fmac_f32 v8, v45, v27 :: v_dual_add_nc_u32 v1, 0x200, v1
	v_fmac_f32_e32 v11, v46, v27
	v_fmac_f32_e32 v10, v47, v27
	;; [unrolled: 1-line block ×3, first 2 shown]
	v_cmp_ge_i32_e32 vcc_lo, v5, v12
	s_wait_loadcnt 0x0
	v_fmac_f32_e32 v8, v49, v28
	v_fmac_f32_e32 v11, v50, v28
	;; [unrolled: 1-line block ×4, first 2 shown]
	s_wait_alu 0xfffe
	s_or_b32 s4, vcc_lo, s4
	s_wait_alu 0xfffe
	s_and_not1_b32 exec_lo, exec_lo, s4
	s_cbranch_execnz .LBB32_9
; %bb.10:
	s_or_b32 exec_lo, exec_lo, s4
.LBB32_11:
	s_wait_alu 0xfffe
	s_or_b32 exec_lo, exec_lo, s3
	s_cbranch_execz .LBB32_13
	s_branch .LBB32_18
.LBB32_12:
                                        ; implicit-def: $vgpr8
                                        ; implicit-def: $vgpr9
                                        ; implicit-def: $vgpr10
                                        ; implicit-def: $vgpr11
.LBB32_13:
	v_dual_mov_b32 v8, 0 :: v_dual_mov_b32 v9, 0
	v_dual_mov_b32 v10, 0 :: v_dual_mov_b32 v11, 0
	s_and_saveexec_b32 s3, s2
	s_cbranch_execz .LBB32_17
; %bb.14:
	v_dual_mov_b32 v3, 0 :: v_dual_lshlrev_b32 v2, 5, v0
	s_mov_b32 s2, 0
	s_delay_alu instid0(VALU_DEP_1)
	v_dual_mov_b32 v8, v3 :: v_dual_mov_b32 v9, v3
	v_dual_mov_b32 v10, v3 :: v_dual_mov_b32 v11, v3
.LBB32_15:                              ; =>This Inner Loop Header: Depth=1
	v_ashrrev_i32_e32 v1, 31, v0
	s_delay_alu instid0(VALU_DEP_1) | instskip(NEXT) | instid1(VALU_DEP_1)
	v_lshlrev_b64_e32 v[5:6], 2, v[0:1]
	v_add_co_u32 v5, vcc_lo, s6, v5
	s_wait_alu 0xfffd
	s_delay_alu instid0(VALU_DEP_2) | instskip(SKIP_3) | instid1(VALU_DEP_2)
	v_add_co_ci_u32_e64 v6, null, s7, v6, vcc_lo
	global_load_b32 v1, v[5:6], off
	v_lshlrev_b64_e32 v[5:6], 2, v[2:3]
	v_add_nc_u32_e32 v2, 0x200, v2
	v_add_co_u32 v5, vcc_lo, s8, v5
	s_wait_alu 0xfffd
	s_delay_alu instid0(VALU_DEP_3)
	v_add_co_ci_u32_e64 v6, null, s9, v6, vcc_lo
	s_clause 0x6
	global_load_b128 v[13:16], v[5:6], off offset:48
	global_load_b128 v[17:20], v[5:6], off offset:32
	;; [unrolled: 1-line block ×3, first 2 shown]
	global_load_b128 v[25:28], v[5:6], off
	global_load_b128 v[29:32], v[5:6], off offset:80
	global_load_b128 v[33:36], v[5:6], off offset:112
	;; [unrolled: 1-line block ×3, first 2 shown]
	s_wait_loadcnt 0x7
	v_subrev_nc_u32_e32 v1, s16, v1
	s_delay_alu instid0(VALU_DEP_1) | instskip(NEXT) | instid1(VALU_DEP_1)
	v_dual_mov_b32 v42, v3 :: v_dual_lshlrev_b32 v41, 3, v1
	v_lshlrev_b64_e32 v[41:42], 2, v[41:42]
	s_delay_alu instid0(VALU_DEP_1) | instskip(SKIP_1) | instid1(VALU_DEP_2)
	v_add_co_u32 v49, vcc_lo, s10, v41
	s_wait_alu 0xfffd
	v_add_co_ci_u32_e64 v50, null, s11, v42, vcc_lo
	global_load_b128 v[41:44], v[5:6], off offset:64
	s_clause 0x1
	global_load_b128 v[45:48], v[49:50], off
	global_load_b128 v[49:52], v[49:50], off offset:16
	s_wait_loadcnt 0x1
	v_fmac_f32_e32 v11, v17, v45
	v_fmac_f32_e32 v8, v25, v45
	;; [unrolled: 1-line block ×3, first 2 shown]
	s_delay_alu instid0(VALU_DEP_3) | instskip(NEXT) | instid1(VALU_DEP_3)
	v_dual_fmac_f32 v10, v41, v45 :: v_dual_fmac_f32 v11, v18, v46
	v_fmac_f32_e32 v8, v26, v46
	s_delay_alu instid0(VALU_DEP_3) | instskip(NEXT) | instid1(VALU_DEP_3)
	v_fmac_f32_e32 v9, v38, v46
	v_dual_fmac_f32 v10, v42, v46 :: v_dual_fmac_f32 v11, v19, v47
	s_delay_alu instid0(VALU_DEP_3) | instskip(NEXT) | instid1(VALU_DEP_3)
	v_fmac_f32_e32 v8, v27, v47
	v_fmac_f32_e32 v9, v39, v47
	s_delay_alu instid0(VALU_DEP_3) | instskip(NEXT) | instid1(VALU_DEP_3)
	v_dual_fmac_f32 v10, v43, v47 :: v_dual_fmac_f32 v11, v20, v48
	v_fmac_f32_e32 v8, v28, v48
	s_delay_alu instid0(VALU_DEP_3) | instskip(SKIP_1) | instid1(VALU_DEP_3)
	v_fmac_f32_e32 v9, v40, v48
	s_wait_loadcnt 0x0
	v_dual_fmac_f32 v10, v44, v48 :: v_dual_fmac_f32 v11, v13, v49
	s_delay_alu instid0(VALU_DEP_1) | instskip(NEXT) | instid1(VALU_DEP_1)
	v_dual_fmac_f32 v8, v21, v49 :: v_dual_fmac_f32 v11, v14, v50
	v_dual_fmac_f32 v9, v33, v49 :: v_dual_fmac_f32 v8, v22, v50
	s_delay_alu instid0(VALU_DEP_2) | instskip(NEXT) | instid1(VALU_DEP_2)
	v_dual_fmac_f32 v10, v29, v49 :: v_dual_fmac_f32 v11, v15, v51
	v_dual_fmac_f32 v9, v34, v50 :: v_dual_add_nc_u32 v0, 16, v0
	s_delay_alu instid0(VALU_DEP_2) | instskip(NEXT) | instid1(VALU_DEP_3)
	v_fmac_f32_e32 v10, v30, v50
	v_dual_fmac_f32 v8, v23, v51 :: v_dual_fmac_f32 v11, v16, v52
	s_delay_alu instid0(VALU_DEP_3) | instskip(NEXT) | instid1(VALU_DEP_4)
	v_fmac_f32_e32 v9, v35, v51
	v_cmp_ge_i32_e32 vcc_lo, v0, v12
	s_delay_alu instid0(VALU_DEP_4) | instskip(NEXT) | instid1(VALU_DEP_4)
	v_fmac_f32_e32 v10, v31, v51
	v_fmac_f32_e32 v8, v24, v52
	s_delay_alu instid0(VALU_DEP_4)
	v_fmac_f32_e32 v9, v36, v52
	s_wait_alu 0xfffe
	s_or_b32 s2, vcc_lo, s2
	v_fmac_f32_e32 v10, v32, v52
	s_wait_alu 0xfffe
	s_and_not1_b32 exec_lo, exec_lo, s2
	s_cbranch_execnz .LBB32_15
; %bb.16:
	s_or_b32 exec_lo, exec_lo, s2
.LBB32_17:
	s_wait_alu 0xfffe
	s_or_b32 exec_lo, exec_lo, s3
.LBB32_18:
	v_mbcnt_lo_u32_b32 v0, -1, 0
	s_mov_b32 s2, -1
	s_delay_alu instid0(VALU_DEP_1) | instskip(SKIP_1) | instid1(VALU_DEP_2)
	v_xor_b32_e32 v1, 8, v0
	v_xor_b32_e32 v6, 4, v0
	v_cmp_gt_i32_e32 vcc_lo, 32, v1
	s_wait_alu 0xfffd
	v_cndmask_b32_e32 v1, v0, v1, vcc_lo
	s_delay_alu instid0(VALU_DEP_3) | instskip(SKIP_2) | instid1(VALU_DEP_1)
	v_cmp_gt_i32_e32 vcc_lo, 32, v6
	s_wait_alu 0xfffd
	v_cndmask_b32_e32 v6, v0, v6, vcc_lo
	v_lshlrev_b32_e32 v6, 2, v6
	v_lshlrev_b32_e32 v1, 2, v1
	ds_bpermute_b32 v2, v1, v8
	s_wait_dscnt 0x0
	v_add_f32_e32 v2, v8, v2
	ds_bpermute_b32 v3, v1, v11
	ds_bpermute_b32 v5, v1, v10
	;; [unrolled: 1-line block ×4, first 2 shown]
	s_wait_dscnt 0x3
	v_add_f32_e32 v3, v11, v3
	v_xor_b32_e32 v11, 2, v0
	s_wait_dscnt 0x0
	v_dual_add_f32 v1, v9, v1 :: v_dual_add_f32 v2, v2, v8
	v_add_f32_e32 v5, v10, v5
	ds_bpermute_b32 v9, v6, v3
	v_cmp_gt_i32_e32 vcc_lo, 32, v11
	ds_bpermute_b32 v10, v6, v5
	ds_bpermute_b32 v6, v6, v1
	s_wait_alu 0xfffd
	v_cndmask_b32_e32 v11, v0, v11, vcc_lo
	s_wait_dscnt 0x0
	v_dual_add_f32 v3, v3, v9 :: v_dual_add_f32 v6, v1, v6
	v_add_f32_e32 v5, v5, v10
	s_delay_alu instid0(VALU_DEP_3)
	v_lshlrev_b32_e32 v11, 2, v11
	ds_bpermute_b32 v1, v11, v2
	ds_bpermute_b32 v8, v11, v3
	;; [unrolled: 1-line block ×4, first 2 shown]
	v_xor_b32_e32 v11, 1, v0
	s_delay_alu instid0(VALU_DEP_1) | instskip(SKIP_4) | instid1(VALU_DEP_2)
	v_cmp_gt_i32_e32 vcc_lo, 32, v11
	s_wait_alu 0xfffd
	v_cndmask_b32_e32 v0, v0, v11, vcc_lo
	v_cmp_eq_u32_e32 vcc_lo, 15, v7
	s_wait_dscnt 0x3
	v_dual_add_f32 v0, v2, v1 :: v_dual_lshlrev_b32 v11, 2, v0
	s_wait_dscnt 0x1
	v_dual_add_f32 v1, v3, v8 :: v_dual_add_f32 v2, v5, v9
	s_wait_dscnt 0x0
	v_add_f32_e32 v3, v6, v10
	ds_bpermute_b32 v5, v11, v0
	ds_bpermute_b32 v6, v11, v1
	;; [unrolled: 1-line block ×4, first 2 shown]
	s_and_b32 exec_lo, exec_lo, vcc_lo
	s_cbranch_execz .LBB32_23
; %bb.19:
	s_load_b64 s[0:1], s[0:1], 0x38
	s_wait_dscnt 0x2
	v_dual_add_f32 v0, v0, v5 :: v_dual_add_f32 v1, v1, v6
	s_wait_dscnt 0x0
	v_dual_add_f32 v2, v2, v8 :: v_dual_add_f32 v3, v3, v9
	v_lshlrev_b32_e32 v4, 2, v4
	s_delay_alu instid0(VALU_DEP_3) | instskip(NEXT) | instid1(VALU_DEP_3)
	v_dual_mul_f32 v0, s14, v0 :: v_dual_mul_f32 v1, s14, v1
	v_dual_mul_f32 v2, s14, v2 :: v_dual_mul_f32 v3, s14, v3
	s_cmp_eq_f32 s12, 0
	s_cbranch_scc0 .LBB32_21
; %bb.20:
	v_ashrrev_i32_e32 v5, 31, v4
	s_mov_b32 s2, 0
	s_delay_alu instid0(VALU_DEP_1) | instskip(SKIP_1) | instid1(VALU_DEP_1)
	v_lshlrev_b64_e32 v[5:6], 2, v[4:5]
	s_wait_kmcnt 0x0
	v_add_co_u32 v5, vcc_lo, s0, v5
	s_wait_alu 0xfffd
	s_delay_alu instid0(VALU_DEP_2)
	v_add_co_ci_u32_e64 v6, null, s1, v6, vcc_lo
	global_store_b128 v[5:6], v[0:3], off
.LBB32_21:
	s_wait_alu 0xfffe
	s_and_not1_b32 vcc_lo, exec_lo, s2
	s_wait_alu 0xfffe
	s_cbranch_vccnz .LBB32_23
; %bb.22:
	v_ashrrev_i32_e32 v5, 31, v4
	s_delay_alu instid0(VALU_DEP_1) | instskip(SKIP_1) | instid1(VALU_DEP_1)
	v_lshlrev_b64_e32 v[4:5], 2, v[4:5]
	s_wait_kmcnt 0x0
	v_add_co_u32 v8, vcc_lo, s0, v4
	s_wait_alu 0xfffd
	s_delay_alu instid0(VALU_DEP_2)
	v_add_co_ci_u32_e64 v9, null, s1, v5, vcc_lo
	global_load_b128 v[4:7], v[8:9], off
	s_wait_loadcnt 0x0
	v_dual_fmac_f32 v0, s12, v4 :: v_dual_fmac_f32 v1, s12, v5
	v_dual_fmac_f32 v2, s12, v6 :: v_dual_fmac_f32 v3, s12, v7
	global_store_b128 v[8:9], v[0:3], off
.LBB32_23:
	s_endpgm
	.section	.rodata,"a",@progbits
	.p2align	6, 0x0
	.amdhsa_kernel _ZN9rocsparseL19gebsrmvn_4xn_kernelILj128ELj8ELj16EfEEvi20rocsparse_direction_NS_24const_host_device_scalarIT2_EEPKiS6_PKS3_S8_S4_PS3_21rocsparse_index_base_b
		.amdhsa_group_segment_fixed_size 0
		.amdhsa_private_segment_fixed_size 0
		.amdhsa_kernarg_size 72
		.amdhsa_user_sgpr_count 2
		.amdhsa_user_sgpr_dispatch_ptr 0
		.amdhsa_user_sgpr_queue_ptr 0
		.amdhsa_user_sgpr_kernarg_segment_ptr 1
		.amdhsa_user_sgpr_dispatch_id 0
		.amdhsa_user_sgpr_private_segment_size 0
		.amdhsa_wavefront_size32 1
		.amdhsa_uses_dynamic_stack 0
		.amdhsa_enable_private_segment 0
		.amdhsa_system_sgpr_workgroup_id_x 1
		.amdhsa_system_sgpr_workgroup_id_y 0
		.amdhsa_system_sgpr_workgroup_id_z 0
		.amdhsa_system_sgpr_workgroup_info 0
		.amdhsa_system_vgpr_workitem_id 0
		.amdhsa_next_free_vgpr 53
		.amdhsa_next_free_sgpr 18
		.amdhsa_reserve_vcc 1
		.amdhsa_float_round_mode_32 0
		.amdhsa_float_round_mode_16_64 0
		.amdhsa_float_denorm_mode_32 3
		.amdhsa_float_denorm_mode_16_64 3
		.amdhsa_fp16_overflow 0
		.amdhsa_workgroup_processor_mode 1
		.amdhsa_memory_ordered 1
		.amdhsa_forward_progress 1
		.amdhsa_inst_pref_size 15
		.amdhsa_round_robin_scheduling 0
		.amdhsa_exception_fp_ieee_invalid_op 0
		.amdhsa_exception_fp_denorm_src 0
		.amdhsa_exception_fp_ieee_div_zero 0
		.amdhsa_exception_fp_ieee_overflow 0
		.amdhsa_exception_fp_ieee_underflow 0
		.amdhsa_exception_fp_ieee_inexact 0
		.amdhsa_exception_int_div_zero 0
	.end_amdhsa_kernel
	.section	.text._ZN9rocsparseL19gebsrmvn_4xn_kernelILj128ELj8ELj16EfEEvi20rocsparse_direction_NS_24const_host_device_scalarIT2_EEPKiS6_PKS3_S8_S4_PS3_21rocsparse_index_base_b,"axG",@progbits,_ZN9rocsparseL19gebsrmvn_4xn_kernelILj128ELj8ELj16EfEEvi20rocsparse_direction_NS_24const_host_device_scalarIT2_EEPKiS6_PKS3_S8_S4_PS3_21rocsparse_index_base_b,comdat
.Lfunc_end32:
	.size	_ZN9rocsparseL19gebsrmvn_4xn_kernelILj128ELj8ELj16EfEEvi20rocsparse_direction_NS_24const_host_device_scalarIT2_EEPKiS6_PKS3_S8_S4_PS3_21rocsparse_index_base_b, .Lfunc_end32-_ZN9rocsparseL19gebsrmvn_4xn_kernelILj128ELj8ELj16EfEEvi20rocsparse_direction_NS_24const_host_device_scalarIT2_EEPKiS6_PKS3_S8_S4_PS3_21rocsparse_index_base_b
                                        ; -- End function
	.set _ZN9rocsparseL19gebsrmvn_4xn_kernelILj128ELj8ELj16EfEEvi20rocsparse_direction_NS_24const_host_device_scalarIT2_EEPKiS6_PKS3_S8_S4_PS3_21rocsparse_index_base_b.num_vgpr, 53
	.set _ZN9rocsparseL19gebsrmvn_4xn_kernelILj128ELj8ELj16EfEEvi20rocsparse_direction_NS_24const_host_device_scalarIT2_EEPKiS6_PKS3_S8_S4_PS3_21rocsparse_index_base_b.num_agpr, 0
	.set _ZN9rocsparseL19gebsrmvn_4xn_kernelILj128ELj8ELj16EfEEvi20rocsparse_direction_NS_24const_host_device_scalarIT2_EEPKiS6_PKS3_S8_S4_PS3_21rocsparse_index_base_b.numbered_sgpr, 18
	.set _ZN9rocsparseL19gebsrmvn_4xn_kernelILj128ELj8ELj16EfEEvi20rocsparse_direction_NS_24const_host_device_scalarIT2_EEPKiS6_PKS3_S8_S4_PS3_21rocsparse_index_base_b.num_named_barrier, 0
	.set _ZN9rocsparseL19gebsrmvn_4xn_kernelILj128ELj8ELj16EfEEvi20rocsparse_direction_NS_24const_host_device_scalarIT2_EEPKiS6_PKS3_S8_S4_PS3_21rocsparse_index_base_b.private_seg_size, 0
	.set _ZN9rocsparseL19gebsrmvn_4xn_kernelILj128ELj8ELj16EfEEvi20rocsparse_direction_NS_24const_host_device_scalarIT2_EEPKiS6_PKS3_S8_S4_PS3_21rocsparse_index_base_b.uses_vcc, 1
	.set _ZN9rocsparseL19gebsrmvn_4xn_kernelILj128ELj8ELj16EfEEvi20rocsparse_direction_NS_24const_host_device_scalarIT2_EEPKiS6_PKS3_S8_S4_PS3_21rocsparse_index_base_b.uses_flat_scratch, 0
	.set _ZN9rocsparseL19gebsrmvn_4xn_kernelILj128ELj8ELj16EfEEvi20rocsparse_direction_NS_24const_host_device_scalarIT2_EEPKiS6_PKS3_S8_S4_PS3_21rocsparse_index_base_b.has_dyn_sized_stack, 0
	.set _ZN9rocsparseL19gebsrmvn_4xn_kernelILj128ELj8ELj16EfEEvi20rocsparse_direction_NS_24const_host_device_scalarIT2_EEPKiS6_PKS3_S8_S4_PS3_21rocsparse_index_base_b.has_recursion, 0
	.set _ZN9rocsparseL19gebsrmvn_4xn_kernelILj128ELj8ELj16EfEEvi20rocsparse_direction_NS_24const_host_device_scalarIT2_EEPKiS6_PKS3_S8_S4_PS3_21rocsparse_index_base_b.has_indirect_call, 0
	.section	.AMDGPU.csdata,"",@progbits
; Kernel info:
; codeLenInByte = 1896
; TotalNumSgprs: 20
; NumVgprs: 53
; ScratchSize: 0
; MemoryBound: 0
; FloatMode: 240
; IeeeMode: 1
; LDSByteSize: 0 bytes/workgroup (compile time only)
; SGPRBlocks: 0
; VGPRBlocks: 6
; NumSGPRsForWavesPerEU: 20
; NumVGPRsForWavesPerEU: 53
; Occupancy: 16
; WaveLimiterHint : 1
; COMPUTE_PGM_RSRC2:SCRATCH_EN: 0
; COMPUTE_PGM_RSRC2:USER_SGPR: 2
; COMPUTE_PGM_RSRC2:TRAP_HANDLER: 0
; COMPUTE_PGM_RSRC2:TGID_X_EN: 1
; COMPUTE_PGM_RSRC2:TGID_Y_EN: 0
; COMPUTE_PGM_RSRC2:TGID_Z_EN: 0
; COMPUTE_PGM_RSRC2:TIDIG_COMP_CNT: 0
	.section	.text._ZN9rocsparseL19gebsrmvn_4xn_kernelILj128ELj8ELj32EfEEvi20rocsparse_direction_NS_24const_host_device_scalarIT2_EEPKiS6_PKS3_S8_S4_PS3_21rocsparse_index_base_b,"axG",@progbits,_ZN9rocsparseL19gebsrmvn_4xn_kernelILj128ELj8ELj32EfEEvi20rocsparse_direction_NS_24const_host_device_scalarIT2_EEPKiS6_PKS3_S8_S4_PS3_21rocsparse_index_base_b,comdat
	.globl	_ZN9rocsparseL19gebsrmvn_4xn_kernelILj128ELj8ELj32EfEEvi20rocsparse_direction_NS_24const_host_device_scalarIT2_EEPKiS6_PKS3_S8_S4_PS3_21rocsparse_index_base_b ; -- Begin function _ZN9rocsparseL19gebsrmvn_4xn_kernelILj128ELj8ELj32EfEEvi20rocsparse_direction_NS_24const_host_device_scalarIT2_EEPKiS6_PKS3_S8_S4_PS3_21rocsparse_index_base_b
	.p2align	8
	.type	_ZN9rocsparseL19gebsrmvn_4xn_kernelILj128ELj8ELj32EfEEvi20rocsparse_direction_NS_24const_host_device_scalarIT2_EEPKiS6_PKS3_S8_S4_PS3_21rocsparse_index_base_b,@function
_ZN9rocsparseL19gebsrmvn_4xn_kernelILj128ELj8ELj32EfEEvi20rocsparse_direction_NS_24const_host_device_scalarIT2_EEPKiS6_PKS3_S8_S4_PS3_21rocsparse_index_base_b: ; @_ZN9rocsparseL19gebsrmvn_4xn_kernelILj128ELj8ELj32EfEEvi20rocsparse_direction_NS_24const_host_device_scalarIT2_EEPKiS6_PKS3_S8_S4_PS3_21rocsparse_index_base_b
; %bb.0:
	s_clause 0x2
	s_load_b64 s[16:17], s[0:1], 0x40
	s_load_b64 s[14:15], s[0:1], 0x8
	;; [unrolled: 1-line block ×3, first 2 shown]
	s_wait_kmcnt 0x0
	s_bitcmp1_b32 s17, 0
	s_cselect_b32 s2, -1, 0
	s_delay_alu instid0(SALU_CYCLE_1)
	s_and_b32 vcc_lo, exec_lo, s2
	s_xor_b32 s2, s2, -1
	s_cbranch_vccnz .LBB33_2
; %bb.1:
	s_load_b32 s14, s[14:15], 0x0
.LBB33_2:
	s_and_not1_b32 vcc_lo, exec_lo, s2
	s_cbranch_vccnz .LBB33_4
; %bb.3:
	s_load_b32 s12, s[12:13], 0x0
.LBB33_4:
	s_wait_kmcnt 0x0
	s_cmp_eq_f32 s14, 0
	s_cselect_b32 s2, -1, 0
	s_cmp_eq_f32 s12, 1.0
	s_cselect_b32 s3, -1, 0
	s_delay_alu instid0(SALU_CYCLE_1) | instskip(NEXT) | instid1(SALU_CYCLE_1)
	s_and_b32 s2, s2, s3
	s_and_b32 vcc_lo, exec_lo, s2
	s_cbranch_vccnz .LBB33_23
; %bb.5:
	s_load_b64 s[2:3], s[0:1], 0x0
	v_lshrrev_b32_e32 v1, 5, v0
	s_delay_alu instid0(VALU_DEP_1) | instskip(SKIP_1) | instid1(VALU_DEP_1)
	v_lshl_or_b32 v4, ttmp9, 2, v1
	s_wait_kmcnt 0x0
	v_cmp_gt_i32_e32 vcc_lo, s2, v4
	s_and_saveexec_b32 s2, vcc_lo
	s_cbranch_execz .LBB33_23
; %bb.6:
	s_load_b256 s[4:11], s[0:1], 0x10
	v_ashrrev_i32_e32 v5, 31, v4
	v_and_b32_e32 v7, 31, v0
	s_cmp_lg_u32 s3, 0
	s_delay_alu instid0(VALU_DEP_2) | instskip(SKIP_1) | instid1(VALU_DEP_1)
	v_lshlrev_b64_e32 v[1:2], 2, v[4:5]
	s_wait_kmcnt 0x0
	v_add_co_u32 v1, vcc_lo, s4, v1
	s_delay_alu instid0(VALU_DEP_1) | instskip(SKIP_4) | instid1(VALU_DEP_2)
	v_add_co_ci_u32_e64 v2, null, s5, v2, vcc_lo
	global_load_b64 v[1:2], v[1:2], off
	s_wait_loadcnt 0x0
	v_subrev_nc_u32_e32 v0, s16, v1
	v_subrev_nc_u32_e32 v12, s16, v2
	v_add_nc_u32_e32 v0, v0, v7
	s_delay_alu instid0(VALU_DEP_1)
	v_cmp_lt_i32_e64 s2, v0, v12
	s_cbranch_scc0 .LBB33_12
; %bb.7:
	v_dual_mov_b32 v8, 0 :: v_dual_mov_b32 v9, 0
	v_dual_mov_b32 v10, 0 :: v_dual_mov_b32 v11, 0
	s_and_saveexec_b32 s3, s2
	s_cbranch_execz .LBB33_11
; %bb.8:
	v_dual_mov_b32 v2, 0 :: v_dual_lshlrev_b32 v1, 5, v0
	v_mov_b32_e32 v5, v0
	s_mov_b32 s4, 0
	s_delay_alu instid0(VALU_DEP_2)
	v_dual_mov_b32 v8, v2 :: v_dual_mov_b32 v9, v2
	v_dual_mov_b32 v10, v2 :: v_dual_mov_b32 v11, v2
.LBB33_9:                               ; =>This Inner Loop Header: Depth=1
	s_delay_alu instid0(VALU_DEP_3) | instskip(NEXT) | instid1(VALU_DEP_1)
	v_ashrrev_i32_e32 v6, 31, v5
	v_lshlrev_b64_e32 v[13:14], 2, v[5:6]
	s_delay_alu instid0(VALU_DEP_1) | instskip(SKIP_1) | instid1(VALU_DEP_2)
	v_add_co_u32 v13, vcc_lo, s6, v13
	s_wait_alu 0xfffd
	v_add_co_ci_u32_e64 v14, null, s7, v14, vcc_lo
	global_load_b32 v3, v[13:14], off
	v_lshlrev_b64_e32 v[13:14], 2, v[1:2]
	s_delay_alu instid0(VALU_DEP_1) | instskip(SKIP_1) | instid1(VALU_DEP_2)
	v_add_co_u32 v49, vcc_lo, s8, v13
	s_wait_alu 0xfffd
	v_add_co_ci_u32_e64 v50, null, s9, v14, vcc_lo
	global_load_b128 v[13:16], v[49:50], off offset:16
	s_wait_loadcnt 0x1
	v_subrev_nc_u32_e32 v3, s16, v3
	s_delay_alu instid0(VALU_DEP_1) | instskip(NEXT) | instid1(VALU_DEP_1)
	v_dual_mov_b32 v18, v2 :: v_dual_lshlrev_b32 v17, 3, v3
	v_lshlrev_b64_e32 v[17:18], 2, v[17:18]
	s_delay_alu instid0(VALU_DEP_1) | instskip(SKIP_1) | instid1(VALU_DEP_2)
	v_add_co_u32 v25, vcc_lo, s10, v17
	s_wait_alu 0xfffd
	v_add_co_ci_u32_e64 v26, null, s11, v18, vcc_lo
	global_load_b128 v[17:20], v[49:50], off
	s_clause 0x1
	global_load_b128 v[21:24], v[25:26], off
	global_load_b128 v[25:28], v[25:26], off offset:16
	s_clause 0x5
	global_load_b128 v[29:32], v[49:50], off offset:32
	global_load_b128 v[33:36], v[49:50], off offset:48
	;; [unrolled: 1-line block ×6, first 2 shown]
	s_wait_loadcnt 0x7
	v_fmac_f32_e32 v11, v18, v21
	v_fmac_f32_e32 v8, v17, v21
	;; [unrolled: 1-line block ×3, first 2 shown]
	s_delay_alu instid0(VALU_DEP_3) | instskip(NEXT) | instid1(VALU_DEP_3)
	v_dual_fmac_f32 v10, v19, v21 :: v_dual_fmac_f32 v11, v14, v22
	v_fmac_f32_e32 v8, v13, v22
	s_delay_alu instid0(VALU_DEP_3) | instskip(SKIP_1) | instid1(VALU_DEP_3)
	v_fmac_f32_e32 v9, v16, v22
	s_wait_loadcnt 0x5
	v_dual_fmac_f32 v10, v15, v22 :: v_dual_fmac_f32 v11, v30, v23
	s_delay_alu instid0(VALU_DEP_3) | instskip(NEXT) | instid1(VALU_DEP_3)
	v_fmac_f32_e32 v8, v29, v23
	v_fmac_f32_e32 v9, v32, v23
	s_wait_loadcnt 0x4
	s_delay_alu instid0(VALU_DEP_3) | instskip(NEXT) | instid1(VALU_DEP_3)
	v_dual_fmac_f32 v10, v31, v23 :: v_dual_fmac_f32 v11, v34, v24
	v_fmac_f32_e32 v8, v33, v24
	s_delay_alu instid0(VALU_DEP_3) | instskip(SKIP_1) | instid1(VALU_DEP_3)
	v_fmac_f32_e32 v9, v36, v24
	s_wait_loadcnt 0x3
	v_dual_fmac_f32 v10, v35, v24 :: v_dual_fmac_f32 v11, v38, v25
	s_delay_alu instid0(VALU_DEP_3) | instskip(NEXT) | instid1(VALU_DEP_3)
	v_fmac_f32_e32 v8, v37, v25
	v_fmac_f32_e32 v9, v40, v25
	s_wait_loadcnt 0x2
	s_delay_alu instid0(VALU_DEP_3) | instskip(NEXT) | instid1(VALU_DEP_3)
	v_dual_fmac_f32 v10, v39, v25 :: v_dual_fmac_f32 v11, v42, v26
	v_fmac_f32_e32 v8, v41, v26
	s_delay_alu instid0(VALU_DEP_3) | instskip(NEXT) | instid1(VALU_DEP_3)
	v_fmac_f32_e32 v9, v44, v26
	v_dual_fmac_f32 v10, v43, v26 :: v_dual_add_nc_u32 v5, 32, v5
	s_wait_loadcnt 0x1
	s_delay_alu instid0(VALU_DEP_3) | instskip(SKIP_1) | instid1(VALU_DEP_3)
	v_dual_fmac_f32 v8, v45, v27 :: v_dual_add_nc_u32 v1, 0x400, v1
	v_fmac_f32_e32 v11, v46, v27
	v_fmac_f32_e32 v10, v47, v27
	;; [unrolled: 1-line block ×3, first 2 shown]
	v_cmp_ge_i32_e32 vcc_lo, v5, v12
	s_wait_loadcnt 0x0
	v_fmac_f32_e32 v8, v49, v28
	v_fmac_f32_e32 v11, v50, v28
	;; [unrolled: 1-line block ×4, first 2 shown]
	s_wait_alu 0xfffe
	s_or_b32 s4, vcc_lo, s4
	s_wait_alu 0xfffe
	s_and_not1_b32 exec_lo, exec_lo, s4
	s_cbranch_execnz .LBB33_9
; %bb.10:
	s_or_b32 exec_lo, exec_lo, s4
.LBB33_11:
	s_wait_alu 0xfffe
	s_or_b32 exec_lo, exec_lo, s3
	s_cbranch_execz .LBB33_13
	s_branch .LBB33_18
.LBB33_12:
                                        ; implicit-def: $vgpr8
                                        ; implicit-def: $vgpr9
                                        ; implicit-def: $vgpr10
                                        ; implicit-def: $vgpr11
.LBB33_13:
	v_dual_mov_b32 v8, 0 :: v_dual_mov_b32 v9, 0
	v_dual_mov_b32 v10, 0 :: v_dual_mov_b32 v11, 0
	s_and_saveexec_b32 s3, s2
	s_cbranch_execz .LBB33_17
; %bb.14:
	v_dual_mov_b32 v3, 0 :: v_dual_lshlrev_b32 v2, 5, v0
	s_mov_b32 s2, 0
	s_delay_alu instid0(VALU_DEP_1)
	v_dual_mov_b32 v8, v3 :: v_dual_mov_b32 v9, v3
	v_dual_mov_b32 v10, v3 :: v_dual_mov_b32 v11, v3
.LBB33_15:                              ; =>This Inner Loop Header: Depth=1
	v_ashrrev_i32_e32 v1, 31, v0
	s_delay_alu instid0(VALU_DEP_1) | instskip(NEXT) | instid1(VALU_DEP_1)
	v_lshlrev_b64_e32 v[5:6], 2, v[0:1]
	v_add_co_u32 v5, vcc_lo, s6, v5
	s_wait_alu 0xfffd
	s_delay_alu instid0(VALU_DEP_2) | instskip(SKIP_3) | instid1(VALU_DEP_2)
	v_add_co_ci_u32_e64 v6, null, s7, v6, vcc_lo
	global_load_b32 v1, v[5:6], off
	v_lshlrev_b64_e32 v[5:6], 2, v[2:3]
	v_add_nc_u32_e32 v2, 0x400, v2
	v_add_co_u32 v5, vcc_lo, s8, v5
	s_wait_alu 0xfffd
	s_delay_alu instid0(VALU_DEP_3)
	v_add_co_ci_u32_e64 v6, null, s9, v6, vcc_lo
	s_clause 0x6
	global_load_b128 v[13:16], v[5:6], off offset:48
	global_load_b128 v[17:20], v[5:6], off offset:32
	;; [unrolled: 1-line block ×3, first 2 shown]
	global_load_b128 v[25:28], v[5:6], off
	global_load_b128 v[29:32], v[5:6], off offset:80
	global_load_b128 v[33:36], v[5:6], off offset:112
	;; [unrolled: 1-line block ×3, first 2 shown]
	s_wait_loadcnt 0x7
	v_subrev_nc_u32_e32 v1, s16, v1
	s_delay_alu instid0(VALU_DEP_1) | instskip(NEXT) | instid1(VALU_DEP_1)
	v_dual_mov_b32 v42, v3 :: v_dual_lshlrev_b32 v41, 3, v1
	v_lshlrev_b64_e32 v[41:42], 2, v[41:42]
	s_delay_alu instid0(VALU_DEP_1) | instskip(SKIP_1) | instid1(VALU_DEP_2)
	v_add_co_u32 v49, vcc_lo, s10, v41
	s_wait_alu 0xfffd
	v_add_co_ci_u32_e64 v50, null, s11, v42, vcc_lo
	global_load_b128 v[41:44], v[5:6], off offset:64
	s_clause 0x1
	global_load_b128 v[45:48], v[49:50], off
	global_load_b128 v[49:52], v[49:50], off offset:16
	s_wait_loadcnt 0x1
	v_fmac_f32_e32 v11, v17, v45
	v_fmac_f32_e32 v8, v25, v45
	;; [unrolled: 1-line block ×3, first 2 shown]
	s_delay_alu instid0(VALU_DEP_3) | instskip(NEXT) | instid1(VALU_DEP_3)
	v_dual_fmac_f32 v10, v41, v45 :: v_dual_fmac_f32 v11, v18, v46
	v_fmac_f32_e32 v8, v26, v46
	s_delay_alu instid0(VALU_DEP_3) | instskip(NEXT) | instid1(VALU_DEP_3)
	v_fmac_f32_e32 v9, v38, v46
	v_dual_fmac_f32 v10, v42, v46 :: v_dual_fmac_f32 v11, v19, v47
	s_delay_alu instid0(VALU_DEP_3) | instskip(NEXT) | instid1(VALU_DEP_3)
	v_fmac_f32_e32 v8, v27, v47
	v_fmac_f32_e32 v9, v39, v47
	s_delay_alu instid0(VALU_DEP_3) | instskip(NEXT) | instid1(VALU_DEP_3)
	v_dual_fmac_f32 v10, v43, v47 :: v_dual_fmac_f32 v11, v20, v48
	v_fmac_f32_e32 v8, v28, v48
	s_delay_alu instid0(VALU_DEP_3) | instskip(SKIP_1) | instid1(VALU_DEP_3)
	v_fmac_f32_e32 v9, v40, v48
	s_wait_loadcnt 0x0
	v_dual_fmac_f32 v10, v44, v48 :: v_dual_fmac_f32 v11, v13, v49
	s_delay_alu instid0(VALU_DEP_1) | instskip(NEXT) | instid1(VALU_DEP_1)
	v_dual_fmac_f32 v8, v21, v49 :: v_dual_fmac_f32 v11, v14, v50
	v_dual_fmac_f32 v9, v33, v49 :: v_dual_fmac_f32 v8, v22, v50
	s_delay_alu instid0(VALU_DEP_2) | instskip(NEXT) | instid1(VALU_DEP_2)
	v_dual_fmac_f32 v10, v29, v49 :: v_dual_fmac_f32 v11, v15, v51
	v_dual_fmac_f32 v9, v34, v50 :: v_dual_add_nc_u32 v0, 32, v0
	s_delay_alu instid0(VALU_DEP_2) | instskip(NEXT) | instid1(VALU_DEP_3)
	v_fmac_f32_e32 v10, v30, v50
	v_dual_fmac_f32 v8, v23, v51 :: v_dual_fmac_f32 v11, v16, v52
	s_delay_alu instid0(VALU_DEP_3) | instskip(NEXT) | instid1(VALU_DEP_4)
	v_fmac_f32_e32 v9, v35, v51
	v_cmp_ge_i32_e32 vcc_lo, v0, v12
	s_delay_alu instid0(VALU_DEP_4) | instskip(NEXT) | instid1(VALU_DEP_4)
	v_fmac_f32_e32 v10, v31, v51
	v_fmac_f32_e32 v8, v24, v52
	s_delay_alu instid0(VALU_DEP_4)
	v_fmac_f32_e32 v9, v36, v52
	s_wait_alu 0xfffe
	s_or_b32 s2, vcc_lo, s2
	v_fmac_f32_e32 v10, v32, v52
	s_wait_alu 0xfffe
	s_and_not1_b32 exec_lo, exec_lo, s2
	s_cbranch_execnz .LBB33_15
; %bb.16:
	s_or_b32 exec_lo, exec_lo, s2
.LBB33_17:
	s_wait_alu 0xfffe
	s_or_b32 exec_lo, exec_lo, s3
.LBB33_18:
	v_mbcnt_lo_u32_b32 v0, -1, 0
	s_mov_b32 s2, -1
	s_delay_alu instid0(VALU_DEP_1) | instskip(SKIP_1) | instid1(VALU_DEP_2)
	v_xor_b32_e32 v1, 16, v0
	v_xor_b32_e32 v6, 8, v0
	v_cmp_gt_i32_e32 vcc_lo, 32, v1
	s_wait_alu 0xfffd
	v_cndmask_b32_e32 v1, v0, v1, vcc_lo
	s_delay_alu instid0(VALU_DEP_3) | instskip(SKIP_2) | instid1(VALU_DEP_1)
	v_cmp_gt_i32_e32 vcc_lo, 32, v6
	s_wait_alu 0xfffd
	v_cndmask_b32_e32 v6, v0, v6, vcc_lo
	v_lshlrev_b32_e32 v6, 2, v6
	v_lshlrev_b32_e32 v1, 2, v1
	ds_bpermute_b32 v2, v1, v8
	s_wait_dscnt 0x0
	v_add_f32_e32 v2, v8, v2
	ds_bpermute_b32 v5, v1, v10
	ds_bpermute_b32 v3, v1, v11
	;; [unrolled: 1-line block ×4, first 2 shown]
	s_wait_dscnt 0x3
	v_add_f32_e32 v5, v10, v5
	s_wait_dscnt 0x2
	v_add_f32_e32 v3, v11, v3
	;; [unrolled: 2-line block ×3, first 2 shown]
	v_xor_b32_e32 v11, 4, v0
	s_wait_dscnt 0x0
	v_add_f32_e32 v2, v2, v8
	ds_bpermute_b32 v10, v6, v5
	ds_bpermute_b32 v9, v6, v3
	;; [unrolled: 1-line block ×3, first 2 shown]
	v_cmp_gt_i32_e32 vcc_lo, 32, v11
	s_wait_alu 0xfffd
	v_cndmask_b32_e32 v11, v0, v11, vcc_lo
	s_delay_alu instid0(VALU_DEP_1)
	v_lshlrev_b32_e32 v11, 2, v11
	s_wait_dscnt 0x2
	v_add_f32_e32 v5, v5, v10
	s_wait_dscnt 0x1
	v_add_f32_e32 v3, v3, v9
	;; [unrolled: 2-line block ×3, first 2 shown]
	ds_bpermute_b32 v6, v11, v2
	ds_bpermute_b32 v9, v11, v5
	;; [unrolled: 1-line block ×4, first 2 shown]
	v_xor_b32_e32 v11, 2, v0
	s_delay_alu instid0(VALU_DEP_1)
	v_cmp_gt_i32_e32 vcc_lo, 32, v11
	s_wait_dscnt 0x2
	v_dual_add_f32 v2, v2, v6 :: v_dual_add_f32 v5, v5, v9
	s_wait_alu 0xfffd
	v_cndmask_b32_e32 v11, v0, v11, vcc_lo
	s_wait_dscnt 0x0
	v_dual_add_f32 v3, v3, v8 :: v_dual_add_f32 v6, v1, v10
	s_delay_alu instid0(VALU_DEP_2)
	v_lshlrev_b32_e32 v11, 2, v11
	ds_bpermute_b32 v1, v11, v2
	ds_bpermute_b32 v8, v11, v3
	;; [unrolled: 1-line block ×4, first 2 shown]
	v_xor_b32_e32 v11, 1, v0
	s_delay_alu instid0(VALU_DEP_1) | instskip(SKIP_4) | instid1(VALU_DEP_2)
	v_cmp_gt_i32_e32 vcc_lo, 32, v11
	s_wait_alu 0xfffd
	v_cndmask_b32_e32 v0, v0, v11, vcc_lo
	v_cmp_eq_u32_e32 vcc_lo, 31, v7
	s_wait_dscnt 0x3
	v_dual_add_f32 v0, v2, v1 :: v_dual_lshlrev_b32 v11, 2, v0
	s_wait_dscnt 0x1
	v_dual_add_f32 v1, v3, v8 :: v_dual_add_f32 v2, v5, v9
	s_wait_dscnt 0x0
	v_add_f32_e32 v3, v6, v10
	ds_bpermute_b32 v5, v11, v0
	ds_bpermute_b32 v6, v11, v1
	;; [unrolled: 1-line block ×4, first 2 shown]
	s_and_b32 exec_lo, exec_lo, vcc_lo
	s_cbranch_execz .LBB33_23
; %bb.19:
	s_load_b64 s[0:1], s[0:1], 0x38
	s_wait_dscnt 0x2
	v_dual_add_f32 v0, v0, v5 :: v_dual_add_f32 v1, v1, v6
	s_wait_dscnt 0x0
	v_dual_add_f32 v2, v2, v8 :: v_dual_add_f32 v3, v3, v9
	v_lshlrev_b32_e32 v4, 2, v4
	s_delay_alu instid0(VALU_DEP_3) | instskip(NEXT) | instid1(VALU_DEP_3)
	v_dual_mul_f32 v0, s14, v0 :: v_dual_mul_f32 v1, s14, v1
	v_dual_mul_f32 v2, s14, v2 :: v_dual_mul_f32 v3, s14, v3
	s_cmp_eq_f32 s12, 0
	s_cbranch_scc0 .LBB33_21
; %bb.20:
	v_ashrrev_i32_e32 v5, 31, v4
	s_mov_b32 s2, 0
	s_delay_alu instid0(VALU_DEP_1) | instskip(SKIP_1) | instid1(VALU_DEP_1)
	v_lshlrev_b64_e32 v[5:6], 2, v[4:5]
	s_wait_kmcnt 0x0
	v_add_co_u32 v5, vcc_lo, s0, v5
	s_wait_alu 0xfffd
	s_delay_alu instid0(VALU_DEP_2)
	v_add_co_ci_u32_e64 v6, null, s1, v6, vcc_lo
	global_store_b128 v[5:6], v[0:3], off
.LBB33_21:
	s_wait_alu 0xfffe
	s_and_not1_b32 vcc_lo, exec_lo, s2
	s_wait_alu 0xfffe
	s_cbranch_vccnz .LBB33_23
; %bb.22:
	v_ashrrev_i32_e32 v5, 31, v4
	s_delay_alu instid0(VALU_DEP_1) | instskip(SKIP_1) | instid1(VALU_DEP_1)
	v_lshlrev_b64_e32 v[4:5], 2, v[4:5]
	s_wait_kmcnt 0x0
	v_add_co_u32 v8, vcc_lo, s0, v4
	s_wait_alu 0xfffd
	s_delay_alu instid0(VALU_DEP_2)
	v_add_co_ci_u32_e64 v9, null, s1, v5, vcc_lo
	global_load_b128 v[4:7], v[8:9], off
	s_wait_loadcnt 0x0
	v_dual_fmac_f32 v0, s12, v4 :: v_dual_fmac_f32 v1, s12, v5
	v_dual_fmac_f32 v2, s12, v6 :: v_dual_fmac_f32 v3, s12, v7
	global_store_b128 v[8:9], v[0:3], off
.LBB33_23:
	s_endpgm
	.section	.rodata,"a",@progbits
	.p2align	6, 0x0
	.amdhsa_kernel _ZN9rocsparseL19gebsrmvn_4xn_kernelILj128ELj8ELj32EfEEvi20rocsparse_direction_NS_24const_host_device_scalarIT2_EEPKiS6_PKS3_S8_S4_PS3_21rocsparse_index_base_b
		.amdhsa_group_segment_fixed_size 0
		.amdhsa_private_segment_fixed_size 0
		.amdhsa_kernarg_size 72
		.amdhsa_user_sgpr_count 2
		.amdhsa_user_sgpr_dispatch_ptr 0
		.amdhsa_user_sgpr_queue_ptr 0
		.amdhsa_user_sgpr_kernarg_segment_ptr 1
		.amdhsa_user_sgpr_dispatch_id 0
		.amdhsa_user_sgpr_private_segment_size 0
		.amdhsa_wavefront_size32 1
		.amdhsa_uses_dynamic_stack 0
		.amdhsa_enable_private_segment 0
		.amdhsa_system_sgpr_workgroup_id_x 1
		.amdhsa_system_sgpr_workgroup_id_y 0
		.amdhsa_system_sgpr_workgroup_id_z 0
		.amdhsa_system_sgpr_workgroup_info 0
		.amdhsa_system_vgpr_workitem_id 0
		.amdhsa_next_free_vgpr 53
		.amdhsa_next_free_sgpr 18
		.amdhsa_reserve_vcc 1
		.amdhsa_float_round_mode_32 0
		.amdhsa_float_round_mode_16_64 0
		.amdhsa_float_denorm_mode_32 3
		.amdhsa_float_denorm_mode_16_64 3
		.amdhsa_fp16_overflow 0
		.amdhsa_workgroup_processor_mode 1
		.amdhsa_memory_ordered 1
		.amdhsa_forward_progress 1
		.amdhsa_inst_pref_size 16
		.amdhsa_round_robin_scheduling 0
		.amdhsa_exception_fp_ieee_invalid_op 0
		.amdhsa_exception_fp_denorm_src 0
		.amdhsa_exception_fp_ieee_div_zero 0
		.amdhsa_exception_fp_ieee_overflow 0
		.amdhsa_exception_fp_ieee_underflow 0
		.amdhsa_exception_fp_ieee_inexact 0
		.amdhsa_exception_int_div_zero 0
	.end_amdhsa_kernel
	.section	.text._ZN9rocsparseL19gebsrmvn_4xn_kernelILj128ELj8ELj32EfEEvi20rocsparse_direction_NS_24const_host_device_scalarIT2_EEPKiS6_PKS3_S8_S4_PS3_21rocsparse_index_base_b,"axG",@progbits,_ZN9rocsparseL19gebsrmvn_4xn_kernelILj128ELj8ELj32EfEEvi20rocsparse_direction_NS_24const_host_device_scalarIT2_EEPKiS6_PKS3_S8_S4_PS3_21rocsparse_index_base_b,comdat
.Lfunc_end33:
	.size	_ZN9rocsparseL19gebsrmvn_4xn_kernelILj128ELj8ELj32EfEEvi20rocsparse_direction_NS_24const_host_device_scalarIT2_EEPKiS6_PKS3_S8_S4_PS3_21rocsparse_index_base_b, .Lfunc_end33-_ZN9rocsparseL19gebsrmvn_4xn_kernelILj128ELj8ELj32EfEEvi20rocsparse_direction_NS_24const_host_device_scalarIT2_EEPKiS6_PKS3_S8_S4_PS3_21rocsparse_index_base_b
                                        ; -- End function
	.set _ZN9rocsparseL19gebsrmvn_4xn_kernelILj128ELj8ELj32EfEEvi20rocsparse_direction_NS_24const_host_device_scalarIT2_EEPKiS6_PKS3_S8_S4_PS3_21rocsparse_index_base_b.num_vgpr, 53
	.set _ZN9rocsparseL19gebsrmvn_4xn_kernelILj128ELj8ELj32EfEEvi20rocsparse_direction_NS_24const_host_device_scalarIT2_EEPKiS6_PKS3_S8_S4_PS3_21rocsparse_index_base_b.num_agpr, 0
	.set _ZN9rocsparseL19gebsrmvn_4xn_kernelILj128ELj8ELj32EfEEvi20rocsparse_direction_NS_24const_host_device_scalarIT2_EEPKiS6_PKS3_S8_S4_PS3_21rocsparse_index_base_b.numbered_sgpr, 18
	.set _ZN9rocsparseL19gebsrmvn_4xn_kernelILj128ELj8ELj32EfEEvi20rocsparse_direction_NS_24const_host_device_scalarIT2_EEPKiS6_PKS3_S8_S4_PS3_21rocsparse_index_base_b.num_named_barrier, 0
	.set _ZN9rocsparseL19gebsrmvn_4xn_kernelILj128ELj8ELj32EfEEvi20rocsparse_direction_NS_24const_host_device_scalarIT2_EEPKiS6_PKS3_S8_S4_PS3_21rocsparse_index_base_b.private_seg_size, 0
	.set _ZN9rocsparseL19gebsrmvn_4xn_kernelILj128ELj8ELj32EfEEvi20rocsparse_direction_NS_24const_host_device_scalarIT2_EEPKiS6_PKS3_S8_S4_PS3_21rocsparse_index_base_b.uses_vcc, 1
	.set _ZN9rocsparseL19gebsrmvn_4xn_kernelILj128ELj8ELj32EfEEvi20rocsparse_direction_NS_24const_host_device_scalarIT2_EEPKiS6_PKS3_S8_S4_PS3_21rocsparse_index_base_b.uses_flat_scratch, 0
	.set _ZN9rocsparseL19gebsrmvn_4xn_kernelILj128ELj8ELj32EfEEvi20rocsparse_direction_NS_24const_host_device_scalarIT2_EEPKiS6_PKS3_S8_S4_PS3_21rocsparse_index_base_b.has_dyn_sized_stack, 0
	.set _ZN9rocsparseL19gebsrmvn_4xn_kernelILj128ELj8ELj32EfEEvi20rocsparse_direction_NS_24const_host_device_scalarIT2_EEPKiS6_PKS3_S8_S4_PS3_21rocsparse_index_base_b.has_recursion, 0
	.set _ZN9rocsparseL19gebsrmvn_4xn_kernelILj128ELj8ELj32EfEEvi20rocsparse_direction_NS_24const_host_device_scalarIT2_EEPKiS6_PKS3_S8_S4_PS3_21rocsparse_index_base_b.has_indirect_call, 0
	.section	.AMDGPU.csdata,"",@progbits
; Kernel info:
; codeLenInByte = 1996
; TotalNumSgprs: 20
; NumVgprs: 53
; ScratchSize: 0
; MemoryBound: 0
; FloatMode: 240
; IeeeMode: 1
; LDSByteSize: 0 bytes/workgroup (compile time only)
; SGPRBlocks: 0
; VGPRBlocks: 6
; NumSGPRsForWavesPerEU: 20
; NumVGPRsForWavesPerEU: 53
; Occupancy: 16
; WaveLimiterHint : 1
; COMPUTE_PGM_RSRC2:SCRATCH_EN: 0
; COMPUTE_PGM_RSRC2:USER_SGPR: 2
; COMPUTE_PGM_RSRC2:TRAP_HANDLER: 0
; COMPUTE_PGM_RSRC2:TGID_X_EN: 1
; COMPUTE_PGM_RSRC2:TGID_Y_EN: 0
; COMPUTE_PGM_RSRC2:TGID_Z_EN: 0
; COMPUTE_PGM_RSRC2:TIDIG_COMP_CNT: 0
	.section	.text._ZN9rocsparseL19gebsrmvn_4xn_kernelILj128ELj8ELj64EfEEvi20rocsparse_direction_NS_24const_host_device_scalarIT2_EEPKiS6_PKS3_S8_S4_PS3_21rocsparse_index_base_b,"axG",@progbits,_ZN9rocsparseL19gebsrmvn_4xn_kernelILj128ELj8ELj64EfEEvi20rocsparse_direction_NS_24const_host_device_scalarIT2_EEPKiS6_PKS3_S8_S4_PS3_21rocsparse_index_base_b,comdat
	.globl	_ZN9rocsparseL19gebsrmvn_4xn_kernelILj128ELj8ELj64EfEEvi20rocsparse_direction_NS_24const_host_device_scalarIT2_EEPKiS6_PKS3_S8_S4_PS3_21rocsparse_index_base_b ; -- Begin function _ZN9rocsparseL19gebsrmvn_4xn_kernelILj128ELj8ELj64EfEEvi20rocsparse_direction_NS_24const_host_device_scalarIT2_EEPKiS6_PKS3_S8_S4_PS3_21rocsparse_index_base_b
	.p2align	8
	.type	_ZN9rocsparseL19gebsrmvn_4xn_kernelILj128ELj8ELj64EfEEvi20rocsparse_direction_NS_24const_host_device_scalarIT2_EEPKiS6_PKS3_S8_S4_PS3_21rocsparse_index_base_b,@function
_ZN9rocsparseL19gebsrmvn_4xn_kernelILj128ELj8ELj64EfEEvi20rocsparse_direction_NS_24const_host_device_scalarIT2_EEPKiS6_PKS3_S8_S4_PS3_21rocsparse_index_base_b: ; @_ZN9rocsparseL19gebsrmvn_4xn_kernelILj128ELj8ELj64EfEEvi20rocsparse_direction_NS_24const_host_device_scalarIT2_EEPKiS6_PKS3_S8_S4_PS3_21rocsparse_index_base_b
; %bb.0:
	s_clause 0x2
	s_load_b64 s[16:17], s[0:1], 0x40
	s_load_b64 s[14:15], s[0:1], 0x8
	;; [unrolled: 1-line block ×3, first 2 shown]
	s_wait_kmcnt 0x0
	s_bitcmp1_b32 s17, 0
	s_cselect_b32 s2, -1, 0
	s_delay_alu instid0(SALU_CYCLE_1)
	s_and_b32 vcc_lo, exec_lo, s2
	s_xor_b32 s2, s2, -1
	s_cbranch_vccnz .LBB34_2
; %bb.1:
	s_load_b32 s14, s[14:15], 0x0
.LBB34_2:
	s_and_not1_b32 vcc_lo, exec_lo, s2
	s_cbranch_vccnz .LBB34_4
; %bb.3:
	s_load_b32 s12, s[12:13], 0x0
.LBB34_4:
	s_wait_kmcnt 0x0
	s_cmp_eq_f32 s14, 0
	s_cselect_b32 s2, -1, 0
	s_cmp_eq_f32 s12, 1.0
	s_cselect_b32 s3, -1, 0
	s_delay_alu instid0(SALU_CYCLE_1) | instskip(NEXT) | instid1(SALU_CYCLE_1)
	s_and_b32 s2, s2, s3
	s_and_b32 vcc_lo, exec_lo, s2
	s_cbranch_vccnz .LBB34_23
; %bb.5:
	s_load_b64 s[2:3], s[0:1], 0x0
	v_lshrrev_b32_e32 v1, 6, v0
	s_delay_alu instid0(VALU_DEP_1) | instskip(SKIP_1) | instid1(VALU_DEP_1)
	v_lshl_or_b32 v4, ttmp9, 1, v1
	s_wait_kmcnt 0x0
	v_cmp_gt_i32_e32 vcc_lo, s2, v4
	s_and_saveexec_b32 s2, vcc_lo
	s_cbranch_execz .LBB34_23
; %bb.6:
	s_load_b256 s[4:11], s[0:1], 0x10
	v_ashrrev_i32_e32 v5, 31, v4
	v_and_b32_e32 v7, 63, v0
	s_cmp_lg_u32 s3, 0
	s_delay_alu instid0(VALU_DEP_2) | instskip(SKIP_1) | instid1(VALU_DEP_1)
	v_lshlrev_b64_e32 v[1:2], 2, v[4:5]
	s_wait_kmcnt 0x0
	v_add_co_u32 v1, vcc_lo, s4, v1
	s_delay_alu instid0(VALU_DEP_1) | instskip(SKIP_4) | instid1(VALU_DEP_2)
	v_add_co_ci_u32_e64 v2, null, s5, v2, vcc_lo
	global_load_b64 v[1:2], v[1:2], off
	s_wait_loadcnt 0x0
	v_subrev_nc_u32_e32 v0, s16, v1
	v_subrev_nc_u32_e32 v12, s16, v2
	v_add_nc_u32_e32 v0, v0, v7
	s_delay_alu instid0(VALU_DEP_1)
	v_cmp_lt_i32_e64 s2, v0, v12
	s_cbranch_scc0 .LBB34_12
; %bb.7:
	v_dual_mov_b32 v8, 0 :: v_dual_mov_b32 v9, 0
	v_dual_mov_b32 v10, 0 :: v_dual_mov_b32 v11, 0
	s_and_saveexec_b32 s3, s2
	s_cbranch_execz .LBB34_11
; %bb.8:
	v_dual_mov_b32 v2, 0 :: v_dual_lshlrev_b32 v1, 5, v0
	v_mov_b32_e32 v5, v0
	s_mov_b32 s4, 0
	s_delay_alu instid0(VALU_DEP_2)
	v_dual_mov_b32 v8, v2 :: v_dual_mov_b32 v9, v2
	v_dual_mov_b32 v10, v2 :: v_dual_mov_b32 v11, v2
.LBB34_9:                               ; =>This Inner Loop Header: Depth=1
	s_delay_alu instid0(VALU_DEP_3) | instskip(NEXT) | instid1(VALU_DEP_1)
	v_ashrrev_i32_e32 v6, 31, v5
	v_lshlrev_b64_e32 v[13:14], 2, v[5:6]
	s_delay_alu instid0(VALU_DEP_1) | instskip(SKIP_1) | instid1(VALU_DEP_2)
	v_add_co_u32 v13, vcc_lo, s6, v13
	s_wait_alu 0xfffd
	v_add_co_ci_u32_e64 v14, null, s7, v14, vcc_lo
	global_load_b32 v3, v[13:14], off
	v_lshlrev_b64_e32 v[13:14], 2, v[1:2]
	s_delay_alu instid0(VALU_DEP_1) | instskip(SKIP_1) | instid1(VALU_DEP_2)
	v_add_co_u32 v49, vcc_lo, s8, v13
	s_wait_alu 0xfffd
	v_add_co_ci_u32_e64 v50, null, s9, v14, vcc_lo
	global_load_b128 v[13:16], v[49:50], off offset:16
	s_wait_loadcnt 0x1
	v_subrev_nc_u32_e32 v3, s16, v3
	s_delay_alu instid0(VALU_DEP_1) | instskip(NEXT) | instid1(VALU_DEP_1)
	v_dual_mov_b32 v18, v2 :: v_dual_lshlrev_b32 v17, 3, v3
	v_lshlrev_b64_e32 v[17:18], 2, v[17:18]
	s_delay_alu instid0(VALU_DEP_1) | instskip(SKIP_1) | instid1(VALU_DEP_2)
	v_add_co_u32 v25, vcc_lo, s10, v17
	s_wait_alu 0xfffd
	v_add_co_ci_u32_e64 v26, null, s11, v18, vcc_lo
	global_load_b128 v[17:20], v[49:50], off
	s_clause 0x1
	global_load_b128 v[21:24], v[25:26], off
	global_load_b128 v[25:28], v[25:26], off offset:16
	s_clause 0x5
	global_load_b128 v[29:32], v[49:50], off offset:32
	global_load_b128 v[33:36], v[49:50], off offset:48
	;; [unrolled: 1-line block ×6, first 2 shown]
	s_wait_loadcnt 0x7
	v_fmac_f32_e32 v11, v18, v21
	v_fmac_f32_e32 v8, v17, v21
	;; [unrolled: 1-line block ×3, first 2 shown]
	s_delay_alu instid0(VALU_DEP_3) | instskip(NEXT) | instid1(VALU_DEP_3)
	v_dual_fmac_f32 v10, v19, v21 :: v_dual_fmac_f32 v11, v14, v22
	v_fmac_f32_e32 v8, v13, v22
	s_delay_alu instid0(VALU_DEP_3) | instskip(SKIP_1) | instid1(VALU_DEP_3)
	v_fmac_f32_e32 v9, v16, v22
	s_wait_loadcnt 0x5
	v_dual_fmac_f32 v10, v15, v22 :: v_dual_fmac_f32 v11, v30, v23
	s_delay_alu instid0(VALU_DEP_3) | instskip(NEXT) | instid1(VALU_DEP_3)
	v_fmac_f32_e32 v8, v29, v23
	v_fmac_f32_e32 v9, v32, v23
	s_wait_loadcnt 0x4
	s_delay_alu instid0(VALU_DEP_3) | instskip(NEXT) | instid1(VALU_DEP_3)
	v_dual_fmac_f32 v10, v31, v23 :: v_dual_fmac_f32 v11, v34, v24
	v_fmac_f32_e32 v8, v33, v24
	s_delay_alu instid0(VALU_DEP_3) | instskip(SKIP_1) | instid1(VALU_DEP_3)
	v_fmac_f32_e32 v9, v36, v24
	s_wait_loadcnt 0x3
	v_dual_fmac_f32 v10, v35, v24 :: v_dual_fmac_f32 v11, v38, v25
	s_delay_alu instid0(VALU_DEP_3) | instskip(NEXT) | instid1(VALU_DEP_3)
	v_fmac_f32_e32 v8, v37, v25
	v_fmac_f32_e32 v9, v40, v25
	s_wait_loadcnt 0x2
	s_delay_alu instid0(VALU_DEP_3) | instskip(NEXT) | instid1(VALU_DEP_3)
	v_dual_fmac_f32 v10, v39, v25 :: v_dual_fmac_f32 v11, v42, v26
	v_fmac_f32_e32 v8, v41, v26
	s_delay_alu instid0(VALU_DEP_3) | instskip(NEXT) | instid1(VALU_DEP_3)
	v_fmac_f32_e32 v9, v44, v26
	v_dual_fmac_f32 v10, v43, v26 :: v_dual_add_nc_u32 v5, 64, v5
	s_wait_loadcnt 0x1
	s_delay_alu instid0(VALU_DEP_3) | instskip(SKIP_1) | instid1(VALU_DEP_3)
	v_dual_fmac_f32 v8, v45, v27 :: v_dual_add_nc_u32 v1, 0x800, v1
	v_fmac_f32_e32 v11, v46, v27
	v_fmac_f32_e32 v10, v47, v27
	v_fmac_f32_e32 v9, v48, v27
	v_cmp_ge_i32_e32 vcc_lo, v5, v12
	s_wait_loadcnt 0x0
	v_fmac_f32_e32 v8, v49, v28
	v_fmac_f32_e32 v11, v50, v28
	;; [unrolled: 1-line block ×4, first 2 shown]
	s_wait_alu 0xfffe
	s_or_b32 s4, vcc_lo, s4
	s_wait_alu 0xfffe
	s_and_not1_b32 exec_lo, exec_lo, s4
	s_cbranch_execnz .LBB34_9
; %bb.10:
	s_or_b32 exec_lo, exec_lo, s4
.LBB34_11:
	s_wait_alu 0xfffe
	s_or_b32 exec_lo, exec_lo, s3
	s_cbranch_execz .LBB34_13
	s_branch .LBB34_18
.LBB34_12:
                                        ; implicit-def: $vgpr8
                                        ; implicit-def: $vgpr9
                                        ; implicit-def: $vgpr10
                                        ; implicit-def: $vgpr11
.LBB34_13:
	v_dual_mov_b32 v8, 0 :: v_dual_mov_b32 v9, 0
	v_dual_mov_b32 v10, 0 :: v_dual_mov_b32 v11, 0
	s_and_saveexec_b32 s3, s2
	s_cbranch_execz .LBB34_17
; %bb.14:
	v_dual_mov_b32 v3, 0 :: v_dual_lshlrev_b32 v2, 5, v0
	s_mov_b32 s2, 0
	s_delay_alu instid0(VALU_DEP_1)
	v_dual_mov_b32 v8, v3 :: v_dual_mov_b32 v9, v3
	v_dual_mov_b32 v10, v3 :: v_dual_mov_b32 v11, v3
.LBB34_15:                              ; =>This Inner Loop Header: Depth=1
	v_ashrrev_i32_e32 v1, 31, v0
	s_delay_alu instid0(VALU_DEP_1) | instskip(NEXT) | instid1(VALU_DEP_1)
	v_lshlrev_b64_e32 v[5:6], 2, v[0:1]
	v_add_co_u32 v5, vcc_lo, s6, v5
	s_wait_alu 0xfffd
	s_delay_alu instid0(VALU_DEP_2) | instskip(SKIP_3) | instid1(VALU_DEP_2)
	v_add_co_ci_u32_e64 v6, null, s7, v6, vcc_lo
	global_load_b32 v1, v[5:6], off
	v_lshlrev_b64_e32 v[5:6], 2, v[2:3]
	v_add_nc_u32_e32 v2, 0x800, v2
	v_add_co_u32 v5, vcc_lo, s8, v5
	s_wait_alu 0xfffd
	s_delay_alu instid0(VALU_DEP_3)
	v_add_co_ci_u32_e64 v6, null, s9, v6, vcc_lo
	s_clause 0x6
	global_load_b128 v[13:16], v[5:6], off offset:48
	global_load_b128 v[17:20], v[5:6], off offset:32
	;; [unrolled: 1-line block ×3, first 2 shown]
	global_load_b128 v[25:28], v[5:6], off
	global_load_b128 v[29:32], v[5:6], off offset:80
	global_load_b128 v[33:36], v[5:6], off offset:112
	;; [unrolled: 1-line block ×3, first 2 shown]
	s_wait_loadcnt 0x7
	v_subrev_nc_u32_e32 v1, s16, v1
	s_delay_alu instid0(VALU_DEP_1) | instskip(NEXT) | instid1(VALU_DEP_1)
	v_dual_mov_b32 v42, v3 :: v_dual_lshlrev_b32 v41, 3, v1
	v_lshlrev_b64_e32 v[41:42], 2, v[41:42]
	s_delay_alu instid0(VALU_DEP_1) | instskip(SKIP_1) | instid1(VALU_DEP_2)
	v_add_co_u32 v49, vcc_lo, s10, v41
	s_wait_alu 0xfffd
	v_add_co_ci_u32_e64 v50, null, s11, v42, vcc_lo
	global_load_b128 v[41:44], v[5:6], off offset:64
	s_clause 0x1
	global_load_b128 v[45:48], v[49:50], off
	global_load_b128 v[49:52], v[49:50], off offset:16
	s_wait_loadcnt 0x1
	v_fmac_f32_e32 v11, v17, v45
	v_fmac_f32_e32 v8, v25, v45
	;; [unrolled: 1-line block ×3, first 2 shown]
	s_delay_alu instid0(VALU_DEP_3) | instskip(NEXT) | instid1(VALU_DEP_3)
	v_dual_fmac_f32 v10, v41, v45 :: v_dual_fmac_f32 v11, v18, v46
	v_fmac_f32_e32 v8, v26, v46
	s_delay_alu instid0(VALU_DEP_3) | instskip(NEXT) | instid1(VALU_DEP_3)
	v_fmac_f32_e32 v9, v38, v46
	v_dual_fmac_f32 v10, v42, v46 :: v_dual_fmac_f32 v11, v19, v47
	s_delay_alu instid0(VALU_DEP_3) | instskip(NEXT) | instid1(VALU_DEP_3)
	v_fmac_f32_e32 v8, v27, v47
	v_fmac_f32_e32 v9, v39, v47
	s_delay_alu instid0(VALU_DEP_3) | instskip(NEXT) | instid1(VALU_DEP_3)
	v_dual_fmac_f32 v10, v43, v47 :: v_dual_fmac_f32 v11, v20, v48
	v_fmac_f32_e32 v8, v28, v48
	s_delay_alu instid0(VALU_DEP_3) | instskip(SKIP_1) | instid1(VALU_DEP_3)
	v_fmac_f32_e32 v9, v40, v48
	s_wait_loadcnt 0x0
	v_dual_fmac_f32 v10, v44, v48 :: v_dual_fmac_f32 v11, v13, v49
	s_delay_alu instid0(VALU_DEP_1) | instskip(NEXT) | instid1(VALU_DEP_1)
	v_dual_fmac_f32 v8, v21, v49 :: v_dual_fmac_f32 v11, v14, v50
	v_dual_fmac_f32 v9, v33, v49 :: v_dual_fmac_f32 v8, v22, v50
	s_delay_alu instid0(VALU_DEP_2) | instskip(NEXT) | instid1(VALU_DEP_2)
	v_dual_fmac_f32 v10, v29, v49 :: v_dual_fmac_f32 v11, v15, v51
	v_dual_fmac_f32 v9, v34, v50 :: v_dual_add_nc_u32 v0, 64, v0
	s_delay_alu instid0(VALU_DEP_2) | instskip(NEXT) | instid1(VALU_DEP_3)
	v_fmac_f32_e32 v10, v30, v50
	v_dual_fmac_f32 v8, v23, v51 :: v_dual_fmac_f32 v11, v16, v52
	s_delay_alu instid0(VALU_DEP_3) | instskip(NEXT) | instid1(VALU_DEP_4)
	v_fmac_f32_e32 v9, v35, v51
	v_cmp_ge_i32_e32 vcc_lo, v0, v12
	s_delay_alu instid0(VALU_DEP_4) | instskip(NEXT) | instid1(VALU_DEP_4)
	v_fmac_f32_e32 v10, v31, v51
	v_fmac_f32_e32 v8, v24, v52
	s_delay_alu instid0(VALU_DEP_4)
	v_fmac_f32_e32 v9, v36, v52
	s_wait_alu 0xfffe
	s_or_b32 s2, vcc_lo, s2
	v_fmac_f32_e32 v10, v32, v52
	s_wait_alu 0xfffe
	s_and_not1_b32 exec_lo, exec_lo, s2
	s_cbranch_execnz .LBB34_15
; %bb.16:
	s_or_b32 exec_lo, exec_lo, s2
.LBB34_17:
	s_wait_alu 0xfffe
	s_or_b32 exec_lo, exec_lo, s3
.LBB34_18:
	v_mbcnt_lo_u32_b32 v0, -1, 0
	s_mov_b32 s2, -1
	s_delay_alu instid0(VALU_DEP_1) | instskip(SKIP_1) | instid1(VALU_DEP_2)
	v_or_b32_e32 v1, 32, v0
	v_xor_b32_e32 v6, 16, v0
	v_cmp_gt_i32_e32 vcc_lo, 32, v1
	s_wait_alu 0xfffd
	v_cndmask_b32_e32 v1, v0, v1, vcc_lo
	s_delay_alu instid0(VALU_DEP_3) | instskip(SKIP_2) | instid1(VALU_DEP_1)
	v_cmp_gt_i32_e32 vcc_lo, 32, v6
	s_wait_alu 0xfffd
	v_cndmask_b32_e32 v6, v0, v6, vcc_lo
	v_lshlrev_b32_e32 v6, 2, v6
	v_lshlrev_b32_e32 v1, 2, v1
	ds_bpermute_b32 v2, v1, v8
	s_wait_dscnt 0x0
	v_add_f32_e32 v2, v8, v2
	ds_bpermute_b32 v3, v1, v11
	ds_bpermute_b32 v5, v1, v10
	;; [unrolled: 1-line block ×4, first 2 shown]
	s_wait_dscnt 0x3
	v_add_f32_e32 v3, v11, v3
	s_wait_dscnt 0x2
	v_add_f32_e32 v5, v10, v5
	;; [unrolled: 2-line block ×3, first 2 shown]
	v_xor_b32_e32 v11, 8, v0
	s_wait_dscnt 0x0
	v_add_f32_e32 v2, v2, v8
	ds_bpermute_b32 v9, v6, v3
	ds_bpermute_b32 v10, v6, v5
	;; [unrolled: 1-line block ×3, first 2 shown]
	v_cmp_gt_i32_e32 vcc_lo, 32, v11
	s_wait_alu 0xfffd
	v_cndmask_b32_e32 v11, v0, v11, vcc_lo
	s_delay_alu instid0(VALU_DEP_1)
	v_lshlrev_b32_e32 v11, 2, v11
	s_wait_dscnt 0x2
	v_add_f32_e32 v3, v3, v9
	s_wait_dscnt 0x1
	v_add_f32_e32 v5, v5, v10
	s_wait_dscnt 0x0
	v_add_f32_e32 v1, v1, v6
	ds_bpermute_b32 v6, v11, v2
	ds_bpermute_b32 v8, v11, v3
	;; [unrolled: 1-line block ×4, first 2 shown]
	v_xor_b32_e32 v11, 4, v0
	s_delay_alu instid0(VALU_DEP_1) | instskip(SKIP_3) | instid1(VALU_DEP_1)
	v_cmp_gt_i32_e32 vcc_lo, 32, v11
	s_wait_alu 0xfffd
	v_cndmask_b32_e32 v11, v0, v11, vcc_lo
	s_wait_dscnt 0x3
	v_dual_add_f32 v2, v2, v6 :: v_dual_lshlrev_b32 v11, 2, v11
	s_wait_dscnt 0x2
	v_add_f32_e32 v3, v3, v8
	s_wait_dscnt 0x1
	v_add_f32_e32 v5, v5, v9
	;; [unrolled: 2-line block ×3, first 2 shown]
	ds_bpermute_b32 v6, v11, v2
	ds_bpermute_b32 v8, v11, v3
	ds_bpermute_b32 v9, v11, v5
	ds_bpermute_b32 v10, v11, v1
	v_xor_b32_e32 v11, 2, v0
	s_delay_alu instid0(VALU_DEP_1) | instskip(SKIP_3) | instid1(VALU_DEP_1)
	v_cmp_gt_i32_e32 vcc_lo, 32, v11
	s_wait_alu 0xfffd
	v_cndmask_b32_e32 v11, v0, v11, vcc_lo
	s_wait_dscnt 0x3
	v_dual_add_f32 v2, v2, v6 :: v_dual_lshlrev_b32 v11, 2, v11
	s_wait_dscnt 0x2
	v_add_f32_e32 v3, v3, v8
	s_wait_dscnt 0x1
	v_add_f32_e32 v5, v5, v9
	;; [unrolled: 2-line block ×3, first 2 shown]
	ds_bpermute_b32 v1, v11, v2
	ds_bpermute_b32 v8, v11, v3
	;; [unrolled: 1-line block ×4, first 2 shown]
	v_xor_b32_e32 v11, 1, v0
	s_delay_alu instid0(VALU_DEP_1) | instskip(SKIP_4) | instid1(VALU_DEP_2)
	v_cmp_gt_i32_e32 vcc_lo, 32, v11
	s_wait_alu 0xfffd
	v_cndmask_b32_e32 v0, v0, v11, vcc_lo
	v_cmp_eq_u32_e32 vcc_lo, 63, v7
	s_wait_dscnt 0x3
	v_dual_add_f32 v0, v2, v1 :: v_dual_lshlrev_b32 v11, 2, v0
	s_wait_dscnt 0x1
	v_dual_add_f32 v1, v3, v8 :: v_dual_add_f32 v2, v5, v9
	s_wait_dscnt 0x0
	v_add_f32_e32 v3, v6, v10
	ds_bpermute_b32 v5, v11, v0
	ds_bpermute_b32 v6, v11, v1
	;; [unrolled: 1-line block ×4, first 2 shown]
	s_and_b32 exec_lo, exec_lo, vcc_lo
	s_cbranch_execz .LBB34_23
; %bb.19:
	s_load_b64 s[0:1], s[0:1], 0x38
	s_wait_dscnt 0x2
	v_dual_add_f32 v0, v0, v5 :: v_dual_add_f32 v1, v1, v6
	s_wait_dscnt 0x0
	v_dual_add_f32 v2, v2, v8 :: v_dual_add_f32 v3, v3, v9
	v_lshlrev_b32_e32 v4, 2, v4
	s_delay_alu instid0(VALU_DEP_3) | instskip(NEXT) | instid1(VALU_DEP_3)
	v_dual_mul_f32 v0, s14, v0 :: v_dual_mul_f32 v1, s14, v1
	v_dual_mul_f32 v2, s14, v2 :: v_dual_mul_f32 v3, s14, v3
	s_cmp_eq_f32 s12, 0
	s_cbranch_scc0 .LBB34_21
; %bb.20:
	v_ashrrev_i32_e32 v5, 31, v4
	s_mov_b32 s2, 0
	s_delay_alu instid0(VALU_DEP_1) | instskip(SKIP_1) | instid1(VALU_DEP_1)
	v_lshlrev_b64_e32 v[5:6], 2, v[4:5]
	s_wait_kmcnt 0x0
	v_add_co_u32 v5, vcc_lo, s0, v5
	s_wait_alu 0xfffd
	s_delay_alu instid0(VALU_DEP_2)
	v_add_co_ci_u32_e64 v6, null, s1, v6, vcc_lo
	global_store_b128 v[5:6], v[0:3], off
.LBB34_21:
	s_wait_alu 0xfffe
	s_and_not1_b32 vcc_lo, exec_lo, s2
	s_wait_alu 0xfffe
	s_cbranch_vccnz .LBB34_23
; %bb.22:
	v_ashrrev_i32_e32 v5, 31, v4
	s_delay_alu instid0(VALU_DEP_1) | instskip(SKIP_1) | instid1(VALU_DEP_1)
	v_lshlrev_b64_e32 v[4:5], 2, v[4:5]
	s_wait_kmcnt 0x0
	v_add_co_u32 v8, vcc_lo, s0, v4
	s_wait_alu 0xfffd
	s_delay_alu instid0(VALU_DEP_2)
	v_add_co_ci_u32_e64 v9, null, s1, v5, vcc_lo
	global_load_b128 v[4:7], v[8:9], off
	s_wait_loadcnt 0x0
	v_dual_fmac_f32 v0, s12, v4 :: v_dual_fmac_f32 v1, s12, v5
	v_dual_fmac_f32 v2, s12, v6 :: v_dual_fmac_f32 v3, s12, v7
	global_store_b128 v[8:9], v[0:3], off
.LBB34_23:
	s_endpgm
	.section	.rodata,"a",@progbits
	.p2align	6, 0x0
	.amdhsa_kernel _ZN9rocsparseL19gebsrmvn_4xn_kernelILj128ELj8ELj64EfEEvi20rocsparse_direction_NS_24const_host_device_scalarIT2_EEPKiS6_PKS3_S8_S4_PS3_21rocsparse_index_base_b
		.amdhsa_group_segment_fixed_size 0
		.amdhsa_private_segment_fixed_size 0
		.amdhsa_kernarg_size 72
		.amdhsa_user_sgpr_count 2
		.amdhsa_user_sgpr_dispatch_ptr 0
		.amdhsa_user_sgpr_queue_ptr 0
		.amdhsa_user_sgpr_kernarg_segment_ptr 1
		.amdhsa_user_sgpr_dispatch_id 0
		.amdhsa_user_sgpr_private_segment_size 0
		.amdhsa_wavefront_size32 1
		.amdhsa_uses_dynamic_stack 0
		.amdhsa_enable_private_segment 0
		.amdhsa_system_sgpr_workgroup_id_x 1
		.amdhsa_system_sgpr_workgroup_id_y 0
		.amdhsa_system_sgpr_workgroup_id_z 0
		.amdhsa_system_sgpr_workgroup_info 0
		.amdhsa_system_vgpr_workitem_id 0
		.amdhsa_next_free_vgpr 53
		.amdhsa_next_free_sgpr 18
		.amdhsa_reserve_vcc 1
		.amdhsa_float_round_mode_32 0
		.amdhsa_float_round_mode_16_64 0
		.amdhsa_float_denorm_mode_32 3
		.amdhsa_float_denorm_mode_16_64 3
		.amdhsa_fp16_overflow 0
		.amdhsa_workgroup_processor_mode 1
		.amdhsa_memory_ordered 1
		.amdhsa_forward_progress 1
		.amdhsa_inst_pref_size 17
		.amdhsa_round_robin_scheduling 0
		.amdhsa_exception_fp_ieee_invalid_op 0
		.amdhsa_exception_fp_denorm_src 0
		.amdhsa_exception_fp_ieee_div_zero 0
		.amdhsa_exception_fp_ieee_overflow 0
		.amdhsa_exception_fp_ieee_underflow 0
		.amdhsa_exception_fp_ieee_inexact 0
		.amdhsa_exception_int_div_zero 0
	.end_amdhsa_kernel
	.section	.text._ZN9rocsparseL19gebsrmvn_4xn_kernelILj128ELj8ELj64EfEEvi20rocsparse_direction_NS_24const_host_device_scalarIT2_EEPKiS6_PKS3_S8_S4_PS3_21rocsparse_index_base_b,"axG",@progbits,_ZN9rocsparseL19gebsrmvn_4xn_kernelILj128ELj8ELj64EfEEvi20rocsparse_direction_NS_24const_host_device_scalarIT2_EEPKiS6_PKS3_S8_S4_PS3_21rocsparse_index_base_b,comdat
.Lfunc_end34:
	.size	_ZN9rocsparseL19gebsrmvn_4xn_kernelILj128ELj8ELj64EfEEvi20rocsparse_direction_NS_24const_host_device_scalarIT2_EEPKiS6_PKS3_S8_S4_PS3_21rocsparse_index_base_b, .Lfunc_end34-_ZN9rocsparseL19gebsrmvn_4xn_kernelILj128ELj8ELj64EfEEvi20rocsparse_direction_NS_24const_host_device_scalarIT2_EEPKiS6_PKS3_S8_S4_PS3_21rocsparse_index_base_b
                                        ; -- End function
	.set _ZN9rocsparseL19gebsrmvn_4xn_kernelILj128ELj8ELj64EfEEvi20rocsparse_direction_NS_24const_host_device_scalarIT2_EEPKiS6_PKS3_S8_S4_PS3_21rocsparse_index_base_b.num_vgpr, 53
	.set _ZN9rocsparseL19gebsrmvn_4xn_kernelILj128ELj8ELj64EfEEvi20rocsparse_direction_NS_24const_host_device_scalarIT2_EEPKiS6_PKS3_S8_S4_PS3_21rocsparse_index_base_b.num_agpr, 0
	.set _ZN9rocsparseL19gebsrmvn_4xn_kernelILj128ELj8ELj64EfEEvi20rocsparse_direction_NS_24const_host_device_scalarIT2_EEPKiS6_PKS3_S8_S4_PS3_21rocsparse_index_base_b.numbered_sgpr, 18
	.set _ZN9rocsparseL19gebsrmvn_4xn_kernelILj128ELj8ELj64EfEEvi20rocsparse_direction_NS_24const_host_device_scalarIT2_EEPKiS6_PKS3_S8_S4_PS3_21rocsparse_index_base_b.num_named_barrier, 0
	.set _ZN9rocsparseL19gebsrmvn_4xn_kernelILj128ELj8ELj64EfEEvi20rocsparse_direction_NS_24const_host_device_scalarIT2_EEPKiS6_PKS3_S8_S4_PS3_21rocsparse_index_base_b.private_seg_size, 0
	.set _ZN9rocsparseL19gebsrmvn_4xn_kernelILj128ELj8ELj64EfEEvi20rocsparse_direction_NS_24const_host_device_scalarIT2_EEPKiS6_PKS3_S8_S4_PS3_21rocsparse_index_base_b.uses_vcc, 1
	.set _ZN9rocsparseL19gebsrmvn_4xn_kernelILj128ELj8ELj64EfEEvi20rocsparse_direction_NS_24const_host_device_scalarIT2_EEPKiS6_PKS3_S8_S4_PS3_21rocsparse_index_base_b.uses_flat_scratch, 0
	.set _ZN9rocsparseL19gebsrmvn_4xn_kernelILj128ELj8ELj64EfEEvi20rocsparse_direction_NS_24const_host_device_scalarIT2_EEPKiS6_PKS3_S8_S4_PS3_21rocsparse_index_base_b.has_dyn_sized_stack, 0
	.set _ZN9rocsparseL19gebsrmvn_4xn_kernelILj128ELj8ELj64EfEEvi20rocsparse_direction_NS_24const_host_device_scalarIT2_EEPKiS6_PKS3_S8_S4_PS3_21rocsparse_index_base_b.has_recursion, 0
	.set _ZN9rocsparseL19gebsrmvn_4xn_kernelILj128ELj8ELj64EfEEvi20rocsparse_direction_NS_24const_host_device_scalarIT2_EEPKiS6_PKS3_S8_S4_PS3_21rocsparse_index_base_b.has_indirect_call, 0
	.section	.AMDGPU.csdata,"",@progbits
; Kernel info:
; codeLenInByte = 2088
; TotalNumSgprs: 20
; NumVgprs: 53
; ScratchSize: 0
; MemoryBound: 0
; FloatMode: 240
; IeeeMode: 1
; LDSByteSize: 0 bytes/workgroup (compile time only)
; SGPRBlocks: 0
; VGPRBlocks: 6
; NumSGPRsForWavesPerEU: 20
; NumVGPRsForWavesPerEU: 53
; Occupancy: 16
; WaveLimiterHint : 1
; COMPUTE_PGM_RSRC2:SCRATCH_EN: 0
; COMPUTE_PGM_RSRC2:USER_SGPR: 2
; COMPUTE_PGM_RSRC2:TRAP_HANDLER: 0
; COMPUTE_PGM_RSRC2:TGID_X_EN: 1
; COMPUTE_PGM_RSRC2:TGID_Y_EN: 0
; COMPUTE_PGM_RSRC2:TGID_Z_EN: 0
; COMPUTE_PGM_RSRC2:TIDIG_COMP_CNT: 0
	.section	.text._ZN9rocsparseL23gebsrmvn_general_kernelILj64ELj16EfEEvi20rocsparse_direction_NS_24const_host_device_scalarIT1_EEPKiS6_PKS3_iiS8_S4_PS3_21rocsparse_index_base_b,"axG",@progbits,_ZN9rocsparseL23gebsrmvn_general_kernelILj64ELj16EfEEvi20rocsparse_direction_NS_24const_host_device_scalarIT1_EEPKiS6_PKS3_iiS8_S4_PS3_21rocsparse_index_base_b,comdat
	.globl	_ZN9rocsparseL23gebsrmvn_general_kernelILj64ELj16EfEEvi20rocsparse_direction_NS_24const_host_device_scalarIT1_EEPKiS6_PKS3_iiS8_S4_PS3_21rocsparse_index_base_b ; -- Begin function _ZN9rocsparseL23gebsrmvn_general_kernelILj64ELj16EfEEvi20rocsparse_direction_NS_24const_host_device_scalarIT1_EEPKiS6_PKS3_iiS8_S4_PS3_21rocsparse_index_base_b
	.p2align	8
	.type	_ZN9rocsparseL23gebsrmvn_general_kernelILj64ELj16EfEEvi20rocsparse_direction_NS_24const_host_device_scalarIT1_EEPKiS6_PKS3_iiS8_S4_PS3_21rocsparse_index_base_b,@function
_ZN9rocsparseL23gebsrmvn_general_kernelILj64ELj16EfEEvi20rocsparse_direction_NS_24const_host_device_scalarIT1_EEPKiS6_PKS3_iiS8_S4_PS3_21rocsparse_index_base_b: ; @_ZN9rocsparseL23gebsrmvn_general_kernelILj64ELj16EfEEvi20rocsparse_direction_NS_24const_host_device_scalarIT1_EEPKiS6_PKS3_iiS8_S4_PS3_21rocsparse_index_base_b
; %bb.0:
	s_clause 0x2
	s_load_b64 s[2:3], s[0:1], 0x48
	s_load_b64 s[8:9], s[0:1], 0x8
	s_load_b64 s[10:11], s[0:1], 0x38
	s_wait_kmcnt 0x0
	s_bitcmp1_b32 s3, 0
	s_cselect_b32 s3, -1, 0
	s_delay_alu instid0(SALU_CYCLE_1)
	s_and_b32 vcc_lo, exec_lo, s3
	s_xor_b32 s3, s3, -1
	s_cbranch_vccnz .LBB35_2
; %bb.1:
	s_load_b32 s8, s[8:9], 0x0
.LBB35_2:
	s_and_not1_b32 vcc_lo, exec_lo, s3
	s_cbranch_vccnz .LBB35_4
; %bb.3:
	s_load_b32 s10, s[10:11], 0x0
.LBB35_4:
	s_wait_kmcnt 0x0
	s_cmp_eq_f32 s8, 0
	s_cselect_b32 s3, -1, 0
	s_cmp_eq_f32 s10, 1.0
	s_cselect_b32 s4, -1, 0
	s_delay_alu instid0(SALU_CYCLE_1) | instskip(NEXT) | instid1(SALU_CYCLE_1)
	s_and_b32 s3, s3, s4
	s_and_b32 vcc_lo, exec_lo, s3
	s_cbranch_vccnz .LBB35_24
; %bb.5:
	s_load_b64 s[12:13], s[0:1], 0x28
	v_lshrrev_b32_e32 v1, 4, v0
	s_mov_b32 s3, exec_lo
	s_wait_kmcnt 0x0
	s_delay_alu instid0(VALU_DEP_1)
	v_cmpx_gt_i32_e64 s12, v1
	s_cbranch_execz .LBB35_24
; %bb.6:
	s_clause 0x1
	s_load_b128 s[4:7], s[0:1], 0x10
	s_load_b32 s21, s[0:1], 0x4
	s_mov_b32 s14, ttmp9
	s_ashr_i32 s15, ttmp9, 31
	v_mbcnt_lo_u32_b32 v4, -1, 0
	s_lshl_b64 s[14:15], s[14:15], 2
	s_mov_b32 s3, 0
	s_mul_i32 s23, s12, ttmp9
	s_mul_i32 s25, s13, s12
	v_xor_b32_e32 v2, 8, v4
	v_xor_b32_e32 v3, 4, v4
	;; [unrolled: 1-line block ×4, first 2 shown]
	s_delay_alu instid0(VALU_DEP_4)
	v_cmp_gt_i32_e32 vcc_lo, 32, v2
	v_dual_cndmask_b32 v7, v4, v2 :: v_dual_and_b32 v0, 15, v0
	s_wait_kmcnt 0x0
	s_add_nc_u64 s[4:5], s[4:5], s[14:15]
	v_cmp_gt_i32_e32 vcc_lo, 32, v3
	s_load_b64 s[18:19], s[4:5], 0x0
	s_clause 0x2
	s_load_b64 s[4:5], s[0:1], 0x20
	s_load_b64 s[14:15], s[0:1], 0x30
	;; [unrolled: 1-line block ×3, first 2 shown]
	v_cmp_gt_i32_e64 s0, s13, v0
	v_cmp_eq_u32_e64 s1, 15, v0
	v_cndmask_b32_e32 v8, v4, v3, vcc_lo
	v_cmp_gt_i32_e32 vcc_lo, 32, v5
	s_wait_alu 0xfffd
	v_cndmask_b32_e32 v9, v4, v5, vcc_lo
	v_cmp_gt_i32_e32 vcc_lo, 32, v6
	v_lshlrev_b32_e32 v5, 2, v8
	s_wait_kmcnt 0x0
	s_sub_co_i32 s9, s18, s2
	s_sub_co_i32 s11, s19, s2
	v_mad_co_u64_u32 v[2:3], null, s12, s9, v[1:2]
	s_cmp_lt_i32 s18, s19
	s_wait_alu 0xfffd
	v_cndmask_b32_e32 v3, v4, v6, vcc_lo
	s_cselect_b32 s20, -1, 0
	s_cmp_lg_u32 s21, 0
	v_lshlrev_b32_e32 v4, 2, v7
	s_cselect_b32 s21, -1, 0
	v_mul_lo_u32 v8, s13, v2
	s_cmp_eq_f32 s10, 0
	v_lshlrev_b32_e32 v6, 2, v9
	v_lshlrev_b32_e32 v7, 2, v3
	s_cselect_b32 s22, -1, 0
	s_lshl_b32 s24, s13, 2
	s_branch .LBB35_8
.LBB35_7:                               ;   in Loop: Header=BB35_8 Depth=1
	s_wait_alu 0xfffe
	s_or_b32 exec_lo, exec_lo, s18
	v_add_nc_u32_e32 v1, 4, v1
	v_add_nc_u32_e32 v8, s24, v8
	s_delay_alu instid0(VALU_DEP_2) | instskip(SKIP_1) | instid1(SALU_CYCLE_1)
	v_cmp_le_i32_e32 vcc_lo, s12, v1
	s_or_b32 s3, vcc_lo, s3
	s_and_not1_b32 exec_lo, exec_lo, s3
	s_cbranch_execz .LBB35_24
.LBB35_8:                               ; =>This Loop Header: Depth=1
                                        ;     Child Loop BB35_12 Depth 2
                                        ;       Child Loop BB35_15 Depth 3
	v_mov_b32_e32 v9, 0
	s_and_not1_b32 vcc_lo, exec_lo, s20
	s_wait_alu 0xfffe
	s_cbranch_vccnz .LBB35_19
; %bb.9:                                ;   in Loop: Header=BB35_8 Depth=1
	v_dual_mov_b32 v9, 0 :: v_dual_mov_b32 v10, v8
	s_mov_b32 s18, s9
	s_branch .LBB35_12
.LBB35_10:                              ;   in Loop: Header=BB35_12 Depth=2
	s_or_b32 exec_lo, exec_lo, s27
.LBB35_11:                              ;   in Loop: Header=BB35_12 Depth=2
	s_delay_alu instid0(SALU_CYCLE_1)
	s_or_b32 exec_lo, exec_lo, s26
	v_add_nc_u32_e32 v10, s25, v10
	s_wait_alu 0xfffe
	s_add_co_i32 s18, s18, 1
	s_wait_alu 0xfffe
	s_cmp_ge_i32 s18, s11
	s_cbranch_scc1 .LBB35_19
.LBB35_12:                              ;   Parent Loop BB35_8 Depth=1
                                        ; =>  This Loop Header: Depth=2
                                        ;       Child Loop BB35_15 Depth 3
	s_and_saveexec_b32 s26, s0
	s_cbranch_execz .LBB35_11
; %bb.13:                               ;   in Loop: Header=BB35_12 Depth=2
	s_wait_alu 0xfffe
	s_ashr_i32 s19, s18, 31
	v_mov_b32_e32 v11, v0
	s_wait_alu 0xfffe
	s_lshl_b64 s[28:29], s[18:19], 2
	s_mov_b32 s27, 0
	s_wait_alu 0xfffe
	s_add_nc_u64 s[28:29], s[6:7], s[28:29]
	s_load_b32 s19, s[28:29], 0x0
	s_wait_kmcnt 0x0
	s_sub_co_i32 s28, s19, s2
	s_mul_i32 s19, s18, s13
	s_wait_alu 0xfffe
	s_mul_i32 s28, s28, s13
	s_branch .LBB35_15
.LBB35_14:                              ;   in Loop: Header=BB35_15 Depth=3
	v_add_nc_u32_e32 v12, s28, v11
	s_wait_dscnt 0x0
	s_delay_alu instid0(VALU_DEP_2) | instskip(SKIP_1) | instid1(VALU_DEP_3)
	v_ashrrev_i32_e32 v3, 31, v2
	v_add_nc_u32_e32 v11, 16, v11
	v_ashrrev_i32_e32 v13, 31, v12
	s_delay_alu instid0(VALU_DEP_3) | instskip(NEXT) | instid1(VALU_DEP_2)
	v_lshlrev_b64_e32 v[2:3], 2, v[2:3]
	v_lshlrev_b64_e32 v[12:13], 2, v[12:13]
	s_delay_alu instid0(VALU_DEP_2) | instskip(SKIP_1) | instid1(VALU_DEP_3)
	v_add_co_u32 v2, vcc_lo, s4, v2
	s_wait_alu 0xfffd
	v_add_co_ci_u32_e64 v3, null, s5, v3, vcc_lo
	s_delay_alu instid0(VALU_DEP_3)
	v_add_co_u32 v12, vcc_lo, s14, v12
	s_wait_alu 0xfffd
	v_add_co_ci_u32_e64 v13, null, s15, v13, vcc_lo
	v_cmp_le_i32_e32 vcc_lo, s13, v11
	global_load_b32 v2, v[2:3], off
	global_load_b32 v3, v[12:13], off
	s_or_b32 s27, vcc_lo, s27
	s_wait_loadcnt 0x0
	v_fmac_f32_e32 v9, v2, v3
	s_and_not1_b32 exec_lo, exec_lo, s27
	s_cbranch_execz .LBB35_10
.LBB35_15:                              ;   Parent Loop BB35_8 Depth=1
                                        ;     Parent Loop BB35_12 Depth=2
                                        ; =>    This Inner Loop Header: Depth=3
	s_and_b32 vcc_lo, exec_lo, s21
	s_wait_alu 0xfffe
	s_cbranch_vccz .LBB35_17
; %bb.16:                               ;   in Loop: Header=BB35_15 Depth=3
	v_add_nc_u32_e32 v2, s19, v11
	s_wait_dscnt 0x0
	s_delay_alu instid0(VALU_DEP_1)
	v_mad_co_u64_u32 v[2:3], null, v2, s12, v[1:2]
	s_cbranch_execnz .LBB35_14
	s_branch .LBB35_18
.LBB35_17:                              ;   in Loop: Header=BB35_15 Depth=3
                                        ; implicit-def: $vgpr2
.LBB35_18:                              ;   in Loop: Header=BB35_15 Depth=3
	v_add_nc_u32_e32 v2, v10, v11
	s_branch .LBB35_14
.LBB35_19:                              ;   in Loop: Header=BB35_8 Depth=1
	ds_bpermute_b32 v2, v4, v9
	s_wait_dscnt 0x0
	v_add_f32_e32 v2, v9, v2
	ds_bpermute_b32 v3, v5, v2
	s_wait_dscnt 0x0
	v_add_f32_e32 v2, v2, v3
	;; [unrolled: 3-line block ×3, first 2 shown]
	ds_bpermute_b32 v3, v7, v2
	s_and_saveexec_b32 s18, s1
	s_cbranch_execz .LBB35_7
; %bb.20:                               ;   in Loop: Header=BB35_8 Depth=1
	s_wait_dscnt 0x0
	v_dual_add_f32 v3, v2, v3 :: v_dual_add_nc_u32 v2, s23, v1
	s_and_b32 vcc_lo, exec_lo, s22
	s_delay_alu instid0(VALU_DEP_1) | instskip(NEXT) | instid1(VALU_DEP_2)
	v_mul_f32_e32 v9, s8, v3
	v_ashrrev_i32_e32 v3, 31, v2
	s_wait_alu 0xfffe
	s_cbranch_vccz .LBB35_22
; %bb.21:                               ;   in Loop: Header=BB35_8 Depth=1
	s_delay_alu instid0(VALU_DEP_1) | instskip(NEXT) | instid1(VALU_DEP_1)
	v_lshlrev_b64_e32 v[10:11], 2, v[2:3]
	v_add_co_u32 v10, vcc_lo, s16, v10
	s_wait_alu 0xfffd
	s_delay_alu instid0(VALU_DEP_2)
	v_add_co_ci_u32_e64 v11, null, s17, v11, vcc_lo
	global_store_b32 v[10:11], v9, off
	s_cbranch_execnz .LBB35_7
	s_branch .LBB35_23
.LBB35_22:                              ;   in Loop: Header=BB35_8 Depth=1
.LBB35_23:                              ;   in Loop: Header=BB35_8 Depth=1
	s_delay_alu instid0(VALU_DEP_1) | instskip(NEXT) | instid1(VALU_DEP_1)
	v_lshlrev_b64_e32 v[2:3], 2, v[2:3]
	v_add_co_u32 v2, vcc_lo, s16, v2
	s_wait_alu 0xfffd
	s_delay_alu instid0(VALU_DEP_2)
	v_add_co_ci_u32_e64 v3, null, s17, v3, vcc_lo
	global_load_b32 v10, v[2:3], off
	s_wait_loadcnt 0x0
	v_fmac_f32_e32 v9, s10, v10
	global_store_b32 v[2:3], v9, off
	s_branch .LBB35_7
.LBB35_24:
	s_endpgm
	.section	.rodata,"a",@progbits
	.p2align	6, 0x0
	.amdhsa_kernel _ZN9rocsparseL23gebsrmvn_general_kernelILj64ELj16EfEEvi20rocsparse_direction_NS_24const_host_device_scalarIT1_EEPKiS6_PKS3_iiS8_S4_PS3_21rocsparse_index_base_b
		.amdhsa_group_segment_fixed_size 0
		.amdhsa_private_segment_fixed_size 0
		.amdhsa_kernarg_size 80
		.amdhsa_user_sgpr_count 2
		.amdhsa_user_sgpr_dispatch_ptr 0
		.amdhsa_user_sgpr_queue_ptr 0
		.amdhsa_user_sgpr_kernarg_segment_ptr 1
		.amdhsa_user_sgpr_dispatch_id 0
		.amdhsa_user_sgpr_private_segment_size 0
		.amdhsa_wavefront_size32 1
		.amdhsa_uses_dynamic_stack 0
		.amdhsa_enable_private_segment 0
		.amdhsa_system_sgpr_workgroup_id_x 1
		.amdhsa_system_sgpr_workgroup_id_y 0
		.amdhsa_system_sgpr_workgroup_id_z 0
		.amdhsa_system_sgpr_workgroup_info 0
		.amdhsa_system_vgpr_workitem_id 0
		.amdhsa_next_free_vgpr 14
		.amdhsa_next_free_sgpr 30
		.amdhsa_reserve_vcc 1
		.amdhsa_float_round_mode_32 0
		.amdhsa_float_round_mode_16_64 0
		.amdhsa_float_denorm_mode_32 3
		.amdhsa_float_denorm_mode_16_64 3
		.amdhsa_fp16_overflow 0
		.amdhsa_workgroup_processor_mode 1
		.amdhsa_memory_ordered 1
		.amdhsa_forward_progress 1
		.amdhsa_inst_pref_size 8
		.amdhsa_round_robin_scheduling 0
		.amdhsa_exception_fp_ieee_invalid_op 0
		.amdhsa_exception_fp_denorm_src 0
		.amdhsa_exception_fp_ieee_div_zero 0
		.amdhsa_exception_fp_ieee_overflow 0
		.amdhsa_exception_fp_ieee_underflow 0
		.amdhsa_exception_fp_ieee_inexact 0
		.amdhsa_exception_int_div_zero 0
	.end_amdhsa_kernel
	.section	.text._ZN9rocsparseL23gebsrmvn_general_kernelILj64ELj16EfEEvi20rocsparse_direction_NS_24const_host_device_scalarIT1_EEPKiS6_PKS3_iiS8_S4_PS3_21rocsparse_index_base_b,"axG",@progbits,_ZN9rocsparseL23gebsrmvn_general_kernelILj64ELj16EfEEvi20rocsparse_direction_NS_24const_host_device_scalarIT1_EEPKiS6_PKS3_iiS8_S4_PS3_21rocsparse_index_base_b,comdat
.Lfunc_end35:
	.size	_ZN9rocsparseL23gebsrmvn_general_kernelILj64ELj16EfEEvi20rocsparse_direction_NS_24const_host_device_scalarIT1_EEPKiS6_PKS3_iiS8_S4_PS3_21rocsparse_index_base_b, .Lfunc_end35-_ZN9rocsparseL23gebsrmvn_general_kernelILj64ELj16EfEEvi20rocsparse_direction_NS_24const_host_device_scalarIT1_EEPKiS6_PKS3_iiS8_S4_PS3_21rocsparse_index_base_b
                                        ; -- End function
	.set _ZN9rocsparseL23gebsrmvn_general_kernelILj64ELj16EfEEvi20rocsparse_direction_NS_24const_host_device_scalarIT1_EEPKiS6_PKS3_iiS8_S4_PS3_21rocsparse_index_base_b.num_vgpr, 14
	.set _ZN9rocsparseL23gebsrmvn_general_kernelILj64ELj16EfEEvi20rocsparse_direction_NS_24const_host_device_scalarIT1_EEPKiS6_PKS3_iiS8_S4_PS3_21rocsparse_index_base_b.num_agpr, 0
	.set _ZN9rocsparseL23gebsrmvn_general_kernelILj64ELj16EfEEvi20rocsparse_direction_NS_24const_host_device_scalarIT1_EEPKiS6_PKS3_iiS8_S4_PS3_21rocsparse_index_base_b.numbered_sgpr, 30
	.set _ZN9rocsparseL23gebsrmvn_general_kernelILj64ELj16EfEEvi20rocsparse_direction_NS_24const_host_device_scalarIT1_EEPKiS6_PKS3_iiS8_S4_PS3_21rocsparse_index_base_b.num_named_barrier, 0
	.set _ZN9rocsparseL23gebsrmvn_general_kernelILj64ELj16EfEEvi20rocsparse_direction_NS_24const_host_device_scalarIT1_EEPKiS6_PKS3_iiS8_S4_PS3_21rocsparse_index_base_b.private_seg_size, 0
	.set _ZN9rocsparseL23gebsrmvn_general_kernelILj64ELj16EfEEvi20rocsparse_direction_NS_24const_host_device_scalarIT1_EEPKiS6_PKS3_iiS8_S4_PS3_21rocsparse_index_base_b.uses_vcc, 1
	.set _ZN9rocsparseL23gebsrmvn_general_kernelILj64ELj16EfEEvi20rocsparse_direction_NS_24const_host_device_scalarIT1_EEPKiS6_PKS3_iiS8_S4_PS3_21rocsparse_index_base_b.uses_flat_scratch, 0
	.set _ZN9rocsparseL23gebsrmvn_general_kernelILj64ELj16EfEEvi20rocsparse_direction_NS_24const_host_device_scalarIT1_EEPKiS6_PKS3_iiS8_S4_PS3_21rocsparse_index_base_b.has_dyn_sized_stack, 0
	.set _ZN9rocsparseL23gebsrmvn_general_kernelILj64ELj16EfEEvi20rocsparse_direction_NS_24const_host_device_scalarIT1_EEPKiS6_PKS3_iiS8_S4_PS3_21rocsparse_index_base_b.has_recursion, 0
	.set _ZN9rocsparseL23gebsrmvn_general_kernelILj64ELj16EfEEvi20rocsparse_direction_NS_24const_host_device_scalarIT1_EEPKiS6_PKS3_iiS8_S4_PS3_21rocsparse_index_base_b.has_indirect_call, 0
	.section	.AMDGPU.csdata,"",@progbits
; Kernel info:
; codeLenInByte = 984
; TotalNumSgprs: 32
; NumVgprs: 14
; ScratchSize: 0
; MemoryBound: 0
; FloatMode: 240
; IeeeMode: 1
; LDSByteSize: 0 bytes/workgroup (compile time only)
; SGPRBlocks: 0
; VGPRBlocks: 1
; NumSGPRsForWavesPerEU: 32
; NumVGPRsForWavesPerEU: 14
; Occupancy: 16
; WaveLimiterHint : 1
; COMPUTE_PGM_RSRC2:SCRATCH_EN: 0
; COMPUTE_PGM_RSRC2:USER_SGPR: 2
; COMPUTE_PGM_RSRC2:TRAP_HANDLER: 0
; COMPUTE_PGM_RSRC2:TGID_X_EN: 1
; COMPUTE_PGM_RSRC2:TGID_Y_EN: 0
; COMPUTE_PGM_RSRC2:TGID_Z_EN: 0
; COMPUTE_PGM_RSRC2:TIDIG_COMP_CNT: 0
	.section	.text._ZN9rocsparseL23gebsrmvn_general_kernelILj128ELj32EfEEvi20rocsparse_direction_NS_24const_host_device_scalarIT1_EEPKiS6_PKS3_iiS8_S4_PS3_21rocsparse_index_base_b,"axG",@progbits,_ZN9rocsparseL23gebsrmvn_general_kernelILj128ELj32EfEEvi20rocsparse_direction_NS_24const_host_device_scalarIT1_EEPKiS6_PKS3_iiS8_S4_PS3_21rocsparse_index_base_b,comdat
	.globl	_ZN9rocsparseL23gebsrmvn_general_kernelILj128ELj32EfEEvi20rocsparse_direction_NS_24const_host_device_scalarIT1_EEPKiS6_PKS3_iiS8_S4_PS3_21rocsparse_index_base_b ; -- Begin function _ZN9rocsparseL23gebsrmvn_general_kernelILj128ELj32EfEEvi20rocsparse_direction_NS_24const_host_device_scalarIT1_EEPKiS6_PKS3_iiS8_S4_PS3_21rocsparse_index_base_b
	.p2align	8
	.type	_ZN9rocsparseL23gebsrmvn_general_kernelILj128ELj32EfEEvi20rocsparse_direction_NS_24const_host_device_scalarIT1_EEPKiS6_PKS3_iiS8_S4_PS3_21rocsparse_index_base_b,@function
_ZN9rocsparseL23gebsrmvn_general_kernelILj128ELj32EfEEvi20rocsparse_direction_NS_24const_host_device_scalarIT1_EEPKiS6_PKS3_iiS8_S4_PS3_21rocsparse_index_base_b: ; @_ZN9rocsparseL23gebsrmvn_general_kernelILj128ELj32EfEEvi20rocsparse_direction_NS_24const_host_device_scalarIT1_EEPKiS6_PKS3_iiS8_S4_PS3_21rocsparse_index_base_b
; %bb.0:
	s_clause 0x2
	s_load_b64 s[2:3], s[0:1], 0x48
	s_load_b64 s[8:9], s[0:1], 0x8
	;; [unrolled: 1-line block ×3, first 2 shown]
	s_wait_kmcnt 0x0
	s_bitcmp1_b32 s3, 0
	s_cselect_b32 s3, -1, 0
	s_delay_alu instid0(SALU_CYCLE_1)
	s_and_b32 vcc_lo, exec_lo, s3
	s_xor_b32 s3, s3, -1
	s_cbranch_vccnz .LBB36_2
; %bb.1:
	s_load_b32 s8, s[8:9], 0x0
.LBB36_2:
	s_and_not1_b32 vcc_lo, exec_lo, s3
	s_cbranch_vccnz .LBB36_4
; %bb.3:
	s_load_b32 s10, s[10:11], 0x0
.LBB36_4:
	s_wait_kmcnt 0x0
	s_cmp_eq_f32 s8, 0
	s_cselect_b32 s3, -1, 0
	s_cmp_eq_f32 s10, 1.0
	s_cselect_b32 s4, -1, 0
	s_delay_alu instid0(SALU_CYCLE_1) | instskip(NEXT) | instid1(SALU_CYCLE_1)
	s_and_b32 s3, s3, s4
	s_and_b32 vcc_lo, exec_lo, s3
	s_cbranch_vccnz .LBB36_24
; %bb.5:
	s_load_b64 s[12:13], s[0:1], 0x28
	v_lshrrev_b32_e32 v1, 5, v0
	s_mov_b32 s3, exec_lo
	s_wait_kmcnt 0x0
	s_delay_alu instid0(VALU_DEP_1)
	v_cmpx_gt_i32_e64 s12, v1
	s_cbranch_execz .LBB36_24
; %bb.6:
	s_clause 0x1
	s_load_b128 s[4:7], s[0:1], 0x10
	s_load_b32 s21, s[0:1], 0x4
	v_mbcnt_lo_u32_b32 v2, -1, 0
	s_mov_b32 s14, ttmp9
	s_ashr_i32 s15, ttmp9, 31
	s_mov_b32 s3, 0
	s_lshl_b64 s[14:15], s[14:15], 2
	v_xor_b32_e32 v3, 16, v2
	v_xor_b32_e32 v4, 8, v2
	;; [unrolled: 1-line block ×5, first 2 shown]
	v_cmp_gt_i32_e32 vcc_lo, 32, v3
	s_mul_i32 s23, s12, ttmp9
	s_mul_i32 s25, s13, s12
	v_cndmask_b32_e32 v8, v2, v3, vcc_lo
	v_cmp_gt_i32_e32 vcc_lo, 32, v4
	s_wait_kmcnt 0x0
	s_add_nc_u64 s[4:5], s[4:5], s[14:15]
	s_load_b64 s[18:19], s[4:5], 0x0
	s_clause 0x2
	s_load_b64 s[4:5], s[0:1], 0x20
	s_load_b64 s[14:15], s[0:1], 0x30
	;; [unrolled: 1-line block ×3, first 2 shown]
	v_cndmask_b32_e32 v9, v2, v4, vcc_lo
	v_cmp_gt_i32_e32 vcc_lo, 32, v5
	s_wait_alu 0xfffd
	v_cndmask_b32_e32 v10, v2, v5, vcc_lo
	v_cmp_gt_i32_e32 vcc_lo, 32, v6
	s_wait_alu 0xfffd
	v_dual_cndmask_b32 v11, v2, v6 :: v_dual_and_b32 v0, 31, v0
	v_cmp_gt_i32_e32 vcc_lo, 32, v7
	s_delay_alu instid0(VALU_DEP_2)
	v_cmp_gt_i32_e64 s0, s13, v0
	v_cmp_eq_u32_e64 s1, 31, v0
	s_wait_kmcnt 0x0
	s_sub_co_i32 s9, s18, s2
	s_sub_co_i32 s11, s19, s2
	s_wait_alu 0xfffd
	v_cndmask_b32_e32 v12, v2, v7, vcc_lo
	v_mad_co_u64_u32 v[2:3], null, s12, s9, v[1:2]
	s_cmp_lt_i32 s18, s19
	v_lshlrev_b32_e32 v7, 2, v11
	s_cselect_b32 s20, -1, 0
	s_cmp_lg_u32 s21, 0
	v_lshlrev_b32_e32 v6, 2, v10
	v_lshlrev_b32_e32 v5, 2, v9
	v_mul_lo_u32 v9, s13, v2
	s_cselect_b32 s21, -1, 0
	s_cmp_eq_f32 s10, 0
	v_lshlrev_b32_e32 v4, 2, v8
	v_lshlrev_b32_e32 v8, 2, v12
	s_cselect_b32 s22, -1, 0
	s_lshl_b32 s24, s13, 2
	s_branch .LBB36_8
.LBB36_7:                               ;   in Loop: Header=BB36_8 Depth=1
	s_wait_alu 0xfffe
	s_or_b32 exec_lo, exec_lo, s18
	v_add_nc_u32_e32 v1, 4, v1
	v_add_nc_u32_e32 v9, s24, v9
	s_delay_alu instid0(VALU_DEP_2) | instskip(SKIP_1) | instid1(SALU_CYCLE_1)
	v_cmp_le_i32_e32 vcc_lo, s12, v1
	s_or_b32 s3, vcc_lo, s3
	s_and_not1_b32 exec_lo, exec_lo, s3
	s_cbranch_execz .LBB36_24
.LBB36_8:                               ; =>This Loop Header: Depth=1
                                        ;     Child Loop BB36_12 Depth 2
                                        ;       Child Loop BB36_15 Depth 3
	v_mov_b32_e32 v10, 0
	s_and_not1_b32 vcc_lo, exec_lo, s20
	s_wait_alu 0xfffe
	s_cbranch_vccnz .LBB36_19
; %bb.9:                                ;   in Loop: Header=BB36_8 Depth=1
	v_dual_mov_b32 v10, 0 :: v_dual_mov_b32 v11, v9
	s_mov_b32 s18, s9
	s_branch .LBB36_12
.LBB36_10:                              ;   in Loop: Header=BB36_12 Depth=2
	s_or_b32 exec_lo, exec_lo, s27
.LBB36_11:                              ;   in Loop: Header=BB36_12 Depth=2
	s_delay_alu instid0(SALU_CYCLE_1)
	s_or_b32 exec_lo, exec_lo, s26
	v_add_nc_u32_e32 v11, s25, v11
	s_wait_alu 0xfffe
	s_add_co_i32 s18, s18, 1
	s_wait_alu 0xfffe
	s_cmp_ge_i32 s18, s11
	s_cbranch_scc1 .LBB36_19
.LBB36_12:                              ;   Parent Loop BB36_8 Depth=1
                                        ; =>  This Loop Header: Depth=2
                                        ;       Child Loop BB36_15 Depth 3
	s_and_saveexec_b32 s26, s0
	s_cbranch_execz .LBB36_11
; %bb.13:                               ;   in Loop: Header=BB36_12 Depth=2
	s_wait_alu 0xfffe
	s_ashr_i32 s19, s18, 31
	v_mov_b32_e32 v12, v0
	s_wait_alu 0xfffe
	s_lshl_b64 s[28:29], s[18:19], 2
	s_mov_b32 s27, 0
	s_wait_alu 0xfffe
	s_add_nc_u64 s[28:29], s[6:7], s[28:29]
	s_load_b32 s19, s[28:29], 0x0
	s_wait_kmcnt 0x0
	s_sub_co_i32 s28, s19, s2
	s_mul_i32 s19, s18, s13
	s_wait_alu 0xfffe
	s_mul_i32 s28, s28, s13
	s_branch .LBB36_15
.LBB36_14:                              ;   in Loop: Header=BB36_15 Depth=3
	v_add_nc_u32_e32 v13, s28, v12
	s_wait_dscnt 0x0
	s_delay_alu instid0(VALU_DEP_2) | instskip(SKIP_1) | instid1(VALU_DEP_3)
	v_ashrrev_i32_e32 v3, 31, v2
	v_add_nc_u32_e32 v12, 32, v12
	v_ashrrev_i32_e32 v14, 31, v13
	s_delay_alu instid0(VALU_DEP_3) | instskip(NEXT) | instid1(VALU_DEP_2)
	v_lshlrev_b64_e32 v[2:3], 2, v[2:3]
	v_lshlrev_b64_e32 v[13:14], 2, v[13:14]
	s_delay_alu instid0(VALU_DEP_2) | instskip(SKIP_1) | instid1(VALU_DEP_3)
	v_add_co_u32 v2, vcc_lo, s4, v2
	s_wait_alu 0xfffd
	v_add_co_ci_u32_e64 v3, null, s5, v3, vcc_lo
	s_delay_alu instid0(VALU_DEP_3)
	v_add_co_u32 v13, vcc_lo, s14, v13
	s_wait_alu 0xfffd
	v_add_co_ci_u32_e64 v14, null, s15, v14, vcc_lo
	v_cmp_le_i32_e32 vcc_lo, s13, v12
	global_load_b32 v2, v[2:3], off
	global_load_b32 v3, v[13:14], off
	s_or_b32 s27, vcc_lo, s27
	s_wait_loadcnt 0x0
	v_fmac_f32_e32 v10, v2, v3
	s_and_not1_b32 exec_lo, exec_lo, s27
	s_cbranch_execz .LBB36_10
.LBB36_15:                              ;   Parent Loop BB36_8 Depth=1
                                        ;     Parent Loop BB36_12 Depth=2
                                        ; =>    This Inner Loop Header: Depth=3
	s_and_b32 vcc_lo, exec_lo, s21
	s_wait_alu 0xfffe
	s_cbranch_vccz .LBB36_17
; %bb.16:                               ;   in Loop: Header=BB36_15 Depth=3
	v_add_nc_u32_e32 v2, s19, v12
	s_wait_dscnt 0x0
	s_delay_alu instid0(VALU_DEP_1)
	v_mad_co_u64_u32 v[2:3], null, v2, s12, v[1:2]
	s_cbranch_execnz .LBB36_14
	s_branch .LBB36_18
.LBB36_17:                              ;   in Loop: Header=BB36_15 Depth=3
                                        ; implicit-def: $vgpr2
.LBB36_18:                              ;   in Loop: Header=BB36_15 Depth=3
	v_add_nc_u32_e32 v2, v11, v12
	s_branch .LBB36_14
.LBB36_19:                              ;   in Loop: Header=BB36_8 Depth=1
	ds_bpermute_b32 v2, v4, v10
	s_wait_dscnt 0x0
	v_add_f32_e32 v2, v10, v2
	ds_bpermute_b32 v3, v5, v2
	s_wait_dscnt 0x0
	v_add_f32_e32 v2, v2, v3
	;; [unrolled: 3-line block ×4, first 2 shown]
	ds_bpermute_b32 v3, v8, v2
	s_and_saveexec_b32 s18, s1
	s_cbranch_execz .LBB36_7
; %bb.20:                               ;   in Loop: Header=BB36_8 Depth=1
	s_wait_dscnt 0x0
	v_dual_add_f32 v3, v2, v3 :: v_dual_add_nc_u32 v2, s23, v1
	s_and_b32 vcc_lo, exec_lo, s22
	s_delay_alu instid0(VALU_DEP_1) | instskip(NEXT) | instid1(VALU_DEP_2)
	v_mul_f32_e32 v10, s8, v3
	v_ashrrev_i32_e32 v3, 31, v2
	s_wait_alu 0xfffe
	s_cbranch_vccz .LBB36_22
; %bb.21:                               ;   in Loop: Header=BB36_8 Depth=1
	s_delay_alu instid0(VALU_DEP_1) | instskip(NEXT) | instid1(VALU_DEP_1)
	v_lshlrev_b64_e32 v[11:12], 2, v[2:3]
	v_add_co_u32 v11, vcc_lo, s16, v11
	s_wait_alu 0xfffd
	s_delay_alu instid0(VALU_DEP_2)
	v_add_co_ci_u32_e64 v12, null, s17, v12, vcc_lo
	global_store_b32 v[11:12], v10, off
	s_cbranch_execnz .LBB36_7
	s_branch .LBB36_23
.LBB36_22:                              ;   in Loop: Header=BB36_8 Depth=1
.LBB36_23:                              ;   in Loop: Header=BB36_8 Depth=1
	s_delay_alu instid0(VALU_DEP_1) | instskip(NEXT) | instid1(VALU_DEP_1)
	v_lshlrev_b64_e32 v[2:3], 2, v[2:3]
	v_add_co_u32 v2, vcc_lo, s16, v2
	s_wait_alu 0xfffd
	s_delay_alu instid0(VALU_DEP_2)
	v_add_co_ci_u32_e64 v3, null, s17, v3, vcc_lo
	global_load_b32 v11, v[2:3], off
	s_wait_loadcnt 0x0
	v_fmac_f32_e32 v10, s10, v11
	global_store_b32 v[2:3], v10, off
	s_branch .LBB36_7
.LBB36_24:
	s_endpgm
	.section	.rodata,"a",@progbits
	.p2align	6, 0x0
	.amdhsa_kernel _ZN9rocsparseL23gebsrmvn_general_kernelILj128ELj32EfEEvi20rocsparse_direction_NS_24const_host_device_scalarIT1_EEPKiS6_PKS3_iiS8_S4_PS3_21rocsparse_index_base_b
		.amdhsa_group_segment_fixed_size 0
		.amdhsa_private_segment_fixed_size 0
		.amdhsa_kernarg_size 80
		.amdhsa_user_sgpr_count 2
		.amdhsa_user_sgpr_dispatch_ptr 0
		.amdhsa_user_sgpr_queue_ptr 0
		.amdhsa_user_sgpr_kernarg_segment_ptr 1
		.amdhsa_user_sgpr_dispatch_id 0
		.amdhsa_user_sgpr_private_segment_size 0
		.amdhsa_wavefront_size32 1
		.amdhsa_uses_dynamic_stack 0
		.amdhsa_enable_private_segment 0
		.amdhsa_system_sgpr_workgroup_id_x 1
		.amdhsa_system_sgpr_workgroup_id_y 0
		.amdhsa_system_sgpr_workgroup_id_z 0
		.amdhsa_system_sgpr_workgroup_info 0
		.amdhsa_system_vgpr_workitem_id 0
		.amdhsa_next_free_vgpr 15
		.amdhsa_next_free_sgpr 30
		.amdhsa_reserve_vcc 1
		.amdhsa_float_round_mode_32 0
		.amdhsa_float_round_mode_16_64 0
		.amdhsa_float_denorm_mode_32 3
		.amdhsa_float_denorm_mode_16_64 3
		.amdhsa_fp16_overflow 0
		.amdhsa_workgroup_processor_mode 1
		.amdhsa_memory_ordered 1
		.amdhsa_forward_progress 1
		.amdhsa_inst_pref_size 8
		.amdhsa_round_robin_scheduling 0
		.amdhsa_exception_fp_ieee_invalid_op 0
		.amdhsa_exception_fp_denorm_src 0
		.amdhsa_exception_fp_ieee_div_zero 0
		.amdhsa_exception_fp_ieee_overflow 0
		.amdhsa_exception_fp_ieee_underflow 0
		.amdhsa_exception_fp_ieee_inexact 0
		.amdhsa_exception_int_div_zero 0
	.end_amdhsa_kernel
	.section	.text._ZN9rocsparseL23gebsrmvn_general_kernelILj128ELj32EfEEvi20rocsparse_direction_NS_24const_host_device_scalarIT1_EEPKiS6_PKS3_iiS8_S4_PS3_21rocsparse_index_base_b,"axG",@progbits,_ZN9rocsparseL23gebsrmvn_general_kernelILj128ELj32EfEEvi20rocsparse_direction_NS_24const_host_device_scalarIT1_EEPKiS6_PKS3_iiS8_S4_PS3_21rocsparse_index_base_b,comdat
.Lfunc_end36:
	.size	_ZN9rocsparseL23gebsrmvn_general_kernelILj128ELj32EfEEvi20rocsparse_direction_NS_24const_host_device_scalarIT1_EEPKiS6_PKS3_iiS8_S4_PS3_21rocsparse_index_base_b, .Lfunc_end36-_ZN9rocsparseL23gebsrmvn_general_kernelILj128ELj32EfEEvi20rocsparse_direction_NS_24const_host_device_scalarIT1_EEPKiS6_PKS3_iiS8_S4_PS3_21rocsparse_index_base_b
                                        ; -- End function
	.set _ZN9rocsparseL23gebsrmvn_general_kernelILj128ELj32EfEEvi20rocsparse_direction_NS_24const_host_device_scalarIT1_EEPKiS6_PKS3_iiS8_S4_PS3_21rocsparse_index_base_b.num_vgpr, 15
	.set _ZN9rocsparseL23gebsrmvn_general_kernelILj128ELj32EfEEvi20rocsparse_direction_NS_24const_host_device_scalarIT1_EEPKiS6_PKS3_iiS8_S4_PS3_21rocsparse_index_base_b.num_agpr, 0
	.set _ZN9rocsparseL23gebsrmvn_general_kernelILj128ELj32EfEEvi20rocsparse_direction_NS_24const_host_device_scalarIT1_EEPKiS6_PKS3_iiS8_S4_PS3_21rocsparse_index_base_b.numbered_sgpr, 30
	.set _ZN9rocsparseL23gebsrmvn_general_kernelILj128ELj32EfEEvi20rocsparse_direction_NS_24const_host_device_scalarIT1_EEPKiS6_PKS3_iiS8_S4_PS3_21rocsparse_index_base_b.num_named_barrier, 0
	.set _ZN9rocsparseL23gebsrmvn_general_kernelILj128ELj32EfEEvi20rocsparse_direction_NS_24const_host_device_scalarIT1_EEPKiS6_PKS3_iiS8_S4_PS3_21rocsparse_index_base_b.private_seg_size, 0
	.set _ZN9rocsparseL23gebsrmvn_general_kernelILj128ELj32EfEEvi20rocsparse_direction_NS_24const_host_device_scalarIT1_EEPKiS6_PKS3_iiS8_S4_PS3_21rocsparse_index_base_b.uses_vcc, 1
	.set _ZN9rocsparseL23gebsrmvn_general_kernelILj128ELj32EfEEvi20rocsparse_direction_NS_24const_host_device_scalarIT1_EEPKiS6_PKS3_iiS8_S4_PS3_21rocsparse_index_base_b.uses_flat_scratch, 0
	.set _ZN9rocsparseL23gebsrmvn_general_kernelILj128ELj32EfEEvi20rocsparse_direction_NS_24const_host_device_scalarIT1_EEPKiS6_PKS3_iiS8_S4_PS3_21rocsparse_index_base_b.has_dyn_sized_stack, 0
	.set _ZN9rocsparseL23gebsrmvn_general_kernelILj128ELj32EfEEvi20rocsparse_direction_NS_24const_host_device_scalarIT1_EEPKiS6_PKS3_iiS8_S4_PS3_21rocsparse_index_base_b.has_recursion, 0
	.set _ZN9rocsparseL23gebsrmvn_general_kernelILj128ELj32EfEEvi20rocsparse_direction_NS_24const_host_device_scalarIT1_EEPKiS6_PKS3_iiS8_S4_PS3_21rocsparse_index_base_b.has_indirect_call, 0
	.section	.AMDGPU.csdata,"",@progbits
; Kernel info:
; codeLenInByte = 1020
; TotalNumSgprs: 32
; NumVgprs: 15
; ScratchSize: 0
; MemoryBound: 0
; FloatMode: 240
; IeeeMode: 1
; LDSByteSize: 0 bytes/workgroup (compile time only)
; SGPRBlocks: 0
; VGPRBlocks: 1
; NumSGPRsForWavesPerEU: 32
; NumVGPRsForWavesPerEU: 15
; Occupancy: 16
; WaveLimiterHint : 1
; COMPUTE_PGM_RSRC2:SCRATCH_EN: 0
; COMPUTE_PGM_RSRC2:USER_SGPR: 2
; COMPUTE_PGM_RSRC2:TRAP_HANDLER: 0
; COMPUTE_PGM_RSRC2:TGID_X_EN: 1
; COMPUTE_PGM_RSRC2:TGID_Y_EN: 0
; COMPUTE_PGM_RSRC2:TGID_Z_EN: 0
; COMPUTE_PGM_RSRC2:TIDIG_COMP_CNT: 0
	.section	.text._ZN9rocsparseL19gebsrmvn_4xn_kernelILj128ELj1ELj4EdEEvi20rocsparse_direction_NS_24const_host_device_scalarIT2_EEPKiS6_PKS3_S8_S4_PS3_21rocsparse_index_base_b,"axG",@progbits,_ZN9rocsparseL19gebsrmvn_4xn_kernelILj128ELj1ELj4EdEEvi20rocsparse_direction_NS_24const_host_device_scalarIT2_EEPKiS6_PKS3_S8_S4_PS3_21rocsparse_index_base_b,comdat
	.globl	_ZN9rocsparseL19gebsrmvn_4xn_kernelILj128ELj1ELj4EdEEvi20rocsparse_direction_NS_24const_host_device_scalarIT2_EEPKiS6_PKS3_S8_S4_PS3_21rocsparse_index_base_b ; -- Begin function _ZN9rocsparseL19gebsrmvn_4xn_kernelILj128ELj1ELj4EdEEvi20rocsparse_direction_NS_24const_host_device_scalarIT2_EEPKiS6_PKS3_S8_S4_PS3_21rocsparse_index_base_b
	.p2align	8
	.type	_ZN9rocsparseL19gebsrmvn_4xn_kernelILj128ELj1ELj4EdEEvi20rocsparse_direction_NS_24const_host_device_scalarIT2_EEPKiS6_PKS3_S8_S4_PS3_21rocsparse_index_base_b,@function
_ZN9rocsparseL19gebsrmvn_4xn_kernelILj128ELj1ELj4EdEEvi20rocsparse_direction_NS_24const_host_device_scalarIT2_EEPKiS6_PKS3_S8_S4_PS3_21rocsparse_index_base_b: ; @_ZN9rocsparseL19gebsrmvn_4xn_kernelILj128ELj1ELj4EdEEvi20rocsparse_direction_NS_24const_host_device_scalarIT2_EEPKiS6_PKS3_S8_S4_PS3_21rocsparse_index_base_b
; %bb.0:
	s_clause 0x2
	s_load_b64 s[12:13], s[0:1], 0x40
	s_load_b64 s[4:5], s[0:1], 0x8
	;; [unrolled: 1-line block ×3, first 2 shown]
	s_wait_kmcnt 0x0
	s_bitcmp1_b32 s13, 0
	v_dual_mov_b32 v1, s4 :: v_dual_mov_b32 v2, s5
	s_cselect_b32 s6, -1, 0
	s_delay_alu instid0(SALU_CYCLE_1)
	s_and_b32 vcc_lo, exec_lo, s6
	s_xor_b32 s6, s6, -1
	s_cbranch_vccnz .LBB37_2
; %bb.1:
	v_dual_mov_b32 v1, s4 :: v_dual_mov_b32 v2, s5
	flat_load_b64 v[1:2], v[1:2]
.LBB37_2:
	v_dual_mov_b32 v4, s3 :: v_dual_mov_b32 v3, s2
	s_and_not1_b32 vcc_lo, exec_lo, s6
	s_cbranch_vccnz .LBB37_4
; %bb.3:
	v_dual_mov_b32 v4, s3 :: v_dual_mov_b32 v3, s2
	flat_load_b64 v[3:4], v[3:4]
.LBB37_4:
	s_wait_loadcnt_dscnt 0x0
	v_cmp_neq_f64_e32 vcc_lo, 0, v[1:2]
	v_cmp_neq_f64_e64 s2, 1.0, v[3:4]
	s_or_b32 s2, vcc_lo, s2
	s_wait_alu 0xfffe
	s_and_saveexec_b32 s3, s2
	s_cbranch_execz .LBB37_23
; %bb.5:
	s_load_b64 s[2:3], s[0:1], 0x0
	v_lshrrev_b32_e32 v5, 2, v0
	s_delay_alu instid0(VALU_DEP_1) | instskip(SKIP_1) | instid1(VALU_DEP_1)
	v_lshl_or_b32 v5, ttmp9, 5, v5
	s_wait_kmcnt 0x0
	v_cmp_gt_i32_e32 vcc_lo, s2, v5
	s_and_b32 exec_lo, exec_lo, vcc_lo
	s_cbranch_execz .LBB37_23
; %bb.6:
	s_load_b256 s[4:11], s[0:1], 0x10
	v_ashrrev_i32_e32 v6, 31, v5
	v_and_b32_e32 v0, 3, v0
	s_cmp_lg_u32 s3, 0
	s_delay_alu instid0(VALU_DEP_2) | instskip(SKIP_1) | instid1(VALU_DEP_1)
	v_lshlrev_b64_e32 v[6:7], 2, v[5:6]
	s_wait_kmcnt 0x0
	v_add_co_u32 v6, vcc_lo, s4, v6
	s_delay_alu instid0(VALU_DEP_1) | instskip(SKIP_4) | instid1(VALU_DEP_2)
	v_add_co_ci_u32_e64 v7, null, s5, v7, vcc_lo
	global_load_b64 v[6:7], v[6:7], off
	s_wait_loadcnt 0x0
	v_subrev_nc_u32_e32 v6, s12, v6
	v_subrev_nc_u32_e32 v19, s12, v7
	v_add_nc_u32_e32 v14, v6, v0
	s_delay_alu instid0(VALU_DEP_1)
	v_cmp_lt_i32_e64 s2, v14, v19
	s_cbranch_scc0 .LBB37_12
; %bb.7:
	v_mov_b32_e32 v6, 0
	v_dual_mov_b32 v10, 0 :: v_dual_mov_b32 v7, 0
	v_dual_mov_b32 v8, 0 :: v_dual_mov_b32 v11, 0
	v_dual_mov_b32 v12, 0 :: v_dual_mov_b32 v9, 0
	v_mov_b32_e32 v13, 0
	s_and_saveexec_b32 s3, s2
	s_cbranch_execz .LBB37_11
; %bb.8:
	v_dual_mov_b32 v8, 0 :: v_dual_lshlrev_b32 v15, 2, v14
	v_dual_mov_b32 v6, 0 :: v_dual_mov_b32 v9, 0
	v_mov_b32_e32 v10, 0
	v_dual_mov_b32 v12, 0 :: v_dual_mov_b32 v17, v14
	v_dual_mov_b32 v7, 0 :: v_dual_mov_b32 v16, 0
	v_mov_b32_e32 v11, 0
	v_mov_b32_e32 v13, 0
	s_mov_b32 s4, 0
.LBB37_9:                               ; =>This Inner Loop Header: Depth=1
	v_ashrrev_i32_e32 v18, 31, v17
	v_mov_b32_e32 v25, v16
	s_delay_alu instid0(VALU_DEP_2) | instskip(SKIP_1) | instid1(VALU_DEP_2)
	v_lshlrev_b64_e32 v[20:21], 2, v[17:18]
	v_add_nc_u32_e32 v17, 4, v17
	v_add_co_u32 v20, vcc_lo, s6, v20
	s_wait_alu 0xfffd
	s_delay_alu instid0(VALU_DEP_3) | instskip(SKIP_3) | instid1(VALU_DEP_2)
	v_add_co_ci_u32_e64 v21, null, s7, v21, vcc_lo
	global_load_b32 v18, v[20:21], off
	v_lshlrev_b64_e32 v[20:21], 3, v[15:16]
	v_add_nc_u32_e32 v15, 16, v15
	v_add_co_u32 v26, vcc_lo, s8, v20
	s_wait_alu 0xfffd
	s_delay_alu instid0(VALU_DEP_3) | instskip(SKIP_3) | instid1(VALU_DEP_1)
	v_add_co_ci_u32_e64 v27, null, s9, v21, vcc_lo
	global_load_b128 v[20:23], v[26:27], off offset:16
	s_wait_loadcnt 0x1
	v_subrev_nc_u32_e32 v24, s12, v18
	v_lshlrev_b64_e32 v[24:25], 3, v[24:25]
	s_delay_alu instid0(VALU_DEP_1) | instskip(SKIP_1) | instid1(VALU_DEP_2)
	v_add_co_u32 v28, vcc_lo, s10, v24
	s_wait_alu 0xfffd
	v_add_co_ci_u32_e64 v29, null, s11, v25, vcc_lo
	v_cmp_ge_i32_e32 vcc_lo, v17, v19
	global_load_b128 v[24:27], v[26:27], off
	global_load_b64 v[28:29], v[28:29], off
	s_wait_alu 0xfffe
	s_or_b32 s4, vcc_lo, s4
	s_wait_loadcnt 0x0
	v_fma_f64 v[6:7], v[24:25], v[28:29], v[6:7]
	v_fma_f64 v[12:13], v[26:27], v[28:29], v[12:13]
	;; [unrolled: 1-line block ×4, first 2 shown]
	s_wait_alu 0xfffe
	s_and_not1_b32 exec_lo, exec_lo, s4
	s_cbranch_execnz .LBB37_9
; %bb.10:
	s_or_b32 exec_lo, exec_lo, s4
.LBB37_11:
	s_wait_alu 0xfffe
	s_or_b32 exec_lo, exec_lo, s3
	s_cbranch_execz .LBB37_13
	s_branch .LBB37_18
.LBB37_12:
                                        ; implicit-def: $vgpr6_vgpr7
                                        ; implicit-def: $vgpr8_vgpr9
                                        ; implicit-def: $vgpr10_vgpr11
                                        ; implicit-def: $vgpr12_vgpr13
.LBB37_13:
	v_mov_b32_e32 v6, 0
	v_dual_mov_b32 v10, 0 :: v_dual_mov_b32 v7, 0
	v_dual_mov_b32 v8, 0 :: v_dual_mov_b32 v11, 0
	;; [unrolled: 1-line block ×3, first 2 shown]
	v_mov_b32_e32 v13, 0
	s_and_saveexec_b32 s3, s2
	s_cbranch_execz .LBB37_17
; %bb.14:
	v_mov_b32_e32 v6, 0
	v_mov_b32_e32 v8, 0
	;; [unrolled: 1-line block ×3, first 2 shown]
	v_dual_mov_b32 v12, 0 :: v_dual_mov_b32 v17, 0
	v_dual_mov_b32 v7, 0 :: v_dual_lshlrev_b32 v16, 2, v14
	v_mov_b32_e32 v9, 0
	v_mov_b32_e32 v11, 0
	v_mov_b32_e32 v13, 0
	s_mov_b32 s2, 0
.LBB37_15:                              ; =>This Inner Loop Header: Depth=1
	v_ashrrev_i32_e32 v15, 31, v14
	v_mov_b32_e32 v25, v17
	s_delay_alu instid0(VALU_DEP_2) | instskip(SKIP_1) | instid1(VALU_DEP_2)
	v_lshlrev_b64_e32 v[20:21], 2, v[14:15]
	v_add_nc_u32_e32 v14, 4, v14
	v_add_co_u32 v20, vcc_lo, s6, v20
	s_wait_alu 0xfffd
	s_delay_alu instid0(VALU_DEP_3) | instskip(SKIP_3) | instid1(VALU_DEP_2)
	v_add_co_ci_u32_e64 v21, null, s7, v21, vcc_lo
	global_load_b32 v15, v[20:21], off
	v_lshlrev_b64_e32 v[20:21], 3, v[16:17]
	v_add_nc_u32_e32 v16, 16, v16
	v_add_co_u32 v26, vcc_lo, s8, v20
	s_wait_alu 0xfffd
	s_delay_alu instid0(VALU_DEP_3) | instskip(SKIP_3) | instid1(VALU_DEP_1)
	v_add_co_ci_u32_e64 v27, null, s9, v21, vcc_lo
	global_load_b128 v[20:23], v[26:27], off offset:16
	s_wait_loadcnt 0x1
	v_subrev_nc_u32_e32 v24, s12, v15
	v_lshlrev_b64_e32 v[24:25], 3, v[24:25]
	s_delay_alu instid0(VALU_DEP_1) | instskip(SKIP_1) | instid1(VALU_DEP_2)
	v_add_co_u32 v28, vcc_lo, s10, v24
	s_wait_alu 0xfffd
	v_add_co_ci_u32_e64 v29, null, s11, v25, vcc_lo
	v_cmp_ge_i32_e32 vcc_lo, v14, v19
	global_load_b128 v[24:27], v[26:27], off
	global_load_b64 v[28:29], v[28:29], off
	s_wait_alu 0xfffe
	s_or_b32 s2, vcc_lo, s2
	s_wait_loadcnt 0x0
	v_fma_f64 v[6:7], v[24:25], v[28:29], v[6:7]
	v_fma_f64 v[12:13], v[26:27], v[28:29], v[12:13]
	;; [unrolled: 1-line block ×4, first 2 shown]
	s_wait_alu 0xfffe
	s_and_not1_b32 exec_lo, exec_lo, s2
	s_cbranch_execnz .LBB37_15
; %bb.16:
	s_or_b32 exec_lo, exec_lo, s2
.LBB37_17:
	s_wait_alu 0xfffe
	s_or_b32 exec_lo, exec_lo, s3
.LBB37_18:
	v_mbcnt_lo_u32_b32 v24, -1, 0
	s_delay_alu instid0(VALU_DEP_1) | instskip(NEXT) | instid1(VALU_DEP_1)
	v_xor_b32_e32 v14, 2, v24
	v_cmp_gt_i32_e32 vcc_lo, 32, v14
	s_wait_alu 0xfffd
	v_cndmask_b32_e32 v14, v24, v14, vcc_lo
	s_delay_alu instid0(VALU_DEP_1)
	v_lshlrev_b32_e32 v16, 2, v14
	ds_bpermute_b32 v14, v16, v6
	ds_bpermute_b32 v15, v16, v7
	;; [unrolled: 1-line block ×8, first 2 shown]
	s_wait_dscnt 0x6
	v_add_f64_e32 v[16:17], v[6:7], v[14:15]
	s_wait_dscnt 0x4
	v_add_f64_e32 v[14:15], v[12:13], v[18:19]
	s_wait_dscnt 0x2
	v_add_f64_e32 v[6:7], v[10:11], v[20:21]
	v_xor_b32_e32 v10, 1, v24
	s_wait_dscnt 0x0
	v_add_f64_e32 v[8:9], v[8:9], v[22:23]
	s_delay_alu instid0(VALU_DEP_2) | instskip(SKIP_3) | instid1(VALU_DEP_2)
	v_cmp_gt_i32_e32 vcc_lo, 32, v10
	s_wait_alu 0xfffd
	v_cndmask_b32_e32 v10, v24, v10, vcc_lo
	v_cmp_eq_u32_e32 vcc_lo, 3, v0
	v_lshlrev_b32_e32 v19, 2, v10
	ds_bpermute_b32 v12, v19, v16
	ds_bpermute_b32 v13, v19, v17
	;; [unrolled: 1-line block ×8, first 2 shown]
	s_and_b32 exec_lo, exec_lo, vcc_lo
	s_cbranch_execz .LBB37_23
; %bb.19:
	s_wait_dscnt 0x6
	v_add_f64_e32 v[12:13], v[16:17], v[12:13]
	s_wait_dscnt 0x4
	v_add_f64_e32 v[10:11], v[14:15], v[10:11]
	;; [unrolled: 2-line block ×4, first 2 shown]
	s_load_b64 s[0:1], s[0:1], 0x38
	s_mov_b32 s2, exec_lo
	v_cmpx_eq_f64_e32 0, v[3:4]
	s_wait_alu 0xfffe
	s_xor_b32 s2, exec_lo, s2
	s_cbranch_execz .LBB37_21
; %bb.20:
	v_mul_f64_e32 v[12:13], v[1:2], v[12:13]
	v_mul_f64_e32 v[14:15], v[1:2], v[10:11]
	;; [unrolled: 1-line block ×4, first 2 shown]
	v_lshlrev_b32_e32 v0, 2, v5
                                        ; implicit-def: $vgpr5
                                        ; implicit-def: $vgpr3_vgpr4
                                        ; implicit-def: $vgpr10_vgpr11
	s_delay_alu instid0(VALU_DEP_1) | instskip(NEXT) | instid1(VALU_DEP_1)
	v_ashrrev_i32_e32 v1, 31, v0
	v_lshlrev_b64_e32 v[0:1], 3, v[0:1]
	s_wait_kmcnt 0x0
	s_delay_alu instid0(VALU_DEP_1) | instskip(SKIP_1) | instid1(VALU_DEP_2)
	v_add_co_u32 v0, vcc_lo, s0, v0
	s_wait_alu 0xfffd
	v_add_co_ci_u32_e64 v1, null, s1, v1, vcc_lo
	s_clause 0x1
	global_store_b128 v[0:1], v[12:15], off
	global_store_b128 v[0:1], v[6:9], off offset:16
                                        ; implicit-def: $vgpr1_vgpr2
                                        ; implicit-def: $vgpr12_vgpr13
                                        ; implicit-def: $vgpr6_vgpr7
                                        ; implicit-def: $vgpr8_vgpr9
.LBB37_21:
	s_wait_alu 0xfffe
	s_and_not1_saveexec_b32 s2, s2
	s_cbranch_execz .LBB37_23
; %bb.22:
	v_lshlrev_b32_e32 v14, 2, v5
	v_mul_f64_e32 v[12:13], v[1:2], v[12:13]
	v_mul_f64_e32 v[10:11], v[1:2], v[10:11]
	;; [unrolled: 1-line block ×4, first 2 shown]
	v_ashrrev_i32_e32 v15, 31, v14
	s_delay_alu instid0(VALU_DEP_1) | instskip(SKIP_1) | instid1(VALU_DEP_1)
	v_lshlrev_b64_e32 v[14:15], 3, v[14:15]
	s_wait_kmcnt 0x0
	v_add_co_u32 v22, vcc_lo, s0, v14
	s_wait_alu 0xfffd
	s_delay_alu instid0(VALU_DEP_2)
	v_add_co_ci_u32_e64 v23, null, s1, v15, vcc_lo
	s_clause 0x1
	global_load_b128 v[14:17], v[22:23], off
	global_load_b128 v[18:21], v[22:23], off offset:16
	s_wait_loadcnt 0x1
	v_fma_f64 v[5:6], v[3:4], v[14:15], v[12:13]
	v_fma_f64 v[7:8], v[3:4], v[16:17], v[10:11]
	s_wait_loadcnt 0x0
	v_fma_f64 v[0:1], v[3:4], v[18:19], v[24:25]
	v_fma_f64 v[2:3], v[3:4], v[20:21], v[26:27]
	s_clause 0x1
	global_store_b128 v[22:23], v[5:8], off
	global_store_b128 v[22:23], v[0:3], off offset:16
.LBB37_23:
	s_endpgm
	.section	.rodata,"a",@progbits
	.p2align	6, 0x0
	.amdhsa_kernel _ZN9rocsparseL19gebsrmvn_4xn_kernelILj128ELj1ELj4EdEEvi20rocsparse_direction_NS_24const_host_device_scalarIT2_EEPKiS6_PKS3_S8_S4_PS3_21rocsparse_index_base_b
		.amdhsa_group_segment_fixed_size 0
		.amdhsa_private_segment_fixed_size 0
		.amdhsa_kernarg_size 72
		.amdhsa_user_sgpr_count 2
		.amdhsa_user_sgpr_dispatch_ptr 0
		.amdhsa_user_sgpr_queue_ptr 0
		.amdhsa_user_sgpr_kernarg_segment_ptr 1
		.amdhsa_user_sgpr_dispatch_id 0
		.amdhsa_user_sgpr_private_segment_size 0
		.amdhsa_wavefront_size32 1
		.amdhsa_uses_dynamic_stack 0
		.amdhsa_enable_private_segment 0
		.amdhsa_system_sgpr_workgroup_id_x 1
		.amdhsa_system_sgpr_workgroup_id_y 0
		.amdhsa_system_sgpr_workgroup_id_z 0
		.amdhsa_system_sgpr_workgroup_info 0
		.amdhsa_system_vgpr_workitem_id 0
		.amdhsa_next_free_vgpr 30
		.amdhsa_next_free_sgpr 14
		.amdhsa_reserve_vcc 1
		.amdhsa_float_round_mode_32 0
		.amdhsa_float_round_mode_16_64 0
		.amdhsa_float_denorm_mode_32 3
		.amdhsa_float_denorm_mode_16_64 3
		.amdhsa_fp16_overflow 0
		.amdhsa_workgroup_processor_mode 1
		.amdhsa_memory_ordered 1
		.amdhsa_forward_progress 1
		.amdhsa_inst_pref_size 12
		.amdhsa_round_robin_scheduling 0
		.amdhsa_exception_fp_ieee_invalid_op 0
		.amdhsa_exception_fp_denorm_src 0
		.amdhsa_exception_fp_ieee_div_zero 0
		.amdhsa_exception_fp_ieee_overflow 0
		.amdhsa_exception_fp_ieee_underflow 0
		.amdhsa_exception_fp_ieee_inexact 0
		.amdhsa_exception_int_div_zero 0
	.end_amdhsa_kernel
	.section	.text._ZN9rocsparseL19gebsrmvn_4xn_kernelILj128ELj1ELj4EdEEvi20rocsparse_direction_NS_24const_host_device_scalarIT2_EEPKiS6_PKS3_S8_S4_PS3_21rocsparse_index_base_b,"axG",@progbits,_ZN9rocsparseL19gebsrmvn_4xn_kernelILj128ELj1ELj4EdEEvi20rocsparse_direction_NS_24const_host_device_scalarIT2_EEPKiS6_PKS3_S8_S4_PS3_21rocsparse_index_base_b,comdat
.Lfunc_end37:
	.size	_ZN9rocsparseL19gebsrmvn_4xn_kernelILj128ELj1ELj4EdEEvi20rocsparse_direction_NS_24const_host_device_scalarIT2_EEPKiS6_PKS3_S8_S4_PS3_21rocsparse_index_base_b, .Lfunc_end37-_ZN9rocsparseL19gebsrmvn_4xn_kernelILj128ELj1ELj4EdEEvi20rocsparse_direction_NS_24const_host_device_scalarIT2_EEPKiS6_PKS3_S8_S4_PS3_21rocsparse_index_base_b
                                        ; -- End function
	.set _ZN9rocsparseL19gebsrmvn_4xn_kernelILj128ELj1ELj4EdEEvi20rocsparse_direction_NS_24const_host_device_scalarIT2_EEPKiS6_PKS3_S8_S4_PS3_21rocsparse_index_base_b.num_vgpr, 30
	.set _ZN9rocsparseL19gebsrmvn_4xn_kernelILj128ELj1ELj4EdEEvi20rocsparse_direction_NS_24const_host_device_scalarIT2_EEPKiS6_PKS3_S8_S4_PS3_21rocsparse_index_base_b.num_agpr, 0
	.set _ZN9rocsparseL19gebsrmvn_4xn_kernelILj128ELj1ELj4EdEEvi20rocsparse_direction_NS_24const_host_device_scalarIT2_EEPKiS6_PKS3_S8_S4_PS3_21rocsparse_index_base_b.numbered_sgpr, 14
	.set _ZN9rocsparseL19gebsrmvn_4xn_kernelILj128ELj1ELj4EdEEvi20rocsparse_direction_NS_24const_host_device_scalarIT2_EEPKiS6_PKS3_S8_S4_PS3_21rocsparse_index_base_b.num_named_barrier, 0
	.set _ZN9rocsparseL19gebsrmvn_4xn_kernelILj128ELj1ELj4EdEEvi20rocsparse_direction_NS_24const_host_device_scalarIT2_EEPKiS6_PKS3_S8_S4_PS3_21rocsparse_index_base_b.private_seg_size, 0
	.set _ZN9rocsparseL19gebsrmvn_4xn_kernelILj128ELj1ELj4EdEEvi20rocsparse_direction_NS_24const_host_device_scalarIT2_EEPKiS6_PKS3_S8_S4_PS3_21rocsparse_index_base_b.uses_vcc, 1
	.set _ZN9rocsparseL19gebsrmvn_4xn_kernelILj128ELj1ELj4EdEEvi20rocsparse_direction_NS_24const_host_device_scalarIT2_EEPKiS6_PKS3_S8_S4_PS3_21rocsparse_index_base_b.uses_flat_scratch, 0
	.set _ZN9rocsparseL19gebsrmvn_4xn_kernelILj128ELj1ELj4EdEEvi20rocsparse_direction_NS_24const_host_device_scalarIT2_EEPKiS6_PKS3_S8_S4_PS3_21rocsparse_index_base_b.has_dyn_sized_stack, 0
	.set _ZN9rocsparseL19gebsrmvn_4xn_kernelILj128ELj1ELj4EdEEvi20rocsparse_direction_NS_24const_host_device_scalarIT2_EEPKiS6_PKS3_S8_S4_PS3_21rocsparse_index_base_b.has_recursion, 0
	.set _ZN9rocsparseL19gebsrmvn_4xn_kernelILj128ELj1ELj4EdEEvi20rocsparse_direction_NS_24const_host_device_scalarIT2_EEPKiS6_PKS3_S8_S4_PS3_21rocsparse_index_base_b.has_indirect_call, 0
	.section	.AMDGPU.csdata,"",@progbits
; Kernel info:
; codeLenInByte = 1484
; TotalNumSgprs: 16
; NumVgprs: 30
; ScratchSize: 0
; MemoryBound: 0
; FloatMode: 240
; IeeeMode: 1
; LDSByteSize: 0 bytes/workgroup (compile time only)
; SGPRBlocks: 0
; VGPRBlocks: 3
; NumSGPRsForWavesPerEU: 16
; NumVGPRsForWavesPerEU: 30
; Occupancy: 16
; WaveLimiterHint : 1
; COMPUTE_PGM_RSRC2:SCRATCH_EN: 0
; COMPUTE_PGM_RSRC2:USER_SGPR: 2
; COMPUTE_PGM_RSRC2:TRAP_HANDLER: 0
; COMPUTE_PGM_RSRC2:TGID_X_EN: 1
; COMPUTE_PGM_RSRC2:TGID_Y_EN: 0
; COMPUTE_PGM_RSRC2:TGID_Z_EN: 0
; COMPUTE_PGM_RSRC2:TIDIG_COMP_CNT: 0
	.section	.text._ZN9rocsparseL19gebsrmvn_4xn_kernelILj128ELj1ELj8EdEEvi20rocsparse_direction_NS_24const_host_device_scalarIT2_EEPKiS6_PKS3_S8_S4_PS3_21rocsparse_index_base_b,"axG",@progbits,_ZN9rocsparseL19gebsrmvn_4xn_kernelILj128ELj1ELj8EdEEvi20rocsparse_direction_NS_24const_host_device_scalarIT2_EEPKiS6_PKS3_S8_S4_PS3_21rocsparse_index_base_b,comdat
	.globl	_ZN9rocsparseL19gebsrmvn_4xn_kernelILj128ELj1ELj8EdEEvi20rocsparse_direction_NS_24const_host_device_scalarIT2_EEPKiS6_PKS3_S8_S4_PS3_21rocsparse_index_base_b ; -- Begin function _ZN9rocsparseL19gebsrmvn_4xn_kernelILj128ELj1ELj8EdEEvi20rocsparse_direction_NS_24const_host_device_scalarIT2_EEPKiS6_PKS3_S8_S4_PS3_21rocsparse_index_base_b
	.p2align	8
	.type	_ZN9rocsparseL19gebsrmvn_4xn_kernelILj128ELj1ELj8EdEEvi20rocsparse_direction_NS_24const_host_device_scalarIT2_EEPKiS6_PKS3_S8_S4_PS3_21rocsparse_index_base_b,@function
_ZN9rocsparseL19gebsrmvn_4xn_kernelILj128ELj1ELj8EdEEvi20rocsparse_direction_NS_24const_host_device_scalarIT2_EEPKiS6_PKS3_S8_S4_PS3_21rocsparse_index_base_b: ; @_ZN9rocsparseL19gebsrmvn_4xn_kernelILj128ELj1ELj8EdEEvi20rocsparse_direction_NS_24const_host_device_scalarIT2_EEPKiS6_PKS3_S8_S4_PS3_21rocsparse_index_base_b
; %bb.0:
	s_clause 0x2
	s_load_b64 s[12:13], s[0:1], 0x40
	s_load_b64 s[4:5], s[0:1], 0x8
	;; [unrolled: 1-line block ×3, first 2 shown]
	s_wait_kmcnt 0x0
	s_bitcmp1_b32 s13, 0
	v_dual_mov_b32 v1, s4 :: v_dual_mov_b32 v2, s5
	s_cselect_b32 s6, -1, 0
	s_delay_alu instid0(SALU_CYCLE_1)
	s_and_b32 vcc_lo, exec_lo, s6
	s_xor_b32 s6, s6, -1
	s_cbranch_vccnz .LBB38_2
; %bb.1:
	v_dual_mov_b32 v1, s4 :: v_dual_mov_b32 v2, s5
	flat_load_b64 v[1:2], v[1:2]
.LBB38_2:
	v_dual_mov_b32 v4, s3 :: v_dual_mov_b32 v3, s2
	s_and_not1_b32 vcc_lo, exec_lo, s6
	s_cbranch_vccnz .LBB38_4
; %bb.3:
	v_dual_mov_b32 v4, s3 :: v_dual_mov_b32 v3, s2
	flat_load_b64 v[3:4], v[3:4]
.LBB38_4:
	s_wait_loadcnt_dscnt 0x0
	v_cmp_neq_f64_e32 vcc_lo, 0, v[1:2]
	v_cmp_neq_f64_e64 s2, 1.0, v[3:4]
	s_or_b32 s2, vcc_lo, s2
	s_wait_alu 0xfffe
	s_and_saveexec_b32 s3, s2
	s_cbranch_execz .LBB38_23
; %bb.5:
	s_load_b64 s[2:3], s[0:1], 0x0
	v_lshrrev_b32_e32 v5, 3, v0
	s_delay_alu instid0(VALU_DEP_1) | instskip(SKIP_1) | instid1(VALU_DEP_1)
	v_lshl_or_b32 v5, ttmp9, 4, v5
	s_wait_kmcnt 0x0
	v_cmp_gt_i32_e32 vcc_lo, s2, v5
	s_and_b32 exec_lo, exec_lo, vcc_lo
	s_cbranch_execz .LBB38_23
; %bb.6:
	s_load_b256 s[4:11], s[0:1], 0x10
	v_ashrrev_i32_e32 v6, 31, v5
	v_and_b32_e32 v0, 7, v0
	s_cmp_lg_u32 s3, 0
	s_delay_alu instid0(VALU_DEP_2) | instskip(SKIP_1) | instid1(VALU_DEP_1)
	v_lshlrev_b64_e32 v[6:7], 2, v[5:6]
	s_wait_kmcnt 0x0
	v_add_co_u32 v6, vcc_lo, s4, v6
	s_delay_alu instid0(VALU_DEP_1) | instskip(SKIP_4) | instid1(VALU_DEP_2)
	v_add_co_ci_u32_e64 v7, null, s5, v7, vcc_lo
	global_load_b64 v[6:7], v[6:7], off
	s_wait_loadcnt 0x0
	v_subrev_nc_u32_e32 v6, s12, v6
	v_subrev_nc_u32_e32 v19, s12, v7
	v_add_nc_u32_e32 v14, v6, v0
	s_delay_alu instid0(VALU_DEP_1)
	v_cmp_lt_i32_e64 s2, v14, v19
	s_cbranch_scc0 .LBB38_12
; %bb.7:
	v_mov_b32_e32 v6, 0
	v_dual_mov_b32 v10, 0 :: v_dual_mov_b32 v7, 0
	v_dual_mov_b32 v8, 0 :: v_dual_mov_b32 v11, 0
	;; [unrolled: 1-line block ×3, first 2 shown]
	v_mov_b32_e32 v13, 0
	s_and_saveexec_b32 s3, s2
	s_cbranch_execz .LBB38_11
; %bb.8:
	v_dual_mov_b32 v8, 0 :: v_dual_lshlrev_b32 v15, 2, v14
	v_dual_mov_b32 v6, 0 :: v_dual_mov_b32 v9, 0
	v_mov_b32_e32 v10, 0
	v_dual_mov_b32 v12, 0 :: v_dual_mov_b32 v17, v14
	v_dual_mov_b32 v7, 0 :: v_dual_mov_b32 v16, 0
	v_mov_b32_e32 v11, 0
	v_mov_b32_e32 v13, 0
	s_mov_b32 s4, 0
.LBB38_9:                               ; =>This Inner Loop Header: Depth=1
	v_ashrrev_i32_e32 v18, 31, v17
	v_mov_b32_e32 v25, v16
	s_delay_alu instid0(VALU_DEP_2) | instskip(SKIP_1) | instid1(VALU_DEP_2)
	v_lshlrev_b64_e32 v[20:21], 2, v[17:18]
	v_add_nc_u32_e32 v17, 8, v17
	v_add_co_u32 v20, vcc_lo, s6, v20
	s_wait_alu 0xfffd
	s_delay_alu instid0(VALU_DEP_3) | instskip(SKIP_3) | instid1(VALU_DEP_2)
	v_add_co_ci_u32_e64 v21, null, s7, v21, vcc_lo
	global_load_b32 v18, v[20:21], off
	v_lshlrev_b64_e32 v[20:21], 3, v[15:16]
	v_add_nc_u32_e32 v15, 32, v15
	v_add_co_u32 v26, vcc_lo, s8, v20
	s_wait_alu 0xfffd
	s_delay_alu instid0(VALU_DEP_3) | instskip(SKIP_3) | instid1(VALU_DEP_1)
	v_add_co_ci_u32_e64 v27, null, s9, v21, vcc_lo
	global_load_b128 v[20:23], v[26:27], off offset:16
	s_wait_loadcnt 0x1
	v_subrev_nc_u32_e32 v24, s12, v18
	v_lshlrev_b64_e32 v[24:25], 3, v[24:25]
	s_delay_alu instid0(VALU_DEP_1) | instskip(SKIP_1) | instid1(VALU_DEP_2)
	v_add_co_u32 v28, vcc_lo, s10, v24
	s_wait_alu 0xfffd
	v_add_co_ci_u32_e64 v29, null, s11, v25, vcc_lo
	v_cmp_ge_i32_e32 vcc_lo, v17, v19
	global_load_b128 v[24:27], v[26:27], off
	global_load_b64 v[28:29], v[28:29], off
	s_wait_alu 0xfffe
	s_or_b32 s4, vcc_lo, s4
	s_wait_loadcnt 0x0
	v_fma_f64 v[6:7], v[24:25], v[28:29], v[6:7]
	v_fma_f64 v[12:13], v[26:27], v[28:29], v[12:13]
	;; [unrolled: 1-line block ×4, first 2 shown]
	s_wait_alu 0xfffe
	s_and_not1_b32 exec_lo, exec_lo, s4
	s_cbranch_execnz .LBB38_9
; %bb.10:
	s_or_b32 exec_lo, exec_lo, s4
.LBB38_11:
	s_wait_alu 0xfffe
	s_or_b32 exec_lo, exec_lo, s3
	s_cbranch_execz .LBB38_13
	s_branch .LBB38_18
.LBB38_12:
                                        ; implicit-def: $vgpr6_vgpr7
                                        ; implicit-def: $vgpr8_vgpr9
                                        ; implicit-def: $vgpr10_vgpr11
                                        ; implicit-def: $vgpr12_vgpr13
.LBB38_13:
	v_mov_b32_e32 v6, 0
	v_dual_mov_b32 v10, 0 :: v_dual_mov_b32 v7, 0
	v_dual_mov_b32 v8, 0 :: v_dual_mov_b32 v11, 0
	;; [unrolled: 1-line block ×3, first 2 shown]
	v_mov_b32_e32 v13, 0
	s_and_saveexec_b32 s3, s2
	s_cbranch_execz .LBB38_17
; %bb.14:
	v_mov_b32_e32 v6, 0
	v_mov_b32_e32 v8, 0
	;; [unrolled: 1-line block ×3, first 2 shown]
	v_dual_mov_b32 v12, 0 :: v_dual_mov_b32 v17, 0
	v_dual_mov_b32 v7, 0 :: v_dual_lshlrev_b32 v16, 2, v14
	v_mov_b32_e32 v9, 0
	v_mov_b32_e32 v11, 0
	;; [unrolled: 1-line block ×3, first 2 shown]
	s_mov_b32 s2, 0
.LBB38_15:                              ; =>This Inner Loop Header: Depth=1
	v_ashrrev_i32_e32 v15, 31, v14
	v_mov_b32_e32 v25, v17
	s_delay_alu instid0(VALU_DEP_2) | instskip(SKIP_1) | instid1(VALU_DEP_2)
	v_lshlrev_b64_e32 v[20:21], 2, v[14:15]
	v_add_nc_u32_e32 v14, 8, v14
	v_add_co_u32 v20, vcc_lo, s6, v20
	s_wait_alu 0xfffd
	s_delay_alu instid0(VALU_DEP_3) | instskip(SKIP_3) | instid1(VALU_DEP_2)
	v_add_co_ci_u32_e64 v21, null, s7, v21, vcc_lo
	global_load_b32 v15, v[20:21], off
	v_lshlrev_b64_e32 v[20:21], 3, v[16:17]
	v_add_nc_u32_e32 v16, 32, v16
	v_add_co_u32 v26, vcc_lo, s8, v20
	s_wait_alu 0xfffd
	s_delay_alu instid0(VALU_DEP_3) | instskip(SKIP_3) | instid1(VALU_DEP_1)
	v_add_co_ci_u32_e64 v27, null, s9, v21, vcc_lo
	global_load_b128 v[20:23], v[26:27], off offset:16
	s_wait_loadcnt 0x1
	v_subrev_nc_u32_e32 v24, s12, v15
	v_lshlrev_b64_e32 v[24:25], 3, v[24:25]
	s_delay_alu instid0(VALU_DEP_1) | instskip(SKIP_1) | instid1(VALU_DEP_2)
	v_add_co_u32 v28, vcc_lo, s10, v24
	s_wait_alu 0xfffd
	v_add_co_ci_u32_e64 v29, null, s11, v25, vcc_lo
	v_cmp_ge_i32_e32 vcc_lo, v14, v19
	global_load_b128 v[24:27], v[26:27], off
	global_load_b64 v[28:29], v[28:29], off
	s_wait_alu 0xfffe
	s_or_b32 s2, vcc_lo, s2
	s_wait_loadcnt 0x0
	v_fma_f64 v[6:7], v[24:25], v[28:29], v[6:7]
	v_fma_f64 v[12:13], v[26:27], v[28:29], v[12:13]
	;; [unrolled: 1-line block ×4, first 2 shown]
	s_wait_alu 0xfffe
	s_and_not1_b32 exec_lo, exec_lo, s2
	s_cbranch_execnz .LBB38_15
; %bb.16:
	s_or_b32 exec_lo, exec_lo, s2
.LBB38_17:
	s_wait_alu 0xfffe
	s_or_b32 exec_lo, exec_lo, s3
.LBB38_18:
	v_mbcnt_lo_u32_b32 v24, -1, 0
	s_delay_alu instid0(VALU_DEP_1) | instskip(NEXT) | instid1(VALU_DEP_1)
	v_xor_b32_e32 v14, 4, v24
	v_cmp_gt_i32_e32 vcc_lo, 32, v14
	s_wait_alu 0xfffd
	v_cndmask_b32_e32 v14, v24, v14, vcc_lo
	s_delay_alu instid0(VALU_DEP_1)
	v_lshlrev_b32_e32 v21, 2, v14
	ds_bpermute_b32 v14, v21, v6
	ds_bpermute_b32 v15, v21, v7
	;; [unrolled: 1-line block ×8, first 2 shown]
	s_wait_dscnt 0x6
	v_add_f64_e32 v[6:7], v[6:7], v[14:15]
	s_wait_dscnt 0x4
	v_add_f64_e32 v[14:15], v[12:13], v[16:17]
	;; [unrolled: 2-line block ×3, first 2 shown]
	v_xor_b32_e32 v10, 2, v24
	s_wait_dscnt 0x0
	v_add_f64_e32 v[8:9], v[8:9], v[20:21]
	s_delay_alu instid0(VALU_DEP_2) | instskip(SKIP_2) | instid1(VALU_DEP_1)
	v_cmp_gt_i32_e32 vcc_lo, 32, v10
	s_wait_alu 0xfffd
	v_cndmask_b32_e32 v10, v24, v10, vcc_lo
	v_lshlrev_b32_e32 v12, 2, v10
	ds_bpermute_b32 v10, v12, v6
	ds_bpermute_b32 v11, v12, v7
	ds_bpermute_b32 v18, v12, v14
	ds_bpermute_b32 v19, v12, v15
	ds_bpermute_b32 v20, v12, v16
	ds_bpermute_b32 v21, v12, v17
	ds_bpermute_b32 v22, v12, v8
	ds_bpermute_b32 v23, v12, v9
	s_wait_dscnt 0x6
	v_add_f64_e32 v[12:13], v[6:7], v[10:11]
	s_wait_dscnt 0x4
	v_add_f64_e32 v[10:11], v[14:15], v[18:19]
	v_xor_b32_e32 v14, 1, v24
	s_wait_dscnt 0x2
	v_add_f64_e32 v[6:7], v[16:17], v[20:21]
	s_wait_dscnt 0x0
	v_add_f64_e32 v[8:9], v[8:9], v[22:23]
	v_cmp_gt_i32_e32 vcc_lo, 32, v14
	s_wait_alu 0xfffd
	v_cndmask_b32_e32 v14, v24, v14, vcc_lo
	v_cmp_eq_u32_e32 vcc_lo, 7, v0
	s_delay_alu instid0(VALU_DEP_2)
	v_lshlrev_b32_e32 v15, 2, v14
	ds_bpermute_b32 v20, v15, v12
	ds_bpermute_b32 v21, v15, v13
	;; [unrolled: 1-line block ×8, first 2 shown]
	s_and_b32 exec_lo, exec_lo, vcc_lo
	s_cbranch_execz .LBB38_23
; %bb.19:
	s_wait_dscnt 0x6
	v_add_f64_e32 v[12:13], v[12:13], v[20:21]
	s_wait_dscnt 0x4
	v_add_f64_e32 v[10:11], v[10:11], v[18:19]
	;; [unrolled: 2-line block ×4, first 2 shown]
	s_load_b64 s[0:1], s[0:1], 0x38
	s_mov_b32 s2, exec_lo
	v_cmpx_eq_f64_e32 0, v[3:4]
	s_wait_alu 0xfffe
	s_xor_b32 s2, exec_lo, s2
	s_cbranch_execz .LBB38_21
; %bb.20:
	v_mul_f64_e32 v[12:13], v[1:2], v[12:13]
	v_mul_f64_e32 v[14:15], v[1:2], v[10:11]
	;; [unrolled: 1-line block ×4, first 2 shown]
	v_lshlrev_b32_e32 v0, 2, v5
                                        ; implicit-def: $vgpr5
                                        ; implicit-def: $vgpr3_vgpr4
                                        ; implicit-def: $vgpr10_vgpr11
	s_delay_alu instid0(VALU_DEP_1) | instskip(NEXT) | instid1(VALU_DEP_1)
	v_ashrrev_i32_e32 v1, 31, v0
	v_lshlrev_b64_e32 v[0:1], 3, v[0:1]
	s_wait_kmcnt 0x0
	s_delay_alu instid0(VALU_DEP_1) | instskip(SKIP_1) | instid1(VALU_DEP_2)
	v_add_co_u32 v0, vcc_lo, s0, v0
	s_wait_alu 0xfffd
	v_add_co_ci_u32_e64 v1, null, s1, v1, vcc_lo
	s_clause 0x1
	global_store_b128 v[0:1], v[12:15], off
	global_store_b128 v[0:1], v[6:9], off offset:16
                                        ; implicit-def: $vgpr1_vgpr2
                                        ; implicit-def: $vgpr12_vgpr13
                                        ; implicit-def: $vgpr6_vgpr7
                                        ; implicit-def: $vgpr8_vgpr9
.LBB38_21:
	s_wait_alu 0xfffe
	s_and_not1_saveexec_b32 s2, s2
	s_cbranch_execz .LBB38_23
; %bb.22:
	v_lshlrev_b32_e32 v14, 2, v5
	v_mul_f64_e32 v[12:13], v[1:2], v[12:13]
	v_mul_f64_e32 v[10:11], v[1:2], v[10:11]
	;; [unrolled: 1-line block ×4, first 2 shown]
	v_ashrrev_i32_e32 v15, 31, v14
	s_delay_alu instid0(VALU_DEP_1) | instskip(SKIP_1) | instid1(VALU_DEP_1)
	v_lshlrev_b64_e32 v[14:15], 3, v[14:15]
	s_wait_kmcnt 0x0
	v_add_co_u32 v22, vcc_lo, s0, v14
	s_wait_alu 0xfffd
	s_delay_alu instid0(VALU_DEP_2)
	v_add_co_ci_u32_e64 v23, null, s1, v15, vcc_lo
	s_clause 0x1
	global_load_b128 v[14:17], v[22:23], off
	global_load_b128 v[18:21], v[22:23], off offset:16
	s_wait_loadcnt 0x1
	v_fma_f64 v[5:6], v[3:4], v[14:15], v[12:13]
	v_fma_f64 v[7:8], v[3:4], v[16:17], v[10:11]
	s_wait_loadcnt 0x0
	v_fma_f64 v[0:1], v[3:4], v[18:19], v[24:25]
	v_fma_f64 v[2:3], v[3:4], v[20:21], v[26:27]
	s_clause 0x1
	global_store_b128 v[22:23], v[5:8], off
	global_store_b128 v[22:23], v[0:3], off offset:16
.LBB38_23:
	s_endpgm
	.section	.rodata,"a",@progbits
	.p2align	6, 0x0
	.amdhsa_kernel _ZN9rocsparseL19gebsrmvn_4xn_kernelILj128ELj1ELj8EdEEvi20rocsparse_direction_NS_24const_host_device_scalarIT2_EEPKiS6_PKS3_S8_S4_PS3_21rocsparse_index_base_b
		.amdhsa_group_segment_fixed_size 0
		.amdhsa_private_segment_fixed_size 0
		.amdhsa_kernarg_size 72
		.amdhsa_user_sgpr_count 2
		.amdhsa_user_sgpr_dispatch_ptr 0
		.amdhsa_user_sgpr_queue_ptr 0
		.amdhsa_user_sgpr_kernarg_segment_ptr 1
		.amdhsa_user_sgpr_dispatch_id 0
		.amdhsa_user_sgpr_private_segment_size 0
		.amdhsa_wavefront_size32 1
		.amdhsa_uses_dynamic_stack 0
		.amdhsa_enable_private_segment 0
		.amdhsa_system_sgpr_workgroup_id_x 1
		.amdhsa_system_sgpr_workgroup_id_y 0
		.amdhsa_system_sgpr_workgroup_id_z 0
		.amdhsa_system_sgpr_workgroup_info 0
		.amdhsa_system_vgpr_workitem_id 0
		.amdhsa_next_free_vgpr 30
		.amdhsa_next_free_sgpr 14
		.amdhsa_reserve_vcc 1
		.amdhsa_float_round_mode_32 0
		.amdhsa_float_round_mode_16_64 0
		.amdhsa_float_denorm_mode_32 3
		.amdhsa_float_denorm_mode_16_64 3
		.amdhsa_fp16_overflow 0
		.amdhsa_workgroup_processor_mode 1
		.amdhsa_memory_ordered 1
		.amdhsa_forward_progress 1
		.amdhsa_inst_pref_size 13
		.amdhsa_round_robin_scheduling 0
		.amdhsa_exception_fp_ieee_invalid_op 0
		.amdhsa_exception_fp_denorm_src 0
		.amdhsa_exception_fp_ieee_div_zero 0
		.amdhsa_exception_fp_ieee_overflow 0
		.amdhsa_exception_fp_ieee_underflow 0
		.amdhsa_exception_fp_ieee_inexact 0
		.amdhsa_exception_int_div_zero 0
	.end_amdhsa_kernel
	.section	.text._ZN9rocsparseL19gebsrmvn_4xn_kernelILj128ELj1ELj8EdEEvi20rocsparse_direction_NS_24const_host_device_scalarIT2_EEPKiS6_PKS3_S8_S4_PS3_21rocsparse_index_base_b,"axG",@progbits,_ZN9rocsparseL19gebsrmvn_4xn_kernelILj128ELj1ELj8EdEEvi20rocsparse_direction_NS_24const_host_device_scalarIT2_EEPKiS6_PKS3_S8_S4_PS3_21rocsparse_index_base_b,comdat
.Lfunc_end38:
	.size	_ZN9rocsparseL19gebsrmvn_4xn_kernelILj128ELj1ELj8EdEEvi20rocsparse_direction_NS_24const_host_device_scalarIT2_EEPKiS6_PKS3_S8_S4_PS3_21rocsparse_index_base_b, .Lfunc_end38-_ZN9rocsparseL19gebsrmvn_4xn_kernelILj128ELj1ELj8EdEEvi20rocsparse_direction_NS_24const_host_device_scalarIT2_EEPKiS6_PKS3_S8_S4_PS3_21rocsparse_index_base_b
                                        ; -- End function
	.set _ZN9rocsparseL19gebsrmvn_4xn_kernelILj128ELj1ELj8EdEEvi20rocsparse_direction_NS_24const_host_device_scalarIT2_EEPKiS6_PKS3_S8_S4_PS3_21rocsparse_index_base_b.num_vgpr, 30
	.set _ZN9rocsparseL19gebsrmvn_4xn_kernelILj128ELj1ELj8EdEEvi20rocsparse_direction_NS_24const_host_device_scalarIT2_EEPKiS6_PKS3_S8_S4_PS3_21rocsparse_index_base_b.num_agpr, 0
	.set _ZN9rocsparseL19gebsrmvn_4xn_kernelILj128ELj1ELj8EdEEvi20rocsparse_direction_NS_24const_host_device_scalarIT2_EEPKiS6_PKS3_S8_S4_PS3_21rocsparse_index_base_b.numbered_sgpr, 14
	.set _ZN9rocsparseL19gebsrmvn_4xn_kernelILj128ELj1ELj8EdEEvi20rocsparse_direction_NS_24const_host_device_scalarIT2_EEPKiS6_PKS3_S8_S4_PS3_21rocsparse_index_base_b.num_named_barrier, 0
	.set _ZN9rocsparseL19gebsrmvn_4xn_kernelILj128ELj1ELj8EdEEvi20rocsparse_direction_NS_24const_host_device_scalarIT2_EEPKiS6_PKS3_S8_S4_PS3_21rocsparse_index_base_b.private_seg_size, 0
	.set _ZN9rocsparseL19gebsrmvn_4xn_kernelILj128ELj1ELj8EdEEvi20rocsparse_direction_NS_24const_host_device_scalarIT2_EEPKiS6_PKS3_S8_S4_PS3_21rocsparse_index_base_b.uses_vcc, 1
	.set _ZN9rocsparseL19gebsrmvn_4xn_kernelILj128ELj1ELj8EdEEvi20rocsparse_direction_NS_24const_host_device_scalarIT2_EEPKiS6_PKS3_S8_S4_PS3_21rocsparse_index_base_b.uses_flat_scratch, 0
	.set _ZN9rocsparseL19gebsrmvn_4xn_kernelILj128ELj1ELj8EdEEvi20rocsparse_direction_NS_24const_host_device_scalarIT2_EEPKiS6_PKS3_S8_S4_PS3_21rocsparse_index_base_b.has_dyn_sized_stack, 0
	.set _ZN9rocsparseL19gebsrmvn_4xn_kernelILj128ELj1ELj8EdEEvi20rocsparse_direction_NS_24const_host_device_scalarIT2_EEPKiS6_PKS3_S8_S4_PS3_21rocsparse_index_base_b.has_recursion, 0
	.set _ZN9rocsparseL19gebsrmvn_4xn_kernelILj128ELj1ELj8EdEEvi20rocsparse_direction_NS_24const_host_device_scalarIT2_EEPKiS6_PKS3_S8_S4_PS3_21rocsparse_index_base_b.has_indirect_call, 0
	.section	.AMDGPU.csdata,"",@progbits
; Kernel info:
; codeLenInByte = 1604
; TotalNumSgprs: 16
; NumVgprs: 30
; ScratchSize: 0
; MemoryBound: 0
; FloatMode: 240
; IeeeMode: 1
; LDSByteSize: 0 bytes/workgroup (compile time only)
; SGPRBlocks: 0
; VGPRBlocks: 3
; NumSGPRsForWavesPerEU: 16
; NumVGPRsForWavesPerEU: 30
; Occupancy: 16
; WaveLimiterHint : 1
; COMPUTE_PGM_RSRC2:SCRATCH_EN: 0
; COMPUTE_PGM_RSRC2:USER_SGPR: 2
; COMPUTE_PGM_RSRC2:TRAP_HANDLER: 0
; COMPUTE_PGM_RSRC2:TGID_X_EN: 1
; COMPUTE_PGM_RSRC2:TGID_Y_EN: 0
; COMPUTE_PGM_RSRC2:TGID_Z_EN: 0
; COMPUTE_PGM_RSRC2:TIDIG_COMP_CNT: 0
	.section	.text._ZN9rocsparseL19gebsrmvn_4xn_kernelILj128ELj1ELj16EdEEvi20rocsparse_direction_NS_24const_host_device_scalarIT2_EEPKiS6_PKS3_S8_S4_PS3_21rocsparse_index_base_b,"axG",@progbits,_ZN9rocsparseL19gebsrmvn_4xn_kernelILj128ELj1ELj16EdEEvi20rocsparse_direction_NS_24const_host_device_scalarIT2_EEPKiS6_PKS3_S8_S4_PS3_21rocsparse_index_base_b,comdat
	.globl	_ZN9rocsparseL19gebsrmvn_4xn_kernelILj128ELj1ELj16EdEEvi20rocsparse_direction_NS_24const_host_device_scalarIT2_EEPKiS6_PKS3_S8_S4_PS3_21rocsparse_index_base_b ; -- Begin function _ZN9rocsparseL19gebsrmvn_4xn_kernelILj128ELj1ELj16EdEEvi20rocsparse_direction_NS_24const_host_device_scalarIT2_EEPKiS6_PKS3_S8_S4_PS3_21rocsparse_index_base_b
	.p2align	8
	.type	_ZN9rocsparseL19gebsrmvn_4xn_kernelILj128ELj1ELj16EdEEvi20rocsparse_direction_NS_24const_host_device_scalarIT2_EEPKiS6_PKS3_S8_S4_PS3_21rocsparse_index_base_b,@function
_ZN9rocsparseL19gebsrmvn_4xn_kernelILj128ELj1ELj16EdEEvi20rocsparse_direction_NS_24const_host_device_scalarIT2_EEPKiS6_PKS3_S8_S4_PS3_21rocsparse_index_base_b: ; @_ZN9rocsparseL19gebsrmvn_4xn_kernelILj128ELj1ELj16EdEEvi20rocsparse_direction_NS_24const_host_device_scalarIT2_EEPKiS6_PKS3_S8_S4_PS3_21rocsparse_index_base_b
; %bb.0:
	s_clause 0x2
	s_load_b64 s[12:13], s[0:1], 0x40
	s_load_b64 s[4:5], s[0:1], 0x8
	;; [unrolled: 1-line block ×3, first 2 shown]
	s_wait_kmcnt 0x0
	s_bitcmp1_b32 s13, 0
	v_dual_mov_b32 v1, s4 :: v_dual_mov_b32 v2, s5
	s_cselect_b32 s6, -1, 0
	s_delay_alu instid0(SALU_CYCLE_1)
	s_and_b32 vcc_lo, exec_lo, s6
	s_xor_b32 s6, s6, -1
	s_cbranch_vccnz .LBB39_2
; %bb.1:
	v_dual_mov_b32 v1, s4 :: v_dual_mov_b32 v2, s5
	flat_load_b64 v[1:2], v[1:2]
.LBB39_2:
	v_dual_mov_b32 v4, s3 :: v_dual_mov_b32 v3, s2
	s_and_not1_b32 vcc_lo, exec_lo, s6
	s_cbranch_vccnz .LBB39_4
; %bb.3:
	v_dual_mov_b32 v4, s3 :: v_dual_mov_b32 v3, s2
	flat_load_b64 v[3:4], v[3:4]
.LBB39_4:
	s_wait_loadcnt_dscnt 0x0
	v_cmp_neq_f64_e32 vcc_lo, 0, v[1:2]
	v_cmp_neq_f64_e64 s2, 1.0, v[3:4]
	s_or_b32 s2, vcc_lo, s2
	s_wait_alu 0xfffe
	s_and_saveexec_b32 s3, s2
	s_cbranch_execz .LBB39_23
; %bb.5:
	s_load_b64 s[2:3], s[0:1], 0x0
	v_lshrrev_b32_e32 v5, 4, v0
	s_delay_alu instid0(VALU_DEP_1) | instskip(SKIP_1) | instid1(VALU_DEP_1)
	v_lshl_or_b32 v5, ttmp9, 3, v5
	s_wait_kmcnt 0x0
	v_cmp_gt_i32_e32 vcc_lo, s2, v5
	s_and_b32 exec_lo, exec_lo, vcc_lo
	s_cbranch_execz .LBB39_23
; %bb.6:
	s_load_b256 s[4:11], s[0:1], 0x10
	v_ashrrev_i32_e32 v6, 31, v5
	v_and_b32_e32 v0, 15, v0
	s_cmp_lg_u32 s3, 0
	s_delay_alu instid0(VALU_DEP_2) | instskip(SKIP_1) | instid1(VALU_DEP_1)
	v_lshlrev_b64_e32 v[6:7], 2, v[5:6]
	s_wait_kmcnt 0x0
	v_add_co_u32 v6, vcc_lo, s4, v6
	s_delay_alu instid0(VALU_DEP_1) | instskip(SKIP_4) | instid1(VALU_DEP_2)
	v_add_co_ci_u32_e64 v7, null, s5, v7, vcc_lo
	global_load_b64 v[6:7], v[6:7], off
	s_wait_loadcnt 0x0
	v_subrev_nc_u32_e32 v6, s12, v6
	v_subrev_nc_u32_e32 v19, s12, v7
	v_add_nc_u32_e32 v14, v6, v0
	s_delay_alu instid0(VALU_DEP_1)
	v_cmp_lt_i32_e64 s2, v14, v19
	s_cbranch_scc0 .LBB39_12
; %bb.7:
	v_mov_b32_e32 v6, 0
	v_dual_mov_b32 v10, 0 :: v_dual_mov_b32 v7, 0
	v_dual_mov_b32 v8, 0 :: v_dual_mov_b32 v11, 0
	;; [unrolled: 1-line block ×3, first 2 shown]
	v_mov_b32_e32 v13, 0
	s_and_saveexec_b32 s3, s2
	s_cbranch_execz .LBB39_11
; %bb.8:
	v_dual_mov_b32 v8, 0 :: v_dual_lshlrev_b32 v15, 2, v14
	v_dual_mov_b32 v6, 0 :: v_dual_mov_b32 v9, 0
	v_mov_b32_e32 v10, 0
	v_dual_mov_b32 v12, 0 :: v_dual_mov_b32 v17, v14
	v_dual_mov_b32 v7, 0 :: v_dual_mov_b32 v16, 0
	v_mov_b32_e32 v11, 0
	v_mov_b32_e32 v13, 0
	s_mov_b32 s4, 0
.LBB39_9:                               ; =>This Inner Loop Header: Depth=1
	v_ashrrev_i32_e32 v18, 31, v17
	v_mov_b32_e32 v25, v16
	s_delay_alu instid0(VALU_DEP_2) | instskip(SKIP_1) | instid1(VALU_DEP_2)
	v_lshlrev_b64_e32 v[20:21], 2, v[17:18]
	v_add_nc_u32_e32 v17, 16, v17
	v_add_co_u32 v20, vcc_lo, s6, v20
	s_wait_alu 0xfffd
	s_delay_alu instid0(VALU_DEP_3) | instskip(SKIP_3) | instid1(VALU_DEP_2)
	v_add_co_ci_u32_e64 v21, null, s7, v21, vcc_lo
	global_load_b32 v18, v[20:21], off
	v_lshlrev_b64_e32 v[20:21], 3, v[15:16]
	v_add_nc_u32_e32 v15, 64, v15
	v_add_co_u32 v26, vcc_lo, s8, v20
	s_wait_alu 0xfffd
	s_delay_alu instid0(VALU_DEP_3) | instskip(SKIP_3) | instid1(VALU_DEP_1)
	v_add_co_ci_u32_e64 v27, null, s9, v21, vcc_lo
	global_load_b128 v[20:23], v[26:27], off offset:16
	s_wait_loadcnt 0x1
	v_subrev_nc_u32_e32 v24, s12, v18
	v_lshlrev_b64_e32 v[24:25], 3, v[24:25]
	s_delay_alu instid0(VALU_DEP_1) | instskip(SKIP_1) | instid1(VALU_DEP_2)
	v_add_co_u32 v28, vcc_lo, s10, v24
	s_wait_alu 0xfffd
	v_add_co_ci_u32_e64 v29, null, s11, v25, vcc_lo
	v_cmp_ge_i32_e32 vcc_lo, v17, v19
	global_load_b128 v[24:27], v[26:27], off
	global_load_b64 v[28:29], v[28:29], off
	s_wait_alu 0xfffe
	s_or_b32 s4, vcc_lo, s4
	s_wait_loadcnt 0x0
	v_fma_f64 v[6:7], v[24:25], v[28:29], v[6:7]
	v_fma_f64 v[12:13], v[26:27], v[28:29], v[12:13]
	;; [unrolled: 1-line block ×4, first 2 shown]
	s_wait_alu 0xfffe
	s_and_not1_b32 exec_lo, exec_lo, s4
	s_cbranch_execnz .LBB39_9
; %bb.10:
	s_or_b32 exec_lo, exec_lo, s4
.LBB39_11:
	s_wait_alu 0xfffe
	s_or_b32 exec_lo, exec_lo, s3
	s_cbranch_execz .LBB39_13
	s_branch .LBB39_18
.LBB39_12:
                                        ; implicit-def: $vgpr6_vgpr7
                                        ; implicit-def: $vgpr8_vgpr9
                                        ; implicit-def: $vgpr10_vgpr11
                                        ; implicit-def: $vgpr12_vgpr13
.LBB39_13:
	v_mov_b32_e32 v6, 0
	v_dual_mov_b32 v10, 0 :: v_dual_mov_b32 v7, 0
	v_dual_mov_b32 v8, 0 :: v_dual_mov_b32 v11, 0
	;; [unrolled: 1-line block ×3, first 2 shown]
	v_mov_b32_e32 v13, 0
	s_and_saveexec_b32 s3, s2
	s_cbranch_execz .LBB39_17
; %bb.14:
	v_mov_b32_e32 v6, 0
	v_mov_b32_e32 v8, 0
	;; [unrolled: 1-line block ×3, first 2 shown]
	v_dual_mov_b32 v12, 0 :: v_dual_mov_b32 v17, 0
	v_dual_mov_b32 v7, 0 :: v_dual_lshlrev_b32 v16, 2, v14
	v_mov_b32_e32 v9, 0
	v_mov_b32_e32 v11, 0
	;; [unrolled: 1-line block ×3, first 2 shown]
	s_mov_b32 s2, 0
.LBB39_15:                              ; =>This Inner Loop Header: Depth=1
	v_ashrrev_i32_e32 v15, 31, v14
	v_mov_b32_e32 v25, v17
	s_delay_alu instid0(VALU_DEP_2) | instskip(SKIP_1) | instid1(VALU_DEP_2)
	v_lshlrev_b64_e32 v[20:21], 2, v[14:15]
	v_add_nc_u32_e32 v14, 16, v14
	v_add_co_u32 v20, vcc_lo, s6, v20
	s_wait_alu 0xfffd
	s_delay_alu instid0(VALU_DEP_3) | instskip(SKIP_3) | instid1(VALU_DEP_2)
	v_add_co_ci_u32_e64 v21, null, s7, v21, vcc_lo
	global_load_b32 v15, v[20:21], off
	v_lshlrev_b64_e32 v[20:21], 3, v[16:17]
	v_add_nc_u32_e32 v16, 64, v16
	v_add_co_u32 v26, vcc_lo, s8, v20
	s_wait_alu 0xfffd
	s_delay_alu instid0(VALU_DEP_3) | instskip(SKIP_3) | instid1(VALU_DEP_1)
	v_add_co_ci_u32_e64 v27, null, s9, v21, vcc_lo
	global_load_b128 v[20:23], v[26:27], off offset:16
	s_wait_loadcnt 0x1
	v_subrev_nc_u32_e32 v24, s12, v15
	v_lshlrev_b64_e32 v[24:25], 3, v[24:25]
	s_delay_alu instid0(VALU_DEP_1) | instskip(SKIP_1) | instid1(VALU_DEP_2)
	v_add_co_u32 v28, vcc_lo, s10, v24
	s_wait_alu 0xfffd
	v_add_co_ci_u32_e64 v29, null, s11, v25, vcc_lo
	v_cmp_ge_i32_e32 vcc_lo, v14, v19
	global_load_b128 v[24:27], v[26:27], off
	global_load_b64 v[28:29], v[28:29], off
	s_wait_alu 0xfffe
	s_or_b32 s2, vcc_lo, s2
	s_wait_loadcnt 0x0
	v_fma_f64 v[6:7], v[24:25], v[28:29], v[6:7]
	v_fma_f64 v[12:13], v[26:27], v[28:29], v[12:13]
	;; [unrolled: 1-line block ×4, first 2 shown]
	s_wait_alu 0xfffe
	s_and_not1_b32 exec_lo, exec_lo, s2
	s_cbranch_execnz .LBB39_15
; %bb.16:
	s_or_b32 exec_lo, exec_lo, s2
.LBB39_17:
	s_wait_alu 0xfffe
	s_or_b32 exec_lo, exec_lo, s3
.LBB39_18:
	v_mbcnt_lo_u32_b32 v24, -1, 0
	s_delay_alu instid0(VALU_DEP_1) | instskip(NEXT) | instid1(VALU_DEP_1)
	v_xor_b32_e32 v14, 8, v24
	v_cmp_gt_i32_e32 vcc_lo, 32, v14
	s_wait_alu 0xfffd
	v_cndmask_b32_e32 v14, v24, v14, vcc_lo
	s_delay_alu instid0(VALU_DEP_1)
	v_lshlrev_b32_e32 v21, 2, v14
	ds_bpermute_b32 v14, v21, v6
	ds_bpermute_b32 v15, v21, v7
	ds_bpermute_b32 v16, v21, v12
	ds_bpermute_b32 v17, v21, v13
	ds_bpermute_b32 v18, v21, v10
	ds_bpermute_b32 v19, v21, v11
	ds_bpermute_b32 v20, v21, v8
	ds_bpermute_b32 v21, v21, v9
	s_wait_dscnt 0x6
	v_add_f64_e32 v[6:7], v[6:7], v[14:15]
	v_xor_b32_e32 v14, 4, v24
	s_wait_dscnt 0x4
	v_add_f64_e32 v[12:13], v[12:13], v[16:17]
	s_wait_dscnt 0x2
	v_add_f64_e32 v[10:11], v[10:11], v[18:19]
	;; [unrolled: 2-line block ×3, first 2 shown]
	v_cmp_gt_i32_e32 vcc_lo, 32, v14
	s_wait_alu 0xfffd
	v_cndmask_b32_e32 v14, v24, v14, vcc_lo
	s_delay_alu instid0(VALU_DEP_1)
	v_lshlrev_b32_e32 v21, 2, v14
	ds_bpermute_b32 v14, v21, v6
	ds_bpermute_b32 v15, v21, v7
	;; [unrolled: 1-line block ×8, first 2 shown]
	s_wait_dscnt 0x6
	v_add_f64_e32 v[6:7], v[6:7], v[14:15]
	s_wait_dscnt 0x4
	v_add_f64_e32 v[14:15], v[12:13], v[16:17]
	;; [unrolled: 2-line block ×3, first 2 shown]
	v_xor_b32_e32 v10, 2, v24
	s_wait_dscnt 0x0
	v_add_f64_e32 v[8:9], v[8:9], v[20:21]
	s_delay_alu instid0(VALU_DEP_2) | instskip(SKIP_2) | instid1(VALU_DEP_1)
	v_cmp_gt_i32_e32 vcc_lo, 32, v10
	s_wait_alu 0xfffd
	v_cndmask_b32_e32 v10, v24, v10, vcc_lo
	v_lshlrev_b32_e32 v12, 2, v10
	ds_bpermute_b32 v10, v12, v6
	ds_bpermute_b32 v11, v12, v7
	;; [unrolled: 1-line block ×8, first 2 shown]
	s_wait_dscnt 0x6
	v_add_f64_e32 v[12:13], v[6:7], v[10:11]
	s_wait_dscnt 0x4
	v_add_f64_e32 v[10:11], v[14:15], v[18:19]
	v_xor_b32_e32 v14, 1, v24
	s_wait_dscnt 0x2
	v_add_f64_e32 v[6:7], v[16:17], v[20:21]
	s_wait_dscnt 0x0
	v_add_f64_e32 v[8:9], v[8:9], v[22:23]
	v_cmp_gt_i32_e32 vcc_lo, 32, v14
	s_wait_alu 0xfffd
	v_cndmask_b32_e32 v14, v24, v14, vcc_lo
	v_cmp_eq_u32_e32 vcc_lo, 15, v0
	s_delay_alu instid0(VALU_DEP_2)
	v_lshlrev_b32_e32 v15, 2, v14
	ds_bpermute_b32 v20, v15, v12
	ds_bpermute_b32 v21, v15, v13
	;; [unrolled: 1-line block ×8, first 2 shown]
	s_and_b32 exec_lo, exec_lo, vcc_lo
	s_cbranch_execz .LBB39_23
; %bb.19:
	s_wait_dscnt 0x6
	v_add_f64_e32 v[12:13], v[12:13], v[20:21]
	s_wait_dscnt 0x4
	v_add_f64_e32 v[10:11], v[10:11], v[18:19]
	;; [unrolled: 2-line block ×4, first 2 shown]
	s_load_b64 s[0:1], s[0:1], 0x38
	s_mov_b32 s2, exec_lo
	v_cmpx_eq_f64_e32 0, v[3:4]
	s_wait_alu 0xfffe
	s_xor_b32 s2, exec_lo, s2
	s_cbranch_execz .LBB39_21
; %bb.20:
	v_mul_f64_e32 v[12:13], v[1:2], v[12:13]
	v_mul_f64_e32 v[14:15], v[1:2], v[10:11]
	;; [unrolled: 1-line block ×4, first 2 shown]
	v_lshlrev_b32_e32 v0, 2, v5
                                        ; implicit-def: $vgpr5
                                        ; implicit-def: $vgpr3_vgpr4
                                        ; implicit-def: $vgpr10_vgpr11
	s_delay_alu instid0(VALU_DEP_1) | instskip(NEXT) | instid1(VALU_DEP_1)
	v_ashrrev_i32_e32 v1, 31, v0
	v_lshlrev_b64_e32 v[0:1], 3, v[0:1]
	s_wait_kmcnt 0x0
	s_delay_alu instid0(VALU_DEP_1) | instskip(SKIP_1) | instid1(VALU_DEP_2)
	v_add_co_u32 v0, vcc_lo, s0, v0
	s_wait_alu 0xfffd
	v_add_co_ci_u32_e64 v1, null, s1, v1, vcc_lo
	s_clause 0x1
	global_store_b128 v[0:1], v[12:15], off
	global_store_b128 v[0:1], v[6:9], off offset:16
                                        ; implicit-def: $vgpr1_vgpr2
                                        ; implicit-def: $vgpr12_vgpr13
                                        ; implicit-def: $vgpr6_vgpr7
                                        ; implicit-def: $vgpr8_vgpr9
.LBB39_21:
	s_wait_alu 0xfffe
	s_and_not1_saveexec_b32 s2, s2
	s_cbranch_execz .LBB39_23
; %bb.22:
	v_lshlrev_b32_e32 v14, 2, v5
	v_mul_f64_e32 v[12:13], v[1:2], v[12:13]
	v_mul_f64_e32 v[10:11], v[1:2], v[10:11]
	;; [unrolled: 1-line block ×4, first 2 shown]
	v_ashrrev_i32_e32 v15, 31, v14
	s_delay_alu instid0(VALU_DEP_1) | instskip(SKIP_1) | instid1(VALU_DEP_1)
	v_lshlrev_b64_e32 v[14:15], 3, v[14:15]
	s_wait_kmcnt 0x0
	v_add_co_u32 v22, vcc_lo, s0, v14
	s_wait_alu 0xfffd
	s_delay_alu instid0(VALU_DEP_2)
	v_add_co_ci_u32_e64 v23, null, s1, v15, vcc_lo
	s_clause 0x1
	global_load_b128 v[14:17], v[22:23], off
	global_load_b128 v[18:21], v[22:23], off offset:16
	s_wait_loadcnt 0x1
	v_fma_f64 v[5:6], v[3:4], v[14:15], v[12:13]
	v_fma_f64 v[7:8], v[3:4], v[16:17], v[10:11]
	s_wait_loadcnt 0x0
	v_fma_f64 v[0:1], v[3:4], v[18:19], v[24:25]
	v_fma_f64 v[2:3], v[3:4], v[20:21], v[26:27]
	s_clause 0x1
	global_store_b128 v[22:23], v[5:8], off
	global_store_b128 v[22:23], v[0:3], off offset:16
.LBB39_23:
	s_endpgm
	.section	.rodata,"a",@progbits
	.p2align	6, 0x0
	.amdhsa_kernel _ZN9rocsparseL19gebsrmvn_4xn_kernelILj128ELj1ELj16EdEEvi20rocsparse_direction_NS_24const_host_device_scalarIT2_EEPKiS6_PKS3_S8_S4_PS3_21rocsparse_index_base_b
		.amdhsa_group_segment_fixed_size 0
		.amdhsa_private_segment_fixed_size 0
		.amdhsa_kernarg_size 72
		.amdhsa_user_sgpr_count 2
		.amdhsa_user_sgpr_dispatch_ptr 0
		.amdhsa_user_sgpr_queue_ptr 0
		.amdhsa_user_sgpr_kernarg_segment_ptr 1
		.amdhsa_user_sgpr_dispatch_id 0
		.amdhsa_user_sgpr_private_segment_size 0
		.amdhsa_wavefront_size32 1
		.amdhsa_uses_dynamic_stack 0
		.amdhsa_enable_private_segment 0
		.amdhsa_system_sgpr_workgroup_id_x 1
		.amdhsa_system_sgpr_workgroup_id_y 0
		.amdhsa_system_sgpr_workgroup_id_z 0
		.amdhsa_system_sgpr_workgroup_info 0
		.amdhsa_system_vgpr_workitem_id 0
		.amdhsa_next_free_vgpr 30
		.amdhsa_next_free_sgpr 14
		.amdhsa_reserve_vcc 1
		.amdhsa_float_round_mode_32 0
		.amdhsa_float_round_mode_16_64 0
		.amdhsa_float_denorm_mode_32 3
		.amdhsa_float_denorm_mode_16_64 3
		.amdhsa_fp16_overflow 0
		.amdhsa_workgroup_processor_mode 1
		.amdhsa_memory_ordered 1
		.amdhsa_forward_progress 1
		.amdhsa_inst_pref_size 14
		.amdhsa_round_robin_scheduling 0
		.amdhsa_exception_fp_ieee_invalid_op 0
		.amdhsa_exception_fp_denorm_src 0
		.amdhsa_exception_fp_ieee_div_zero 0
		.amdhsa_exception_fp_ieee_overflow 0
		.amdhsa_exception_fp_ieee_underflow 0
		.amdhsa_exception_fp_ieee_inexact 0
		.amdhsa_exception_int_div_zero 0
	.end_amdhsa_kernel
	.section	.text._ZN9rocsparseL19gebsrmvn_4xn_kernelILj128ELj1ELj16EdEEvi20rocsparse_direction_NS_24const_host_device_scalarIT2_EEPKiS6_PKS3_S8_S4_PS3_21rocsparse_index_base_b,"axG",@progbits,_ZN9rocsparseL19gebsrmvn_4xn_kernelILj128ELj1ELj16EdEEvi20rocsparse_direction_NS_24const_host_device_scalarIT2_EEPKiS6_PKS3_S8_S4_PS3_21rocsparse_index_base_b,comdat
.Lfunc_end39:
	.size	_ZN9rocsparseL19gebsrmvn_4xn_kernelILj128ELj1ELj16EdEEvi20rocsparse_direction_NS_24const_host_device_scalarIT2_EEPKiS6_PKS3_S8_S4_PS3_21rocsparse_index_base_b, .Lfunc_end39-_ZN9rocsparseL19gebsrmvn_4xn_kernelILj128ELj1ELj16EdEEvi20rocsparse_direction_NS_24const_host_device_scalarIT2_EEPKiS6_PKS3_S8_S4_PS3_21rocsparse_index_base_b
                                        ; -- End function
	.set _ZN9rocsparseL19gebsrmvn_4xn_kernelILj128ELj1ELj16EdEEvi20rocsparse_direction_NS_24const_host_device_scalarIT2_EEPKiS6_PKS3_S8_S4_PS3_21rocsparse_index_base_b.num_vgpr, 30
	.set _ZN9rocsparseL19gebsrmvn_4xn_kernelILj128ELj1ELj16EdEEvi20rocsparse_direction_NS_24const_host_device_scalarIT2_EEPKiS6_PKS3_S8_S4_PS3_21rocsparse_index_base_b.num_agpr, 0
	.set _ZN9rocsparseL19gebsrmvn_4xn_kernelILj128ELj1ELj16EdEEvi20rocsparse_direction_NS_24const_host_device_scalarIT2_EEPKiS6_PKS3_S8_S4_PS3_21rocsparse_index_base_b.numbered_sgpr, 14
	.set _ZN9rocsparseL19gebsrmvn_4xn_kernelILj128ELj1ELj16EdEEvi20rocsparse_direction_NS_24const_host_device_scalarIT2_EEPKiS6_PKS3_S8_S4_PS3_21rocsparse_index_base_b.num_named_barrier, 0
	.set _ZN9rocsparseL19gebsrmvn_4xn_kernelILj128ELj1ELj16EdEEvi20rocsparse_direction_NS_24const_host_device_scalarIT2_EEPKiS6_PKS3_S8_S4_PS3_21rocsparse_index_base_b.private_seg_size, 0
	.set _ZN9rocsparseL19gebsrmvn_4xn_kernelILj128ELj1ELj16EdEEvi20rocsparse_direction_NS_24const_host_device_scalarIT2_EEPKiS6_PKS3_S8_S4_PS3_21rocsparse_index_base_b.uses_vcc, 1
	.set _ZN9rocsparseL19gebsrmvn_4xn_kernelILj128ELj1ELj16EdEEvi20rocsparse_direction_NS_24const_host_device_scalarIT2_EEPKiS6_PKS3_S8_S4_PS3_21rocsparse_index_base_b.uses_flat_scratch, 0
	.set _ZN9rocsparseL19gebsrmvn_4xn_kernelILj128ELj1ELj16EdEEvi20rocsparse_direction_NS_24const_host_device_scalarIT2_EEPKiS6_PKS3_S8_S4_PS3_21rocsparse_index_base_b.has_dyn_sized_stack, 0
	.set _ZN9rocsparseL19gebsrmvn_4xn_kernelILj128ELj1ELj16EdEEvi20rocsparse_direction_NS_24const_host_device_scalarIT2_EEPKiS6_PKS3_S8_S4_PS3_21rocsparse_index_base_b.has_recursion, 0
	.set _ZN9rocsparseL19gebsrmvn_4xn_kernelILj128ELj1ELj16EdEEvi20rocsparse_direction_NS_24const_host_device_scalarIT2_EEPKiS6_PKS3_S8_S4_PS3_21rocsparse_index_base_b.has_indirect_call, 0
	.section	.AMDGPU.csdata,"",@progbits
; Kernel info:
; codeLenInByte = 1724
; TotalNumSgprs: 16
; NumVgprs: 30
; ScratchSize: 0
; MemoryBound: 0
; FloatMode: 240
; IeeeMode: 1
; LDSByteSize: 0 bytes/workgroup (compile time only)
; SGPRBlocks: 0
; VGPRBlocks: 3
; NumSGPRsForWavesPerEU: 16
; NumVGPRsForWavesPerEU: 30
; Occupancy: 16
; WaveLimiterHint : 1
; COMPUTE_PGM_RSRC2:SCRATCH_EN: 0
; COMPUTE_PGM_RSRC2:USER_SGPR: 2
; COMPUTE_PGM_RSRC2:TRAP_HANDLER: 0
; COMPUTE_PGM_RSRC2:TGID_X_EN: 1
; COMPUTE_PGM_RSRC2:TGID_Y_EN: 0
; COMPUTE_PGM_RSRC2:TGID_Z_EN: 0
; COMPUTE_PGM_RSRC2:TIDIG_COMP_CNT: 0
	.section	.text._ZN9rocsparseL19gebsrmvn_4xn_kernelILj128ELj1ELj32EdEEvi20rocsparse_direction_NS_24const_host_device_scalarIT2_EEPKiS6_PKS3_S8_S4_PS3_21rocsparse_index_base_b,"axG",@progbits,_ZN9rocsparseL19gebsrmvn_4xn_kernelILj128ELj1ELj32EdEEvi20rocsparse_direction_NS_24const_host_device_scalarIT2_EEPKiS6_PKS3_S8_S4_PS3_21rocsparse_index_base_b,comdat
	.globl	_ZN9rocsparseL19gebsrmvn_4xn_kernelILj128ELj1ELj32EdEEvi20rocsparse_direction_NS_24const_host_device_scalarIT2_EEPKiS6_PKS3_S8_S4_PS3_21rocsparse_index_base_b ; -- Begin function _ZN9rocsparseL19gebsrmvn_4xn_kernelILj128ELj1ELj32EdEEvi20rocsparse_direction_NS_24const_host_device_scalarIT2_EEPKiS6_PKS3_S8_S4_PS3_21rocsparse_index_base_b
	.p2align	8
	.type	_ZN9rocsparseL19gebsrmvn_4xn_kernelILj128ELj1ELj32EdEEvi20rocsparse_direction_NS_24const_host_device_scalarIT2_EEPKiS6_PKS3_S8_S4_PS3_21rocsparse_index_base_b,@function
_ZN9rocsparseL19gebsrmvn_4xn_kernelILj128ELj1ELj32EdEEvi20rocsparse_direction_NS_24const_host_device_scalarIT2_EEPKiS6_PKS3_S8_S4_PS3_21rocsparse_index_base_b: ; @_ZN9rocsparseL19gebsrmvn_4xn_kernelILj128ELj1ELj32EdEEvi20rocsparse_direction_NS_24const_host_device_scalarIT2_EEPKiS6_PKS3_S8_S4_PS3_21rocsparse_index_base_b
; %bb.0:
	s_clause 0x2
	s_load_b64 s[12:13], s[0:1], 0x40
	s_load_b64 s[4:5], s[0:1], 0x8
	;; [unrolled: 1-line block ×3, first 2 shown]
	s_wait_kmcnt 0x0
	s_bitcmp1_b32 s13, 0
	v_dual_mov_b32 v1, s4 :: v_dual_mov_b32 v2, s5
	s_cselect_b32 s6, -1, 0
	s_delay_alu instid0(SALU_CYCLE_1)
	s_and_b32 vcc_lo, exec_lo, s6
	s_xor_b32 s6, s6, -1
	s_cbranch_vccnz .LBB40_2
; %bb.1:
	v_dual_mov_b32 v1, s4 :: v_dual_mov_b32 v2, s5
	flat_load_b64 v[1:2], v[1:2]
.LBB40_2:
	v_dual_mov_b32 v4, s3 :: v_dual_mov_b32 v3, s2
	s_and_not1_b32 vcc_lo, exec_lo, s6
	s_cbranch_vccnz .LBB40_4
; %bb.3:
	v_dual_mov_b32 v4, s3 :: v_dual_mov_b32 v3, s2
	flat_load_b64 v[3:4], v[3:4]
.LBB40_4:
	s_wait_loadcnt_dscnt 0x0
	v_cmp_neq_f64_e32 vcc_lo, 0, v[1:2]
	v_cmp_neq_f64_e64 s2, 1.0, v[3:4]
	s_or_b32 s2, vcc_lo, s2
	s_wait_alu 0xfffe
	s_and_saveexec_b32 s3, s2
	s_cbranch_execz .LBB40_23
; %bb.5:
	s_load_b64 s[2:3], s[0:1], 0x0
	v_lshrrev_b32_e32 v5, 5, v0
	s_delay_alu instid0(VALU_DEP_1) | instskip(SKIP_1) | instid1(VALU_DEP_1)
	v_lshl_or_b32 v5, ttmp9, 2, v5
	s_wait_kmcnt 0x0
	v_cmp_gt_i32_e32 vcc_lo, s2, v5
	s_and_b32 exec_lo, exec_lo, vcc_lo
	s_cbranch_execz .LBB40_23
; %bb.6:
	s_load_b256 s[4:11], s[0:1], 0x10
	v_ashrrev_i32_e32 v6, 31, v5
	v_and_b32_e32 v0, 31, v0
	s_cmp_lg_u32 s3, 0
	s_delay_alu instid0(VALU_DEP_2) | instskip(SKIP_1) | instid1(VALU_DEP_1)
	v_lshlrev_b64_e32 v[6:7], 2, v[5:6]
	s_wait_kmcnt 0x0
	v_add_co_u32 v6, vcc_lo, s4, v6
	s_delay_alu instid0(VALU_DEP_1) | instskip(SKIP_4) | instid1(VALU_DEP_2)
	v_add_co_ci_u32_e64 v7, null, s5, v7, vcc_lo
	global_load_b64 v[6:7], v[6:7], off
	s_wait_loadcnt 0x0
	v_subrev_nc_u32_e32 v6, s12, v6
	v_subrev_nc_u32_e32 v19, s12, v7
	v_add_nc_u32_e32 v14, v6, v0
	s_delay_alu instid0(VALU_DEP_1)
	v_cmp_lt_i32_e64 s2, v14, v19
	s_cbranch_scc0 .LBB40_12
; %bb.7:
	v_mov_b32_e32 v6, 0
	v_dual_mov_b32 v10, 0 :: v_dual_mov_b32 v7, 0
	v_dual_mov_b32 v8, 0 :: v_dual_mov_b32 v11, 0
	;; [unrolled: 1-line block ×3, first 2 shown]
	v_mov_b32_e32 v13, 0
	s_and_saveexec_b32 s3, s2
	s_cbranch_execz .LBB40_11
; %bb.8:
	v_dual_mov_b32 v8, 0 :: v_dual_lshlrev_b32 v15, 2, v14
	v_dual_mov_b32 v6, 0 :: v_dual_mov_b32 v9, 0
	v_mov_b32_e32 v10, 0
	v_dual_mov_b32 v12, 0 :: v_dual_mov_b32 v17, v14
	v_dual_mov_b32 v7, 0 :: v_dual_mov_b32 v16, 0
	v_mov_b32_e32 v11, 0
	v_mov_b32_e32 v13, 0
	s_mov_b32 s4, 0
.LBB40_9:                               ; =>This Inner Loop Header: Depth=1
	v_ashrrev_i32_e32 v18, 31, v17
	v_mov_b32_e32 v25, v16
	s_delay_alu instid0(VALU_DEP_2) | instskip(SKIP_1) | instid1(VALU_DEP_2)
	v_lshlrev_b64_e32 v[20:21], 2, v[17:18]
	v_add_nc_u32_e32 v17, 32, v17
	v_add_co_u32 v20, vcc_lo, s6, v20
	s_wait_alu 0xfffd
	s_delay_alu instid0(VALU_DEP_3) | instskip(SKIP_3) | instid1(VALU_DEP_2)
	v_add_co_ci_u32_e64 v21, null, s7, v21, vcc_lo
	global_load_b32 v18, v[20:21], off
	v_lshlrev_b64_e32 v[20:21], 3, v[15:16]
	v_add_nc_u32_e32 v15, 0x80, v15
	v_add_co_u32 v26, vcc_lo, s8, v20
	s_wait_alu 0xfffd
	s_delay_alu instid0(VALU_DEP_3) | instskip(SKIP_3) | instid1(VALU_DEP_1)
	v_add_co_ci_u32_e64 v27, null, s9, v21, vcc_lo
	global_load_b128 v[20:23], v[26:27], off offset:16
	s_wait_loadcnt 0x1
	v_subrev_nc_u32_e32 v24, s12, v18
	v_lshlrev_b64_e32 v[24:25], 3, v[24:25]
	s_delay_alu instid0(VALU_DEP_1) | instskip(SKIP_1) | instid1(VALU_DEP_2)
	v_add_co_u32 v28, vcc_lo, s10, v24
	s_wait_alu 0xfffd
	v_add_co_ci_u32_e64 v29, null, s11, v25, vcc_lo
	v_cmp_ge_i32_e32 vcc_lo, v17, v19
	global_load_b128 v[24:27], v[26:27], off
	global_load_b64 v[28:29], v[28:29], off
	s_wait_alu 0xfffe
	s_or_b32 s4, vcc_lo, s4
	s_wait_loadcnt 0x0
	v_fma_f64 v[6:7], v[24:25], v[28:29], v[6:7]
	v_fma_f64 v[12:13], v[26:27], v[28:29], v[12:13]
	;; [unrolled: 1-line block ×4, first 2 shown]
	s_wait_alu 0xfffe
	s_and_not1_b32 exec_lo, exec_lo, s4
	s_cbranch_execnz .LBB40_9
; %bb.10:
	s_or_b32 exec_lo, exec_lo, s4
.LBB40_11:
	s_wait_alu 0xfffe
	s_or_b32 exec_lo, exec_lo, s3
	s_cbranch_execz .LBB40_13
	s_branch .LBB40_18
.LBB40_12:
                                        ; implicit-def: $vgpr6_vgpr7
                                        ; implicit-def: $vgpr8_vgpr9
                                        ; implicit-def: $vgpr10_vgpr11
                                        ; implicit-def: $vgpr12_vgpr13
.LBB40_13:
	v_mov_b32_e32 v6, 0
	v_dual_mov_b32 v10, 0 :: v_dual_mov_b32 v7, 0
	v_dual_mov_b32 v8, 0 :: v_dual_mov_b32 v11, 0
	;; [unrolled: 1-line block ×3, first 2 shown]
	v_mov_b32_e32 v13, 0
	s_and_saveexec_b32 s3, s2
	s_cbranch_execz .LBB40_17
; %bb.14:
	v_mov_b32_e32 v6, 0
	v_mov_b32_e32 v8, 0
	;; [unrolled: 1-line block ×3, first 2 shown]
	v_dual_mov_b32 v12, 0 :: v_dual_mov_b32 v17, 0
	v_dual_mov_b32 v7, 0 :: v_dual_lshlrev_b32 v16, 2, v14
	v_mov_b32_e32 v9, 0
	v_mov_b32_e32 v11, 0
	;; [unrolled: 1-line block ×3, first 2 shown]
	s_mov_b32 s2, 0
.LBB40_15:                              ; =>This Inner Loop Header: Depth=1
	v_ashrrev_i32_e32 v15, 31, v14
	v_mov_b32_e32 v25, v17
	s_delay_alu instid0(VALU_DEP_2) | instskip(SKIP_1) | instid1(VALU_DEP_2)
	v_lshlrev_b64_e32 v[20:21], 2, v[14:15]
	v_add_nc_u32_e32 v14, 32, v14
	v_add_co_u32 v20, vcc_lo, s6, v20
	s_wait_alu 0xfffd
	s_delay_alu instid0(VALU_DEP_3) | instskip(SKIP_3) | instid1(VALU_DEP_2)
	v_add_co_ci_u32_e64 v21, null, s7, v21, vcc_lo
	global_load_b32 v15, v[20:21], off
	v_lshlrev_b64_e32 v[20:21], 3, v[16:17]
	v_add_nc_u32_e32 v16, 0x80, v16
	v_add_co_u32 v26, vcc_lo, s8, v20
	s_wait_alu 0xfffd
	s_delay_alu instid0(VALU_DEP_3) | instskip(SKIP_3) | instid1(VALU_DEP_1)
	v_add_co_ci_u32_e64 v27, null, s9, v21, vcc_lo
	global_load_b128 v[20:23], v[26:27], off offset:16
	s_wait_loadcnt 0x1
	v_subrev_nc_u32_e32 v24, s12, v15
	v_lshlrev_b64_e32 v[24:25], 3, v[24:25]
	s_delay_alu instid0(VALU_DEP_1) | instskip(SKIP_1) | instid1(VALU_DEP_2)
	v_add_co_u32 v28, vcc_lo, s10, v24
	s_wait_alu 0xfffd
	v_add_co_ci_u32_e64 v29, null, s11, v25, vcc_lo
	v_cmp_ge_i32_e32 vcc_lo, v14, v19
	global_load_b128 v[24:27], v[26:27], off
	global_load_b64 v[28:29], v[28:29], off
	s_wait_alu 0xfffe
	s_or_b32 s2, vcc_lo, s2
	s_wait_loadcnt 0x0
	v_fma_f64 v[6:7], v[24:25], v[28:29], v[6:7]
	v_fma_f64 v[12:13], v[26:27], v[28:29], v[12:13]
	;; [unrolled: 1-line block ×4, first 2 shown]
	s_wait_alu 0xfffe
	s_and_not1_b32 exec_lo, exec_lo, s2
	s_cbranch_execnz .LBB40_15
; %bb.16:
	s_or_b32 exec_lo, exec_lo, s2
.LBB40_17:
	s_wait_alu 0xfffe
	s_or_b32 exec_lo, exec_lo, s3
.LBB40_18:
	v_mbcnt_lo_u32_b32 v24, -1, 0
	s_delay_alu instid0(VALU_DEP_1) | instskip(NEXT) | instid1(VALU_DEP_1)
	v_xor_b32_e32 v14, 16, v24
	v_cmp_gt_i32_e32 vcc_lo, 32, v14
	s_wait_alu 0xfffd
	v_cndmask_b32_e32 v14, v24, v14, vcc_lo
	s_delay_alu instid0(VALU_DEP_1)
	v_lshlrev_b32_e32 v21, 2, v14
	ds_bpermute_b32 v14, v21, v6
	ds_bpermute_b32 v15, v21, v7
	;; [unrolled: 1-line block ×8, first 2 shown]
	s_wait_dscnt 0x6
	v_add_f64_e32 v[6:7], v[6:7], v[14:15]
	v_xor_b32_e32 v14, 8, v24
	s_wait_dscnt 0x4
	v_add_f64_e32 v[12:13], v[12:13], v[16:17]
	s_wait_dscnt 0x2
	v_add_f64_e32 v[10:11], v[10:11], v[18:19]
	;; [unrolled: 2-line block ×3, first 2 shown]
	v_cmp_gt_i32_e32 vcc_lo, 32, v14
	s_wait_alu 0xfffd
	v_cndmask_b32_e32 v14, v24, v14, vcc_lo
	s_delay_alu instid0(VALU_DEP_1)
	v_lshlrev_b32_e32 v21, 2, v14
	ds_bpermute_b32 v14, v21, v6
	ds_bpermute_b32 v15, v21, v7
	;; [unrolled: 1-line block ×8, first 2 shown]
	s_wait_dscnt 0x6
	v_add_f64_e32 v[6:7], v[6:7], v[14:15]
	v_xor_b32_e32 v14, 4, v24
	s_wait_dscnt 0x4
	v_add_f64_e32 v[12:13], v[12:13], v[16:17]
	s_wait_dscnt 0x2
	v_add_f64_e32 v[10:11], v[10:11], v[18:19]
	;; [unrolled: 2-line block ×3, first 2 shown]
	v_cmp_gt_i32_e32 vcc_lo, 32, v14
	s_wait_alu 0xfffd
	v_cndmask_b32_e32 v14, v24, v14, vcc_lo
	s_delay_alu instid0(VALU_DEP_1)
	v_lshlrev_b32_e32 v21, 2, v14
	ds_bpermute_b32 v14, v21, v6
	ds_bpermute_b32 v15, v21, v7
	;; [unrolled: 1-line block ×8, first 2 shown]
	s_wait_dscnt 0x6
	v_add_f64_e32 v[6:7], v[6:7], v[14:15]
	s_wait_dscnt 0x4
	v_add_f64_e32 v[14:15], v[12:13], v[16:17]
	;; [unrolled: 2-line block ×3, first 2 shown]
	v_xor_b32_e32 v10, 2, v24
	s_wait_dscnt 0x0
	v_add_f64_e32 v[8:9], v[8:9], v[20:21]
	s_delay_alu instid0(VALU_DEP_2) | instskip(SKIP_2) | instid1(VALU_DEP_1)
	v_cmp_gt_i32_e32 vcc_lo, 32, v10
	s_wait_alu 0xfffd
	v_cndmask_b32_e32 v10, v24, v10, vcc_lo
	v_lshlrev_b32_e32 v12, 2, v10
	ds_bpermute_b32 v10, v12, v6
	ds_bpermute_b32 v11, v12, v7
	ds_bpermute_b32 v18, v12, v14
	ds_bpermute_b32 v19, v12, v15
	ds_bpermute_b32 v20, v12, v16
	ds_bpermute_b32 v21, v12, v17
	ds_bpermute_b32 v22, v12, v8
	ds_bpermute_b32 v23, v12, v9
	s_wait_dscnt 0x6
	v_add_f64_e32 v[12:13], v[6:7], v[10:11]
	s_wait_dscnt 0x4
	v_add_f64_e32 v[10:11], v[14:15], v[18:19]
	v_xor_b32_e32 v14, 1, v24
	s_wait_dscnt 0x2
	v_add_f64_e32 v[6:7], v[16:17], v[20:21]
	s_wait_dscnt 0x0
	v_add_f64_e32 v[8:9], v[8:9], v[22:23]
	v_cmp_gt_i32_e32 vcc_lo, 32, v14
	s_wait_alu 0xfffd
	v_cndmask_b32_e32 v14, v24, v14, vcc_lo
	v_cmp_eq_u32_e32 vcc_lo, 31, v0
	s_delay_alu instid0(VALU_DEP_2)
	v_lshlrev_b32_e32 v15, 2, v14
	ds_bpermute_b32 v20, v15, v12
	ds_bpermute_b32 v21, v15, v13
	;; [unrolled: 1-line block ×8, first 2 shown]
	s_and_b32 exec_lo, exec_lo, vcc_lo
	s_cbranch_execz .LBB40_23
; %bb.19:
	s_wait_dscnt 0x6
	v_add_f64_e32 v[12:13], v[12:13], v[20:21]
	s_wait_dscnt 0x4
	v_add_f64_e32 v[10:11], v[10:11], v[18:19]
	;; [unrolled: 2-line block ×4, first 2 shown]
	s_load_b64 s[0:1], s[0:1], 0x38
	s_mov_b32 s2, exec_lo
	v_cmpx_eq_f64_e32 0, v[3:4]
	s_wait_alu 0xfffe
	s_xor_b32 s2, exec_lo, s2
	s_cbranch_execz .LBB40_21
; %bb.20:
	v_mul_f64_e32 v[12:13], v[1:2], v[12:13]
	v_mul_f64_e32 v[14:15], v[1:2], v[10:11]
	;; [unrolled: 1-line block ×4, first 2 shown]
	v_lshlrev_b32_e32 v0, 2, v5
                                        ; implicit-def: $vgpr5
                                        ; implicit-def: $vgpr3_vgpr4
                                        ; implicit-def: $vgpr10_vgpr11
	s_delay_alu instid0(VALU_DEP_1) | instskip(NEXT) | instid1(VALU_DEP_1)
	v_ashrrev_i32_e32 v1, 31, v0
	v_lshlrev_b64_e32 v[0:1], 3, v[0:1]
	s_wait_kmcnt 0x0
	s_delay_alu instid0(VALU_DEP_1) | instskip(SKIP_1) | instid1(VALU_DEP_2)
	v_add_co_u32 v0, vcc_lo, s0, v0
	s_wait_alu 0xfffd
	v_add_co_ci_u32_e64 v1, null, s1, v1, vcc_lo
	s_clause 0x1
	global_store_b128 v[0:1], v[12:15], off
	global_store_b128 v[0:1], v[6:9], off offset:16
                                        ; implicit-def: $vgpr1_vgpr2
                                        ; implicit-def: $vgpr12_vgpr13
                                        ; implicit-def: $vgpr6_vgpr7
                                        ; implicit-def: $vgpr8_vgpr9
.LBB40_21:
	s_wait_alu 0xfffe
	s_and_not1_saveexec_b32 s2, s2
	s_cbranch_execz .LBB40_23
; %bb.22:
	v_lshlrev_b32_e32 v14, 2, v5
	v_mul_f64_e32 v[12:13], v[1:2], v[12:13]
	v_mul_f64_e32 v[10:11], v[1:2], v[10:11]
	;; [unrolled: 1-line block ×4, first 2 shown]
	v_ashrrev_i32_e32 v15, 31, v14
	s_delay_alu instid0(VALU_DEP_1) | instskip(SKIP_1) | instid1(VALU_DEP_1)
	v_lshlrev_b64_e32 v[14:15], 3, v[14:15]
	s_wait_kmcnt 0x0
	v_add_co_u32 v22, vcc_lo, s0, v14
	s_wait_alu 0xfffd
	s_delay_alu instid0(VALU_DEP_2)
	v_add_co_ci_u32_e64 v23, null, s1, v15, vcc_lo
	s_clause 0x1
	global_load_b128 v[14:17], v[22:23], off
	global_load_b128 v[18:21], v[22:23], off offset:16
	s_wait_loadcnt 0x1
	v_fma_f64 v[5:6], v[3:4], v[14:15], v[12:13]
	v_fma_f64 v[7:8], v[3:4], v[16:17], v[10:11]
	s_wait_loadcnt 0x0
	v_fma_f64 v[0:1], v[3:4], v[18:19], v[24:25]
	v_fma_f64 v[2:3], v[3:4], v[20:21], v[26:27]
	s_clause 0x1
	global_store_b128 v[22:23], v[5:8], off
	global_store_b128 v[22:23], v[0:3], off offset:16
.LBB40_23:
	s_endpgm
	.section	.rodata,"a",@progbits
	.p2align	6, 0x0
	.amdhsa_kernel _ZN9rocsparseL19gebsrmvn_4xn_kernelILj128ELj1ELj32EdEEvi20rocsparse_direction_NS_24const_host_device_scalarIT2_EEPKiS6_PKS3_S8_S4_PS3_21rocsparse_index_base_b
		.amdhsa_group_segment_fixed_size 0
		.amdhsa_private_segment_fixed_size 0
		.amdhsa_kernarg_size 72
		.amdhsa_user_sgpr_count 2
		.amdhsa_user_sgpr_dispatch_ptr 0
		.amdhsa_user_sgpr_queue_ptr 0
		.amdhsa_user_sgpr_kernarg_segment_ptr 1
		.amdhsa_user_sgpr_dispatch_id 0
		.amdhsa_user_sgpr_private_segment_size 0
		.amdhsa_wavefront_size32 1
		.amdhsa_uses_dynamic_stack 0
		.amdhsa_enable_private_segment 0
		.amdhsa_system_sgpr_workgroup_id_x 1
		.amdhsa_system_sgpr_workgroup_id_y 0
		.amdhsa_system_sgpr_workgroup_id_z 0
		.amdhsa_system_sgpr_workgroup_info 0
		.amdhsa_system_vgpr_workitem_id 0
		.amdhsa_next_free_vgpr 30
		.amdhsa_next_free_sgpr 14
		.amdhsa_reserve_vcc 1
		.amdhsa_float_round_mode_32 0
		.amdhsa_float_round_mode_16_64 0
		.amdhsa_float_denorm_mode_32 3
		.amdhsa_float_denorm_mode_16_64 3
		.amdhsa_fp16_overflow 0
		.amdhsa_workgroup_processor_mode 1
		.amdhsa_memory_ordered 1
		.amdhsa_forward_progress 1
		.amdhsa_inst_pref_size 15
		.amdhsa_round_robin_scheduling 0
		.amdhsa_exception_fp_ieee_invalid_op 0
		.amdhsa_exception_fp_denorm_src 0
		.amdhsa_exception_fp_ieee_div_zero 0
		.amdhsa_exception_fp_ieee_overflow 0
		.amdhsa_exception_fp_ieee_underflow 0
		.amdhsa_exception_fp_ieee_inexact 0
		.amdhsa_exception_int_div_zero 0
	.end_amdhsa_kernel
	.section	.text._ZN9rocsparseL19gebsrmvn_4xn_kernelILj128ELj1ELj32EdEEvi20rocsparse_direction_NS_24const_host_device_scalarIT2_EEPKiS6_PKS3_S8_S4_PS3_21rocsparse_index_base_b,"axG",@progbits,_ZN9rocsparseL19gebsrmvn_4xn_kernelILj128ELj1ELj32EdEEvi20rocsparse_direction_NS_24const_host_device_scalarIT2_EEPKiS6_PKS3_S8_S4_PS3_21rocsparse_index_base_b,comdat
.Lfunc_end40:
	.size	_ZN9rocsparseL19gebsrmvn_4xn_kernelILj128ELj1ELj32EdEEvi20rocsparse_direction_NS_24const_host_device_scalarIT2_EEPKiS6_PKS3_S8_S4_PS3_21rocsparse_index_base_b, .Lfunc_end40-_ZN9rocsparseL19gebsrmvn_4xn_kernelILj128ELj1ELj32EdEEvi20rocsparse_direction_NS_24const_host_device_scalarIT2_EEPKiS6_PKS3_S8_S4_PS3_21rocsparse_index_base_b
                                        ; -- End function
	.set _ZN9rocsparseL19gebsrmvn_4xn_kernelILj128ELj1ELj32EdEEvi20rocsparse_direction_NS_24const_host_device_scalarIT2_EEPKiS6_PKS3_S8_S4_PS3_21rocsparse_index_base_b.num_vgpr, 30
	.set _ZN9rocsparseL19gebsrmvn_4xn_kernelILj128ELj1ELj32EdEEvi20rocsparse_direction_NS_24const_host_device_scalarIT2_EEPKiS6_PKS3_S8_S4_PS3_21rocsparse_index_base_b.num_agpr, 0
	.set _ZN9rocsparseL19gebsrmvn_4xn_kernelILj128ELj1ELj32EdEEvi20rocsparse_direction_NS_24const_host_device_scalarIT2_EEPKiS6_PKS3_S8_S4_PS3_21rocsparse_index_base_b.numbered_sgpr, 14
	.set _ZN9rocsparseL19gebsrmvn_4xn_kernelILj128ELj1ELj32EdEEvi20rocsparse_direction_NS_24const_host_device_scalarIT2_EEPKiS6_PKS3_S8_S4_PS3_21rocsparse_index_base_b.num_named_barrier, 0
	.set _ZN9rocsparseL19gebsrmvn_4xn_kernelILj128ELj1ELj32EdEEvi20rocsparse_direction_NS_24const_host_device_scalarIT2_EEPKiS6_PKS3_S8_S4_PS3_21rocsparse_index_base_b.private_seg_size, 0
	.set _ZN9rocsparseL19gebsrmvn_4xn_kernelILj128ELj1ELj32EdEEvi20rocsparse_direction_NS_24const_host_device_scalarIT2_EEPKiS6_PKS3_S8_S4_PS3_21rocsparse_index_base_b.uses_vcc, 1
	.set _ZN9rocsparseL19gebsrmvn_4xn_kernelILj128ELj1ELj32EdEEvi20rocsparse_direction_NS_24const_host_device_scalarIT2_EEPKiS6_PKS3_S8_S4_PS3_21rocsparse_index_base_b.uses_flat_scratch, 0
	.set _ZN9rocsparseL19gebsrmvn_4xn_kernelILj128ELj1ELj32EdEEvi20rocsparse_direction_NS_24const_host_device_scalarIT2_EEPKiS6_PKS3_S8_S4_PS3_21rocsparse_index_base_b.has_dyn_sized_stack, 0
	.set _ZN9rocsparseL19gebsrmvn_4xn_kernelILj128ELj1ELj32EdEEvi20rocsparse_direction_NS_24const_host_device_scalarIT2_EEPKiS6_PKS3_S8_S4_PS3_21rocsparse_index_base_b.has_recursion, 0
	.set _ZN9rocsparseL19gebsrmvn_4xn_kernelILj128ELj1ELj32EdEEvi20rocsparse_direction_NS_24const_host_device_scalarIT2_EEPKiS6_PKS3_S8_S4_PS3_21rocsparse_index_base_b.has_indirect_call, 0
	.section	.AMDGPU.csdata,"",@progbits
; Kernel info:
; codeLenInByte = 1852
; TotalNumSgprs: 16
; NumVgprs: 30
; ScratchSize: 0
; MemoryBound: 0
; FloatMode: 240
; IeeeMode: 1
; LDSByteSize: 0 bytes/workgroup (compile time only)
; SGPRBlocks: 0
; VGPRBlocks: 3
; NumSGPRsForWavesPerEU: 16
; NumVGPRsForWavesPerEU: 30
; Occupancy: 16
; WaveLimiterHint : 1
; COMPUTE_PGM_RSRC2:SCRATCH_EN: 0
; COMPUTE_PGM_RSRC2:USER_SGPR: 2
; COMPUTE_PGM_RSRC2:TRAP_HANDLER: 0
; COMPUTE_PGM_RSRC2:TGID_X_EN: 1
; COMPUTE_PGM_RSRC2:TGID_Y_EN: 0
; COMPUTE_PGM_RSRC2:TGID_Z_EN: 0
; COMPUTE_PGM_RSRC2:TIDIG_COMP_CNT: 0
	.section	.text._ZN9rocsparseL19gebsrmvn_4xn_kernelILj128ELj1ELj64EdEEvi20rocsparse_direction_NS_24const_host_device_scalarIT2_EEPKiS6_PKS3_S8_S4_PS3_21rocsparse_index_base_b,"axG",@progbits,_ZN9rocsparseL19gebsrmvn_4xn_kernelILj128ELj1ELj64EdEEvi20rocsparse_direction_NS_24const_host_device_scalarIT2_EEPKiS6_PKS3_S8_S4_PS3_21rocsparse_index_base_b,comdat
	.globl	_ZN9rocsparseL19gebsrmvn_4xn_kernelILj128ELj1ELj64EdEEvi20rocsparse_direction_NS_24const_host_device_scalarIT2_EEPKiS6_PKS3_S8_S4_PS3_21rocsparse_index_base_b ; -- Begin function _ZN9rocsparseL19gebsrmvn_4xn_kernelILj128ELj1ELj64EdEEvi20rocsparse_direction_NS_24const_host_device_scalarIT2_EEPKiS6_PKS3_S8_S4_PS3_21rocsparse_index_base_b
	.p2align	8
	.type	_ZN9rocsparseL19gebsrmvn_4xn_kernelILj128ELj1ELj64EdEEvi20rocsparse_direction_NS_24const_host_device_scalarIT2_EEPKiS6_PKS3_S8_S4_PS3_21rocsparse_index_base_b,@function
_ZN9rocsparseL19gebsrmvn_4xn_kernelILj128ELj1ELj64EdEEvi20rocsparse_direction_NS_24const_host_device_scalarIT2_EEPKiS6_PKS3_S8_S4_PS3_21rocsparse_index_base_b: ; @_ZN9rocsparseL19gebsrmvn_4xn_kernelILj128ELj1ELj64EdEEvi20rocsparse_direction_NS_24const_host_device_scalarIT2_EEPKiS6_PKS3_S8_S4_PS3_21rocsparse_index_base_b
; %bb.0:
	s_clause 0x2
	s_load_b64 s[12:13], s[0:1], 0x40
	s_load_b64 s[4:5], s[0:1], 0x8
	;; [unrolled: 1-line block ×3, first 2 shown]
	s_wait_kmcnt 0x0
	s_bitcmp1_b32 s13, 0
	v_dual_mov_b32 v1, s4 :: v_dual_mov_b32 v2, s5
	s_cselect_b32 s6, -1, 0
	s_delay_alu instid0(SALU_CYCLE_1)
	s_and_b32 vcc_lo, exec_lo, s6
	s_xor_b32 s6, s6, -1
	s_cbranch_vccnz .LBB41_2
; %bb.1:
	v_dual_mov_b32 v1, s4 :: v_dual_mov_b32 v2, s5
	flat_load_b64 v[1:2], v[1:2]
.LBB41_2:
	v_dual_mov_b32 v4, s3 :: v_dual_mov_b32 v3, s2
	s_and_not1_b32 vcc_lo, exec_lo, s6
	s_cbranch_vccnz .LBB41_4
; %bb.3:
	v_dual_mov_b32 v4, s3 :: v_dual_mov_b32 v3, s2
	flat_load_b64 v[3:4], v[3:4]
.LBB41_4:
	s_wait_loadcnt_dscnt 0x0
	v_cmp_neq_f64_e32 vcc_lo, 0, v[1:2]
	v_cmp_neq_f64_e64 s2, 1.0, v[3:4]
	s_or_b32 s2, vcc_lo, s2
	s_wait_alu 0xfffe
	s_and_saveexec_b32 s3, s2
	s_cbranch_execz .LBB41_23
; %bb.5:
	s_load_b64 s[2:3], s[0:1], 0x0
	v_lshrrev_b32_e32 v5, 6, v0
	s_delay_alu instid0(VALU_DEP_1) | instskip(SKIP_1) | instid1(VALU_DEP_1)
	v_lshl_or_b32 v5, ttmp9, 1, v5
	s_wait_kmcnt 0x0
	v_cmp_gt_i32_e32 vcc_lo, s2, v5
	s_and_b32 exec_lo, exec_lo, vcc_lo
	s_cbranch_execz .LBB41_23
; %bb.6:
	s_load_b256 s[4:11], s[0:1], 0x10
	v_ashrrev_i32_e32 v6, 31, v5
	v_and_b32_e32 v0, 63, v0
	s_cmp_lg_u32 s3, 0
	s_delay_alu instid0(VALU_DEP_2) | instskip(SKIP_1) | instid1(VALU_DEP_1)
	v_lshlrev_b64_e32 v[6:7], 2, v[5:6]
	s_wait_kmcnt 0x0
	v_add_co_u32 v6, vcc_lo, s4, v6
	s_delay_alu instid0(VALU_DEP_1) | instskip(SKIP_4) | instid1(VALU_DEP_2)
	v_add_co_ci_u32_e64 v7, null, s5, v7, vcc_lo
	global_load_b64 v[6:7], v[6:7], off
	s_wait_loadcnt 0x0
	v_subrev_nc_u32_e32 v6, s12, v6
	v_subrev_nc_u32_e32 v19, s12, v7
	v_add_nc_u32_e32 v14, v6, v0
	s_delay_alu instid0(VALU_DEP_1)
	v_cmp_lt_i32_e64 s2, v14, v19
	s_cbranch_scc0 .LBB41_12
; %bb.7:
	v_mov_b32_e32 v6, 0
	v_dual_mov_b32 v10, 0 :: v_dual_mov_b32 v7, 0
	v_dual_mov_b32 v8, 0 :: v_dual_mov_b32 v11, 0
	;; [unrolled: 1-line block ×3, first 2 shown]
	v_mov_b32_e32 v13, 0
	s_and_saveexec_b32 s3, s2
	s_cbranch_execz .LBB41_11
; %bb.8:
	v_dual_mov_b32 v8, 0 :: v_dual_lshlrev_b32 v15, 2, v14
	v_dual_mov_b32 v6, 0 :: v_dual_mov_b32 v9, 0
	v_mov_b32_e32 v10, 0
	v_dual_mov_b32 v12, 0 :: v_dual_mov_b32 v17, v14
	v_dual_mov_b32 v7, 0 :: v_dual_mov_b32 v16, 0
	v_mov_b32_e32 v11, 0
	v_mov_b32_e32 v13, 0
	s_mov_b32 s4, 0
.LBB41_9:                               ; =>This Inner Loop Header: Depth=1
	v_ashrrev_i32_e32 v18, 31, v17
	v_mov_b32_e32 v25, v16
	s_delay_alu instid0(VALU_DEP_2) | instskip(SKIP_1) | instid1(VALU_DEP_2)
	v_lshlrev_b64_e32 v[20:21], 2, v[17:18]
	v_add_nc_u32_e32 v17, 64, v17
	v_add_co_u32 v20, vcc_lo, s6, v20
	s_wait_alu 0xfffd
	s_delay_alu instid0(VALU_DEP_3) | instskip(SKIP_3) | instid1(VALU_DEP_2)
	v_add_co_ci_u32_e64 v21, null, s7, v21, vcc_lo
	global_load_b32 v18, v[20:21], off
	v_lshlrev_b64_e32 v[20:21], 3, v[15:16]
	v_add_nc_u32_e32 v15, 0x100, v15
	v_add_co_u32 v26, vcc_lo, s8, v20
	s_wait_alu 0xfffd
	s_delay_alu instid0(VALU_DEP_3) | instskip(SKIP_3) | instid1(VALU_DEP_1)
	v_add_co_ci_u32_e64 v27, null, s9, v21, vcc_lo
	global_load_b128 v[20:23], v[26:27], off offset:16
	s_wait_loadcnt 0x1
	v_subrev_nc_u32_e32 v24, s12, v18
	v_lshlrev_b64_e32 v[24:25], 3, v[24:25]
	s_delay_alu instid0(VALU_DEP_1) | instskip(SKIP_1) | instid1(VALU_DEP_2)
	v_add_co_u32 v28, vcc_lo, s10, v24
	s_wait_alu 0xfffd
	v_add_co_ci_u32_e64 v29, null, s11, v25, vcc_lo
	v_cmp_ge_i32_e32 vcc_lo, v17, v19
	global_load_b128 v[24:27], v[26:27], off
	global_load_b64 v[28:29], v[28:29], off
	s_wait_alu 0xfffe
	s_or_b32 s4, vcc_lo, s4
	s_wait_loadcnt 0x0
	v_fma_f64 v[6:7], v[24:25], v[28:29], v[6:7]
	v_fma_f64 v[12:13], v[26:27], v[28:29], v[12:13]
	;; [unrolled: 1-line block ×4, first 2 shown]
	s_wait_alu 0xfffe
	s_and_not1_b32 exec_lo, exec_lo, s4
	s_cbranch_execnz .LBB41_9
; %bb.10:
	s_or_b32 exec_lo, exec_lo, s4
.LBB41_11:
	s_wait_alu 0xfffe
	s_or_b32 exec_lo, exec_lo, s3
	s_cbranch_execz .LBB41_13
	s_branch .LBB41_18
.LBB41_12:
                                        ; implicit-def: $vgpr6_vgpr7
                                        ; implicit-def: $vgpr8_vgpr9
                                        ; implicit-def: $vgpr10_vgpr11
                                        ; implicit-def: $vgpr12_vgpr13
.LBB41_13:
	v_mov_b32_e32 v6, 0
	v_dual_mov_b32 v10, 0 :: v_dual_mov_b32 v7, 0
	v_dual_mov_b32 v8, 0 :: v_dual_mov_b32 v11, 0
	v_dual_mov_b32 v12, 0 :: v_dual_mov_b32 v9, 0
	v_mov_b32_e32 v13, 0
	s_and_saveexec_b32 s3, s2
	s_cbranch_execz .LBB41_17
; %bb.14:
	v_mov_b32_e32 v6, 0
	v_mov_b32_e32 v8, 0
	v_mov_b32_e32 v10, 0
	v_dual_mov_b32 v12, 0 :: v_dual_mov_b32 v17, 0
	v_dual_mov_b32 v7, 0 :: v_dual_lshlrev_b32 v16, 2, v14
	v_mov_b32_e32 v9, 0
	v_mov_b32_e32 v11, 0
	;; [unrolled: 1-line block ×3, first 2 shown]
	s_mov_b32 s2, 0
.LBB41_15:                              ; =>This Inner Loop Header: Depth=1
	v_ashrrev_i32_e32 v15, 31, v14
	v_mov_b32_e32 v25, v17
	s_delay_alu instid0(VALU_DEP_2) | instskip(SKIP_1) | instid1(VALU_DEP_2)
	v_lshlrev_b64_e32 v[20:21], 2, v[14:15]
	v_add_nc_u32_e32 v14, 64, v14
	v_add_co_u32 v20, vcc_lo, s6, v20
	s_wait_alu 0xfffd
	s_delay_alu instid0(VALU_DEP_3) | instskip(SKIP_3) | instid1(VALU_DEP_2)
	v_add_co_ci_u32_e64 v21, null, s7, v21, vcc_lo
	global_load_b32 v15, v[20:21], off
	v_lshlrev_b64_e32 v[20:21], 3, v[16:17]
	v_add_nc_u32_e32 v16, 0x100, v16
	v_add_co_u32 v26, vcc_lo, s8, v20
	s_wait_alu 0xfffd
	s_delay_alu instid0(VALU_DEP_3) | instskip(SKIP_3) | instid1(VALU_DEP_1)
	v_add_co_ci_u32_e64 v27, null, s9, v21, vcc_lo
	global_load_b128 v[20:23], v[26:27], off offset:16
	s_wait_loadcnt 0x1
	v_subrev_nc_u32_e32 v24, s12, v15
	v_lshlrev_b64_e32 v[24:25], 3, v[24:25]
	s_delay_alu instid0(VALU_DEP_1) | instskip(SKIP_1) | instid1(VALU_DEP_2)
	v_add_co_u32 v28, vcc_lo, s10, v24
	s_wait_alu 0xfffd
	v_add_co_ci_u32_e64 v29, null, s11, v25, vcc_lo
	v_cmp_ge_i32_e32 vcc_lo, v14, v19
	global_load_b128 v[24:27], v[26:27], off
	global_load_b64 v[28:29], v[28:29], off
	s_wait_alu 0xfffe
	s_or_b32 s2, vcc_lo, s2
	s_wait_loadcnt 0x0
	v_fma_f64 v[6:7], v[24:25], v[28:29], v[6:7]
	v_fma_f64 v[12:13], v[26:27], v[28:29], v[12:13]
	;; [unrolled: 1-line block ×4, first 2 shown]
	s_wait_alu 0xfffe
	s_and_not1_b32 exec_lo, exec_lo, s2
	s_cbranch_execnz .LBB41_15
; %bb.16:
	s_or_b32 exec_lo, exec_lo, s2
.LBB41_17:
	s_wait_alu 0xfffe
	s_or_b32 exec_lo, exec_lo, s3
.LBB41_18:
	v_mbcnt_lo_u32_b32 v24, -1, 0
	s_delay_alu instid0(VALU_DEP_1) | instskip(NEXT) | instid1(VALU_DEP_1)
	v_or_b32_e32 v14, 32, v24
	v_cmp_gt_i32_e32 vcc_lo, 32, v14
	s_wait_alu 0xfffd
	v_cndmask_b32_e32 v14, v24, v14, vcc_lo
	s_delay_alu instid0(VALU_DEP_1)
	v_lshlrev_b32_e32 v21, 2, v14
	ds_bpermute_b32 v14, v21, v6
	ds_bpermute_b32 v15, v21, v7
	ds_bpermute_b32 v16, v21, v12
	ds_bpermute_b32 v17, v21, v13
	ds_bpermute_b32 v18, v21, v10
	ds_bpermute_b32 v19, v21, v11
	ds_bpermute_b32 v20, v21, v8
	ds_bpermute_b32 v21, v21, v9
	s_wait_dscnt 0x6
	v_add_f64_e32 v[6:7], v[6:7], v[14:15]
	v_xor_b32_e32 v14, 16, v24
	s_wait_dscnt 0x4
	v_add_f64_e32 v[12:13], v[12:13], v[16:17]
	s_wait_dscnt 0x2
	v_add_f64_e32 v[10:11], v[10:11], v[18:19]
	s_wait_dscnt 0x0
	v_add_f64_e32 v[8:9], v[8:9], v[20:21]
	v_cmp_gt_i32_e32 vcc_lo, 32, v14
	s_wait_alu 0xfffd
	v_cndmask_b32_e32 v14, v24, v14, vcc_lo
	s_delay_alu instid0(VALU_DEP_1)
	v_lshlrev_b32_e32 v21, 2, v14
	ds_bpermute_b32 v14, v21, v6
	ds_bpermute_b32 v15, v21, v7
	ds_bpermute_b32 v16, v21, v12
	ds_bpermute_b32 v17, v21, v13
	ds_bpermute_b32 v18, v21, v10
	ds_bpermute_b32 v19, v21, v11
	ds_bpermute_b32 v20, v21, v8
	ds_bpermute_b32 v21, v21, v9
	s_wait_dscnt 0x6
	v_add_f64_e32 v[6:7], v[6:7], v[14:15]
	v_xor_b32_e32 v14, 8, v24
	s_wait_dscnt 0x4
	v_add_f64_e32 v[12:13], v[12:13], v[16:17]
	s_wait_dscnt 0x2
	v_add_f64_e32 v[10:11], v[10:11], v[18:19]
	s_wait_dscnt 0x0
	v_add_f64_e32 v[8:9], v[8:9], v[20:21]
	;; [unrolled: 22-line block ×3, first 2 shown]
	v_cmp_gt_i32_e32 vcc_lo, 32, v14
	s_wait_alu 0xfffd
	v_cndmask_b32_e32 v14, v24, v14, vcc_lo
	s_delay_alu instid0(VALU_DEP_1)
	v_lshlrev_b32_e32 v21, 2, v14
	ds_bpermute_b32 v14, v21, v6
	ds_bpermute_b32 v15, v21, v7
	ds_bpermute_b32 v16, v21, v12
	ds_bpermute_b32 v17, v21, v13
	ds_bpermute_b32 v18, v21, v10
	ds_bpermute_b32 v19, v21, v11
	ds_bpermute_b32 v20, v21, v8
	ds_bpermute_b32 v21, v21, v9
	s_wait_dscnt 0x6
	v_add_f64_e32 v[6:7], v[6:7], v[14:15]
	s_wait_dscnt 0x4
	v_add_f64_e32 v[14:15], v[12:13], v[16:17]
	;; [unrolled: 2-line block ×3, first 2 shown]
	v_xor_b32_e32 v10, 2, v24
	s_wait_dscnt 0x0
	v_add_f64_e32 v[8:9], v[8:9], v[20:21]
	s_delay_alu instid0(VALU_DEP_2) | instskip(SKIP_2) | instid1(VALU_DEP_1)
	v_cmp_gt_i32_e32 vcc_lo, 32, v10
	s_wait_alu 0xfffd
	v_cndmask_b32_e32 v10, v24, v10, vcc_lo
	v_lshlrev_b32_e32 v12, 2, v10
	ds_bpermute_b32 v10, v12, v6
	ds_bpermute_b32 v11, v12, v7
	;; [unrolled: 1-line block ×8, first 2 shown]
	s_wait_dscnt 0x6
	v_add_f64_e32 v[12:13], v[6:7], v[10:11]
	s_wait_dscnt 0x4
	v_add_f64_e32 v[10:11], v[14:15], v[18:19]
	v_xor_b32_e32 v14, 1, v24
	s_wait_dscnt 0x2
	v_add_f64_e32 v[6:7], v[16:17], v[20:21]
	s_wait_dscnt 0x0
	v_add_f64_e32 v[8:9], v[8:9], v[22:23]
	v_cmp_gt_i32_e32 vcc_lo, 32, v14
	s_wait_alu 0xfffd
	v_cndmask_b32_e32 v14, v24, v14, vcc_lo
	v_cmp_eq_u32_e32 vcc_lo, 63, v0
	s_delay_alu instid0(VALU_DEP_2)
	v_lshlrev_b32_e32 v15, 2, v14
	ds_bpermute_b32 v20, v15, v12
	ds_bpermute_b32 v21, v15, v13
	ds_bpermute_b32 v18, v15, v10
	ds_bpermute_b32 v19, v15, v11
	ds_bpermute_b32 v16, v15, v6
	ds_bpermute_b32 v17, v15, v7
	ds_bpermute_b32 v14, v15, v8
	ds_bpermute_b32 v15, v15, v9
	s_and_b32 exec_lo, exec_lo, vcc_lo
	s_cbranch_execz .LBB41_23
; %bb.19:
	s_wait_dscnt 0x6
	v_add_f64_e32 v[12:13], v[12:13], v[20:21]
	s_wait_dscnt 0x4
	v_add_f64_e32 v[10:11], v[10:11], v[18:19]
	;; [unrolled: 2-line block ×4, first 2 shown]
	s_load_b64 s[0:1], s[0:1], 0x38
	s_mov_b32 s2, exec_lo
	v_cmpx_eq_f64_e32 0, v[3:4]
	s_wait_alu 0xfffe
	s_xor_b32 s2, exec_lo, s2
	s_cbranch_execz .LBB41_21
; %bb.20:
	v_mul_f64_e32 v[12:13], v[1:2], v[12:13]
	v_mul_f64_e32 v[14:15], v[1:2], v[10:11]
	;; [unrolled: 1-line block ×4, first 2 shown]
	v_lshlrev_b32_e32 v0, 2, v5
                                        ; implicit-def: $vgpr5
                                        ; implicit-def: $vgpr3_vgpr4
                                        ; implicit-def: $vgpr10_vgpr11
	s_delay_alu instid0(VALU_DEP_1) | instskip(NEXT) | instid1(VALU_DEP_1)
	v_ashrrev_i32_e32 v1, 31, v0
	v_lshlrev_b64_e32 v[0:1], 3, v[0:1]
	s_wait_kmcnt 0x0
	s_delay_alu instid0(VALU_DEP_1) | instskip(SKIP_1) | instid1(VALU_DEP_2)
	v_add_co_u32 v0, vcc_lo, s0, v0
	s_wait_alu 0xfffd
	v_add_co_ci_u32_e64 v1, null, s1, v1, vcc_lo
	s_clause 0x1
	global_store_b128 v[0:1], v[12:15], off
	global_store_b128 v[0:1], v[6:9], off offset:16
                                        ; implicit-def: $vgpr1_vgpr2
                                        ; implicit-def: $vgpr12_vgpr13
                                        ; implicit-def: $vgpr6_vgpr7
                                        ; implicit-def: $vgpr8_vgpr9
.LBB41_21:
	s_wait_alu 0xfffe
	s_and_not1_saveexec_b32 s2, s2
	s_cbranch_execz .LBB41_23
; %bb.22:
	v_lshlrev_b32_e32 v14, 2, v5
	v_mul_f64_e32 v[12:13], v[1:2], v[12:13]
	v_mul_f64_e32 v[10:11], v[1:2], v[10:11]
	;; [unrolled: 1-line block ×4, first 2 shown]
	v_ashrrev_i32_e32 v15, 31, v14
	s_delay_alu instid0(VALU_DEP_1) | instskip(SKIP_1) | instid1(VALU_DEP_1)
	v_lshlrev_b64_e32 v[14:15], 3, v[14:15]
	s_wait_kmcnt 0x0
	v_add_co_u32 v22, vcc_lo, s0, v14
	s_wait_alu 0xfffd
	s_delay_alu instid0(VALU_DEP_2)
	v_add_co_ci_u32_e64 v23, null, s1, v15, vcc_lo
	s_clause 0x1
	global_load_b128 v[14:17], v[22:23], off
	global_load_b128 v[18:21], v[22:23], off offset:16
	s_wait_loadcnt 0x1
	v_fma_f64 v[5:6], v[3:4], v[14:15], v[12:13]
	v_fma_f64 v[7:8], v[3:4], v[16:17], v[10:11]
	s_wait_loadcnt 0x0
	v_fma_f64 v[0:1], v[3:4], v[18:19], v[24:25]
	v_fma_f64 v[2:3], v[3:4], v[20:21], v[26:27]
	s_clause 0x1
	global_store_b128 v[22:23], v[5:8], off
	global_store_b128 v[22:23], v[0:3], off offset:16
.LBB41_23:
	s_endpgm
	.section	.rodata,"a",@progbits
	.p2align	6, 0x0
	.amdhsa_kernel _ZN9rocsparseL19gebsrmvn_4xn_kernelILj128ELj1ELj64EdEEvi20rocsparse_direction_NS_24const_host_device_scalarIT2_EEPKiS6_PKS3_S8_S4_PS3_21rocsparse_index_base_b
		.amdhsa_group_segment_fixed_size 0
		.amdhsa_private_segment_fixed_size 0
		.amdhsa_kernarg_size 72
		.amdhsa_user_sgpr_count 2
		.amdhsa_user_sgpr_dispatch_ptr 0
		.amdhsa_user_sgpr_queue_ptr 0
		.amdhsa_user_sgpr_kernarg_segment_ptr 1
		.amdhsa_user_sgpr_dispatch_id 0
		.amdhsa_user_sgpr_private_segment_size 0
		.amdhsa_wavefront_size32 1
		.amdhsa_uses_dynamic_stack 0
		.amdhsa_enable_private_segment 0
		.amdhsa_system_sgpr_workgroup_id_x 1
		.amdhsa_system_sgpr_workgroup_id_y 0
		.amdhsa_system_sgpr_workgroup_id_z 0
		.amdhsa_system_sgpr_workgroup_info 0
		.amdhsa_system_vgpr_workitem_id 0
		.amdhsa_next_free_vgpr 30
		.amdhsa_next_free_sgpr 14
		.amdhsa_reserve_vcc 1
		.amdhsa_float_round_mode_32 0
		.amdhsa_float_round_mode_16_64 0
		.amdhsa_float_denorm_mode_32 3
		.amdhsa_float_denorm_mode_16_64 3
		.amdhsa_fp16_overflow 0
		.amdhsa_workgroup_processor_mode 1
		.amdhsa_memory_ordered 1
		.amdhsa_forward_progress 1
		.amdhsa_inst_pref_size 16
		.amdhsa_round_robin_scheduling 0
		.amdhsa_exception_fp_ieee_invalid_op 0
		.amdhsa_exception_fp_denorm_src 0
		.amdhsa_exception_fp_ieee_div_zero 0
		.amdhsa_exception_fp_ieee_overflow 0
		.amdhsa_exception_fp_ieee_underflow 0
		.amdhsa_exception_fp_ieee_inexact 0
		.amdhsa_exception_int_div_zero 0
	.end_amdhsa_kernel
	.section	.text._ZN9rocsparseL19gebsrmvn_4xn_kernelILj128ELj1ELj64EdEEvi20rocsparse_direction_NS_24const_host_device_scalarIT2_EEPKiS6_PKS3_S8_S4_PS3_21rocsparse_index_base_b,"axG",@progbits,_ZN9rocsparseL19gebsrmvn_4xn_kernelILj128ELj1ELj64EdEEvi20rocsparse_direction_NS_24const_host_device_scalarIT2_EEPKiS6_PKS3_S8_S4_PS3_21rocsparse_index_base_b,comdat
.Lfunc_end41:
	.size	_ZN9rocsparseL19gebsrmvn_4xn_kernelILj128ELj1ELj64EdEEvi20rocsparse_direction_NS_24const_host_device_scalarIT2_EEPKiS6_PKS3_S8_S4_PS3_21rocsparse_index_base_b, .Lfunc_end41-_ZN9rocsparseL19gebsrmvn_4xn_kernelILj128ELj1ELj64EdEEvi20rocsparse_direction_NS_24const_host_device_scalarIT2_EEPKiS6_PKS3_S8_S4_PS3_21rocsparse_index_base_b
                                        ; -- End function
	.set _ZN9rocsparseL19gebsrmvn_4xn_kernelILj128ELj1ELj64EdEEvi20rocsparse_direction_NS_24const_host_device_scalarIT2_EEPKiS6_PKS3_S8_S4_PS3_21rocsparse_index_base_b.num_vgpr, 30
	.set _ZN9rocsparseL19gebsrmvn_4xn_kernelILj128ELj1ELj64EdEEvi20rocsparse_direction_NS_24const_host_device_scalarIT2_EEPKiS6_PKS3_S8_S4_PS3_21rocsparse_index_base_b.num_agpr, 0
	.set _ZN9rocsparseL19gebsrmvn_4xn_kernelILj128ELj1ELj64EdEEvi20rocsparse_direction_NS_24const_host_device_scalarIT2_EEPKiS6_PKS3_S8_S4_PS3_21rocsparse_index_base_b.numbered_sgpr, 14
	.set _ZN9rocsparseL19gebsrmvn_4xn_kernelILj128ELj1ELj64EdEEvi20rocsparse_direction_NS_24const_host_device_scalarIT2_EEPKiS6_PKS3_S8_S4_PS3_21rocsparse_index_base_b.num_named_barrier, 0
	.set _ZN9rocsparseL19gebsrmvn_4xn_kernelILj128ELj1ELj64EdEEvi20rocsparse_direction_NS_24const_host_device_scalarIT2_EEPKiS6_PKS3_S8_S4_PS3_21rocsparse_index_base_b.private_seg_size, 0
	.set _ZN9rocsparseL19gebsrmvn_4xn_kernelILj128ELj1ELj64EdEEvi20rocsparse_direction_NS_24const_host_device_scalarIT2_EEPKiS6_PKS3_S8_S4_PS3_21rocsparse_index_base_b.uses_vcc, 1
	.set _ZN9rocsparseL19gebsrmvn_4xn_kernelILj128ELj1ELj64EdEEvi20rocsparse_direction_NS_24const_host_device_scalarIT2_EEPKiS6_PKS3_S8_S4_PS3_21rocsparse_index_base_b.uses_flat_scratch, 0
	.set _ZN9rocsparseL19gebsrmvn_4xn_kernelILj128ELj1ELj64EdEEvi20rocsparse_direction_NS_24const_host_device_scalarIT2_EEPKiS6_PKS3_S8_S4_PS3_21rocsparse_index_base_b.has_dyn_sized_stack, 0
	.set _ZN9rocsparseL19gebsrmvn_4xn_kernelILj128ELj1ELj64EdEEvi20rocsparse_direction_NS_24const_host_device_scalarIT2_EEPKiS6_PKS3_S8_S4_PS3_21rocsparse_index_base_b.has_recursion, 0
	.set _ZN9rocsparseL19gebsrmvn_4xn_kernelILj128ELj1ELj64EdEEvi20rocsparse_direction_NS_24const_host_device_scalarIT2_EEPKiS6_PKS3_S8_S4_PS3_21rocsparse_index_base_b.has_indirect_call, 0
	.section	.AMDGPU.csdata,"",@progbits
; Kernel info:
; codeLenInByte = 1972
; TotalNumSgprs: 16
; NumVgprs: 30
; ScratchSize: 0
; MemoryBound: 0
; FloatMode: 240
; IeeeMode: 1
; LDSByteSize: 0 bytes/workgroup (compile time only)
; SGPRBlocks: 0
; VGPRBlocks: 3
; NumSGPRsForWavesPerEU: 16
; NumVGPRsForWavesPerEU: 30
; Occupancy: 16
; WaveLimiterHint : 1
; COMPUTE_PGM_RSRC2:SCRATCH_EN: 0
; COMPUTE_PGM_RSRC2:USER_SGPR: 2
; COMPUTE_PGM_RSRC2:TRAP_HANDLER: 0
; COMPUTE_PGM_RSRC2:TGID_X_EN: 1
; COMPUTE_PGM_RSRC2:TGID_Y_EN: 0
; COMPUTE_PGM_RSRC2:TGID_Z_EN: 0
; COMPUTE_PGM_RSRC2:TIDIG_COMP_CNT: 0
	.section	.text._ZN9rocsparseL19gebsrmvn_4xn_kernelILj128ELj2ELj4EdEEvi20rocsparse_direction_NS_24const_host_device_scalarIT2_EEPKiS6_PKS3_S8_S4_PS3_21rocsparse_index_base_b,"axG",@progbits,_ZN9rocsparseL19gebsrmvn_4xn_kernelILj128ELj2ELj4EdEEvi20rocsparse_direction_NS_24const_host_device_scalarIT2_EEPKiS6_PKS3_S8_S4_PS3_21rocsparse_index_base_b,comdat
	.globl	_ZN9rocsparseL19gebsrmvn_4xn_kernelILj128ELj2ELj4EdEEvi20rocsparse_direction_NS_24const_host_device_scalarIT2_EEPKiS6_PKS3_S8_S4_PS3_21rocsparse_index_base_b ; -- Begin function _ZN9rocsparseL19gebsrmvn_4xn_kernelILj128ELj2ELj4EdEEvi20rocsparse_direction_NS_24const_host_device_scalarIT2_EEPKiS6_PKS3_S8_S4_PS3_21rocsparse_index_base_b
	.p2align	8
	.type	_ZN9rocsparseL19gebsrmvn_4xn_kernelILj128ELj2ELj4EdEEvi20rocsparse_direction_NS_24const_host_device_scalarIT2_EEPKiS6_PKS3_S8_S4_PS3_21rocsparse_index_base_b,@function
_ZN9rocsparseL19gebsrmvn_4xn_kernelILj128ELj2ELj4EdEEvi20rocsparse_direction_NS_24const_host_device_scalarIT2_EEPKiS6_PKS3_S8_S4_PS3_21rocsparse_index_base_b: ; @_ZN9rocsparseL19gebsrmvn_4xn_kernelILj128ELj2ELj4EdEEvi20rocsparse_direction_NS_24const_host_device_scalarIT2_EEPKiS6_PKS3_S8_S4_PS3_21rocsparse_index_base_b
; %bb.0:
	s_clause 0x2
	s_load_b64 s[12:13], s[0:1], 0x40
	s_load_b64 s[4:5], s[0:1], 0x8
	;; [unrolled: 1-line block ×3, first 2 shown]
	s_wait_kmcnt 0x0
	s_bitcmp1_b32 s13, 0
	v_dual_mov_b32 v1, s4 :: v_dual_mov_b32 v2, s5
	s_cselect_b32 s6, -1, 0
	s_delay_alu instid0(SALU_CYCLE_1)
	s_and_b32 vcc_lo, exec_lo, s6
	s_xor_b32 s6, s6, -1
	s_cbranch_vccnz .LBB42_2
; %bb.1:
	v_dual_mov_b32 v1, s4 :: v_dual_mov_b32 v2, s5
	flat_load_b64 v[1:2], v[1:2]
.LBB42_2:
	v_dual_mov_b32 v4, s3 :: v_dual_mov_b32 v3, s2
	s_and_not1_b32 vcc_lo, exec_lo, s6
	s_cbranch_vccnz .LBB42_4
; %bb.3:
	v_dual_mov_b32 v4, s3 :: v_dual_mov_b32 v3, s2
	flat_load_b64 v[3:4], v[3:4]
.LBB42_4:
	s_wait_loadcnt_dscnt 0x0
	v_cmp_neq_f64_e32 vcc_lo, 0, v[1:2]
	v_cmp_neq_f64_e64 s2, 1.0, v[3:4]
	s_or_b32 s2, vcc_lo, s2
	s_wait_alu 0xfffe
	s_and_saveexec_b32 s3, s2
	s_cbranch_execz .LBB42_23
; %bb.5:
	s_load_b64 s[2:3], s[0:1], 0x0
	v_lshrrev_b32_e32 v5, 2, v0
	s_delay_alu instid0(VALU_DEP_1) | instskip(SKIP_1) | instid1(VALU_DEP_1)
	v_lshl_or_b32 v5, ttmp9, 5, v5
	s_wait_kmcnt 0x0
	v_cmp_gt_i32_e32 vcc_lo, s2, v5
	s_and_b32 exec_lo, exec_lo, vcc_lo
	s_cbranch_execz .LBB42_23
; %bb.6:
	s_load_b256 s[4:11], s[0:1], 0x10
	v_ashrrev_i32_e32 v6, 31, v5
	v_and_b32_e32 v0, 3, v0
	s_cmp_lg_u32 s3, 0
	s_delay_alu instid0(VALU_DEP_2) | instskip(SKIP_1) | instid1(VALU_DEP_1)
	v_lshlrev_b64_e32 v[6:7], 2, v[5:6]
	s_wait_kmcnt 0x0
	v_add_co_u32 v6, vcc_lo, s4, v6
	s_delay_alu instid0(VALU_DEP_1) | instskip(SKIP_4) | instid1(VALU_DEP_2)
	v_add_co_ci_u32_e64 v7, null, s5, v7, vcc_lo
	global_load_b64 v[6:7], v[6:7], off
	s_wait_loadcnt 0x0
	v_subrev_nc_u32_e32 v6, s12, v6
	v_subrev_nc_u32_e32 v19, s12, v7
	v_add_nc_u32_e32 v14, v6, v0
	s_delay_alu instid0(VALU_DEP_1)
	v_cmp_lt_i32_e64 s2, v14, v19
	s_cbranch_scc0 .LBB42_12
; %bb.7:
	v_mov_b32_e32 v6, 0
	v_dual_mov_b32 v10, 0 :: v_dual_mov_b32 v7, 0
	v_dual_mov_b32 v8, 0 :: v_dual_mov_b32 v11, 0
	;; [unrolled: 1-line block ×3, first 2 shown]
	v_mov_b32_e32 v13, 0
	s_and_saveexec_b32 s3, s2
	s_cbranch_execz .LBB42_11
; %bb.8:
	v_dual_mov_b32 v8, 0 :: v_dual_lshlrev_b32 v15, 3, v14
	v_dual_mov_b32 v6, 0 :: v_dual_mov_b32 v9, 0
	v_mov_b32_e32 v10, 0
	v_dual_mov_b32 v12, 0 :: v_dual_mov_b32 v17, v14
	v_dual_mov_b32 v7, 0 :: v_dual_mov_b32 v16, 0
	v_mov_b32_e32 v11, 0
	v_mov_b32_e32 v13, 0
	s_mov_b32 s4, 0
.LBB42_9:                               ; =>This Inner Loop Header: Depth=1
	v_ashrrev_i32_e32 v18, 31, v17
	s_delay_alu instid0(VALU_DEP_1) | instskip(SKIP_1) | instid1(VALU_DEP_2)
	v_lshlrev_b64_e32 v[20:21], 2, v[17:18]
	v_add_nc_u32_e32 v17, 4, v17
	v_add_co_u32 v20, vcc_lo, s6, v20
	s_wait_alu 0xfffd
	s_delay_alu instid0(VALU_DEP_3) | instskip(SKIP_3) | instid1(VALU_DEP_2)
	v_add_co_ci_u32_e64 v21, null, s7, v21, vcc_lo
	global_load_b32 v18, v[20:21], off
	v_lshlrev_b64_e32 v[20:21], 3, v[15:16]
	v_add_nc_u32_e32 v15, 32, v15
	v_add_co_u32 v36, vcc_lo, s8, v20
	s_wait_alu 0xfffd
	s_delay_alu instid0(VALU_DEP_3) | instskip(SKIP_3) | instid1(VALU_DEP_1)
	v_add_co_ci_u32_e64 v37, null, s9, v21, vcc_lo
	global_load_b128 v[20:23], v[36:37], off offset:16
	s_wait_loadcnt 0x1
	v_subrev_nc_u32_e32 v18, s12, v18
	v_dual_mov_b32 v25, v16 :: v_dual_lshlrev_b32 v24, 1, v18
	s_delay_alu instid0(VALU_DEP_1) | instskip(NEXT) | instid1(VALU_DEP_1)
	v_lshlrev_b64_e32 v[24:25], 3, v[24:25]
	v_add_co_u32 v28, vcc_lo, s10, v24
	s_wait_alu 0xfffd
	s_delay_alu instid0(VALU_DEP_2)
	v_add_co_ci_u32_e64 v29, null, s11, v25, vcc_lo
	v_cmp_ge_i32_e32 vcc_lo, v17, v19
	global_load_b128 v[24:27], v[36:37], off
	global_load_b128 v[28:31], v[28:29], off
	s_clause 0x1
	global_load_b128 v[32:35], v[36:37], off offset:32
	global_load_b128 v[36:39], v[36:37], off offset:48
	s_wait_alu 0xfffe
	s_or_b32 s4, vcc_lo, s4
	s_wait_loadcnt 0x2
	v_fma_f64 v[6:7], v[24:25], v[28:29], v[6:7]
	v_fma_f64 v[12:13], v[26:27], v[28:29], v[12:13]
	;; [unrolled: 1-line block ×4, first 2 shown]
	s_wait_loadcnt 0x1
	s_delay_alu instid0(VALU_DEP_4) | instskip(NEXT) | instid1(VALU_DEP_4)
	v_fma_f64 v[6:7], v[32:33], v[30:31], v[6:7]
	v_fma_f64 v[12:13], v[34:35], v[30:31], v[12:13]
	s_wait_loadcnt 0x0
	s_delay_alu instid0(VALU_DEP_4) | instskip(NEXT) | instid1(VALU_DEP_4)
	v_fma_f64 v[10:11], v[36:37], v[30:31], v[10:11]
	v_fma_f64 v[8:9], v[38:39], v[30:31], v[8:9]
	s_wait_alu 0xfffe
	s_and_not1_b32 exec_lo, exec_lo, s4
	s_cbranch_execnz .LBB42_9
; %bb.10:
	s_or_b32 exec_lo, exec_lo, s4
.LBB42_11:
	s_wait_alu 0xfffe
	s_or_b32 exec_lo, exec_lo, s3
	s_cbranch_execz .LBB42_13
	s_branch .LBB42_18
.LBB42_12:
                                        ; implicit-def: $vgpr6_vgpr7
                                        ; implicit-def: $vgpr8_vgpr9
                                        ; implicit-def: $vgpr10_vgpr11
                                        ; implicit-def: $vgpr12_vgpr13
.LBB42_13:
	v_mov_b32_e32 v6, 0
	v_dual_mov_b32 v10, 0 :: v_dual_mov_b32 v7, 0
	v_dual_mov_b32 v8, 0 :: v_dual_mov_b32 v11, 0
	;; [unrolled: 1-line block ×3, first 2 shown]
	v_mov_b32_e32 v13, 0
	s_and_saveexec_b32 s3, s2
	s_cbranch_execz .LBB42_17
; %bb.14:
	v_mov_b32_e32 v6, 0
	v_mov_b32_e32 v8, 0
	v_mov_b32_e32 v10, 0
	v_dual_mov_b32 v12, 0 :: v_dual_mov_b32 v17, 0
	v_dual_mov_b32 v7, 0 :: v_dual_lshlrev_b32 v16, 3, v14
	v_mov_b32_e32 v9, 0
	v_mov_b32_e32 v11, 0
	;; [unrolled: 1-line block ×3, first 2 shown]
	s_mov_b32 s2, 0
.LBB42_15:                              ; =>This Inner Loop Header: Depth=1
	v_ashrrev_i32_e32 v15, 31, v14
	s_delay_alu instid0(VALU_DEP_1) | instskip(SKIP_1) | instid1(VALU_DEP_2)
	v_lshlrev_b64_e32 v[20:21], 2, v[14:15]
	v_add_nc_u32_e32 v14, 4, v14
	v_add_co_u32 v20, vcc_lo, s6, v20
	s_wait_alu 0xfffd
	s_delay_alu instid0(VALU_DEP_3) | instskip(SKIP_3) | instid1(VALU_DEP_2)
	v_add_co_ci_u32_e64 v21, null, s7, v21, vcc_lo
	global_load_b32 v15, v[20:21], off
	v_lshlrev_b64_e32 v[20:21], 3, v[16:17]
	v_add_nc_u32_e32 v16, 32, v16
	v_add_co_u32 v34, vcc_lo, s8, v20
	s_wait_alu 0xfffd
	s_delay_alu instid0(VALU_DEP_3)
	v_add_co_ci_u32_e64 v35, null, s9, v21, vcc_lo
	s_clause 0x2
	global_load_b128 v[20:23], v[34:35], off offset:48
	global_load_b128 v[24:27], v[34:35], off offset:32
	;; [unrolled: 1-line block ×3, first 2 shown]
	s_wait_loadcnt 0x3
	v_subrev_nc_u32_e32 v15, s12, v15
	s_delay_alu instid0(VALU_DEP_1) | instskip(NEXT) | instid1(VALU_DEP_1)
	v_dual_mov_b32 v33, v17 :: v_dual_lshlrev_b32 v32, 1, v15
	v_lshlrev_b64_e32 v[32:33], 3, v[32:33]
	s_delay_alu instid0(VALU_DEP_1) | instskip(SKIP_1) | instid1(VALU_DEP_2)
	v_add_co_u32 v36, vcc_lo, s10, v32
	s_wait_alu 0xfffd
	v_add_co_ci_u32_e64 v37, null, s11, v33, vcc_lo
	v_cmp_ge_i32_e32 vcc_lo, v14, v19
	global_load_b128 v[32:35], v[34:35], off
	global_load_b128 v[36:39], v[36:37], off
	s_wait_alu 0xfffe
	s_or_b32 s2, vcc_lo, s2
	s_wait_loadcnt 0x0
	v_fma_f64 v[6:7], v[32:33], v[36:37], v[6:7]
	v_fma_f64 v[12:13], v[28:29], v[36:37], v[12:13]
	v_fma_f64 v[10:11], v[24:25], v[36:37], v[10:11]
	v_fma_f64 v[8:9], v[20:21], v[36:37], v[8:9]
	s_delay_alu instid0(VALU_DEP_4) | instskip(NEXT) | instid1(VALU_DEP_4)
	v_fma_f64 v[6:7], v[34:35], v[38:39], v[6:7]
	v_fma_f64 v[12:13], v[30:31], v[38:39], v[12:13]
	s_delay_alu instid0(VALU_DEP_4) | instskip(NEXT) | instid1(VALU_DEP_4)
	v_fma_f64 v[10:11], v[26:27], v[38:39], v[10:11]
	v_fma_f64 v[8:9], v[22:23], v[38:39], v[8:9]
	s_wait_alu 0xfffe
	s_and_not1_b32 exec_lo, exec_lo, s2
	s_cbranch_execnz .LBB42_15
; %bb.16:
	s_or_b32 exec_lo, exec_lo, s2
.LBB42_17:
	s_wait_alu 0xfffe
	s_or_b32 exec_lo, exec_lo, s3
.LBB42_18:
	v_mbcnt_lo_u32_b32 v24, -1, 0
	s_delay_alu instid0(VALU_DEP_1) | instskip(NEXT) | instid1(VALU_DEP_1)
	v_xor_b32_e32 v14, 2, v24
	v_cmp_gt_i32_e32 vcc_lo, 32, v14
	s_wait_alu 0xfffd
	v_cndmask_b32_e32 v14, v24, v14, vcc_lo
	s_delay_alu instid0(VALU_DEP_1)
	v_lshlrev_b32_e32 v16, 2, v14
	ds_bpermute_b32 v14, v16, v6
	ds_bpermute_b32 v15, v16, v7
	;; [unrolled: 1-line block ×8, first 2 shown]
	s_wait_dscnt 0x6
	v_add_f64_e32 v[16:17], v[6:7], v[14:15]
	s_wait_dscnt 0x4
	v_add_f64_e32 v[14:15], v[12:13], v[18:19]
	;; [unrolled: 2-line block ×3, first 2 shown]
	v_xor_b32_e32 v10, 1, v24
	s_wait_dscnt 0x0
	v_add_f64_e32 v[8:9], v[8:9], v[22:23]
	s_delay_alu instid0(VALU_DEP_2) | instskip(SKIP_3) | instid1(VALU_DEP_2)
	v_cmp_gt_i32_e32 vcc_lo, 32, v10
	s_wait_alu 0xfffd
	v_cndmask_b32_e32 v10, v24, v10, vcc_lo
	v_cmp_eq_u32_e32 vcc_lo, 3, v0
	v_lshlrev_b32_e32 v19, 2, v10
	ds_bpermute_b32 v12, v19, v16
	ds_bpermute_b32 v13, v19, v17
	;; [unrolled: 1-line block ×8, first 2 shown]
	s_and_b32 exec_lo, exec_lo, vcc_lo
	s_cbranch_execz .LBB42_23
; %bb.19:
	s_wait_dscnt 0x6
	v_add_f64_e32 v[12:13], v[16:17], v[12:13]
	s_wait_dscnt 0x4
	v_add_f64_e32 v[10:11], v[14:15], v[10:11]
	;; [unrolled: 2-line block ×4, first 2 shown]
	s_load_b64 s[0:1], s[0:1], 0x38
	s_mov_b32 s2, exec_lo
	v_cmpx_eq_f64_e32 0, v[3:4]
	s_wait_alu 0xfffe
	s_xor_b32 s2, exec_lo, s2
	s_cbranch_execz .LBB42_21
; %bb.20:
	v_mul_f64_e32 v[12:13], v[1:2], v[12:13]
	v_mul_f64_e32 v[14:15], v[1:2], v[10:11]
	;; [unrolled: 1-line block ×4, first 2 shown]
	v_lshlrev_b32_e32 v0, 2, v5
                                        ; implicit-def: $vgpr5
                                        ; implicit-def: $vgpr3_vgpr4
                                        ; implicit-def: $vgpr10_vgpr11
	s_delay_alu instid0(VALU_DEP_1) | instskip(NEXT) | instid1(VALU_DEP_1)
	v_ashrrev_i32_e32 v1, 31, v0
	v_lshlrev_b64_e32 v[0:1], 3, v[0:1]
	s_wait_kmcnt 0x0
	s_delay_alu instid0(VALU_DEP_1) | instskip(SKIP_1) | instid1(VALU_DEP_2)
	v_add_co_u32 v0, vcc_lo, s0, v0
	s_wait_alu 0xfffd
	v_add_co_ci_u32_e64 v1, null, s1, v1, vcc_lo
	s_clause 0x1
	global_store_b128 v[0:1], v[12:15], off
	global_store_b128 v[0:1], v[6:9], off offset:16
                                        ; implicit-def: $vgpr1_vgpr2
                                        ; implicit-def: $vgpr12_vgpr13
                                        ; implicit-def: $vgpr6_vgpr7
                                        ; implicit-def: $vgpr8_vgpr9
.LBB42_21:
	s_wait_alu 0xfffe
	s_and_not1_saveexec_b32 s2, s2
	s_cbranch_execz .LBB42_23
; %bb.22:
	v_lshlrev_b32_e32 v14, 2, v5
	v_mul_f64_e32 v[12:13], v[1:2], v[12:13]
	v_mul_f64_e32 v[10:11], v[1:2], v[10:11]
	;; [unrolled: 1-line block ×4, first 2 shown]
	v_ashrrev_i32_e32 v15, 31, v14
	s_delay_alu instid0(VALU_DEP_1) | instskip(SKIP_1) | instid1(VALU_DEP_1)
	v_lshlrev_b64_e32 v[14:15], 3, v[14:15]
	s_wait_kmcnt 0x0
	v_add_co_u32 v22, vcc_lo, s0, v14
	s_wait_alu 0xfffd
	s_delay_alu instid0(VALU_DEP_2)
	v_add_co_ci_u32_e64 v23, null, s1, v15, vcc_lo
	s_clause 0x1
	global_load_b128 v[14:17], v[22:23], off
	global_load_b128 v[18:21], v[22:23], off offset:16
	s_wait_loadcnt 0x1
	v_fma_f64 v[5:6], v[3:4], v[14:15], v[12:13]
	v_fma_f64 v[7:8], v[3:4], v[16:17], v[10:11]
	s_wait_loadcnt 0x0
	v_fma_f64 v[0:1], v[3:4], v[18:19], v[24:25]
	v_fma_f64 v[2:3], v[3:4], v[20:21], v[26:27]
	s_clause 0x1
	global_store_b128 v[22:23], v[5:8], off
	global_store_b128 v[22:23], v[0:3], off offset:16
.LBB42_23:
	s_endpgm
	.section	.rodata,"a",@progbits
	.p2align	6, 0x0
	.amdhsa_kernel _ZN9rocsparseL19gebsrmvn_4xn_kernelILj128ELj2ELj4EdEEvi20rocsparse_direction_NS_24const_host_device_scalarIT2_EEPKiS6_PKS3_S8_S4_PS3_21rocsparse_index_base_b
		.amdhsa_group_segment_fixed_size 0
		.amdhsa_private_segment_fixed_size 0
		.amdhsa_kernarg_size 72
		.amdhsa_user_sgpr_count 2
		.amdhsa_user_sgpr_dispatch_ptr 0
		.amdhsa_user_sgpr_queue_ptr 0
		.amdhsa_user_sgpr_kernarg_segment_ptr 1
		.amdhsa_user_sgpr_dispatch_id 0
		.amdhsa_user_sgpr_private_segment_size 0
		.amdhsa_wavefront_size32 1
		.amdhsa_uses_dynamic_stack 0
		.amdhsa_enable_private_segment 0
		.amdhsa_system_sgpr_workgroup_id_x 1
		.amdhsa_system_sgpr_workgroup_id_y 0
		.amdhsa_system_sgpr_workgroup_id_z 0
		.amdhsa_system_sgpr_workgroup_info 0
		.amdhsa_system_vgpr_workitem_id 0
		.amdhsa_next_free_vgpr 40
		.amdhsa_next_free_sgpr 14
		.amdhsa_reserve_vcc 1
		.amdhsa_float_round_mode_32 0
		.amdhsa_float_round_mode_16_64 0
		.amdhsa_float_denorm_mode_32 3
		.amdhsa_float_denorm_mode_16_64 3
		.amdhsa_fp16_overflow 0
		.amdhsa_workgroup_processor_mode 1
		.amdhsa_memory_ordered 1
		.amdhsa_forward_progress 1
		.amdhsa_inst_pref_size 13
		.amdhsa_round_robin_scheduling 0
		.amdhsa_exception_fp_ieee_invalid_op 0
		.amdhsa_exception_fp_denorm_src 0
		.amdhsa_exception_fp_ieee_div_zero 0
		.amdhsa_exception_fp_ieee_overflow 0
		.amdhsa_exception_fp_ieee_underflow 0
		.amdhsa_exception_fp_ieee_inexact 0
		.amdhsa_exception_int_div_zero 0
	.end_amdhsa_kernel
	.section	.text._ZN9rocsparseL19gebsrmvn_4xn_kernelILj128ELj2ELj4EdEEvi20rocsparse_direction_NS_24const_host_device_scalarIT2_EEPKiS6_PKS3_S8_S4_PS3_21rocsparse_index_base_b,"axG",@progbits,_ZN9rocsparseL19gebsrmvn_4xn_kernelILj128ELj2ELj4EdEEvi20rocsparse_direction_NS_24const_host_device_scalarIT2_EEPKiS6_PKS3_S8_S4_PS3_21rocsparse_index_base_b,comdat
.Lfunc_end42:
	.size	_ZN9rocsparseL19gebsrmvn_4xn_kernelILj128ELj2ELj4EdEEvi20rocsparse_direction_NS_24const_host_device_scalarIT2_EEPKiS6_PKS3_S8_S4_PS3_21rocsparse_index_base_b, .Lfunc_end42-_ZN9rocsparseL19gebsrmvn_4xn_kernelILj128ELj2ELj4EdEEvi20rocsparse_direction_NS_24const_host_device_scalarIT2_EEPKiS6_PKS3_S8_S4_PS3_21rocsparse_index_base_b
                                        ; -- End function
	.set _ZN9rocsparseL19gebsrmvn_4xn_kernelILj128ELj2ELj4EdEEvi20rocsparse_direction_NS_24const_host_device_scalarIT2_EEPKiS6_PKS3_S8_S4_PS3_21rocsparse_index_base_b.num_vgpr, 40
	.set _ZN9rocsparseL19gebsrmvn_4xn_kernelILj128ELj2ELj4EdEEvi20rocsparse_direction_NS_24const_host_device_scalarIT2_EEPKiS6_PKS3_S8_S4_PS3_21rocsparse_index_base_b.num_agpr, 0
	.set _ZN9rocsparseL19gebsrmvn_4xn_kernelILj128ELj2ELj4EdEEvi20rocsparse_direction_NS_24const_host_device_scalarIT2_EEPKiS6_PKS3_S8_S4_PS3_21rocsparse_index_base_b.numbered_sgpr, 14
	.set _ZN9rocsparseL19gebsrmvn_4xn_kernelILj128ELj2ELj4EdEEvi20rocsparse_direction_NS_24const_host_device_scalarIT2_EEPKiS6_PKS3_S8_S4_PS3_21rocsparse_index_base_b.num_named_barrier, 0
	.set _ZN9rocsparseL19gebsrmvn_4xn_kernelILj128ELj2ELj4EdEEvi20rocsparse_direction_NS_24const_host_device_scalarIT2_EEPKiS6_PKS3_S8_S4_PS3_21rocsparse_index_base_b.private_seg_size, 0
	.set _ZN9rocsparseL19gebsrmvn_4xn_kernelILj128ELj2ELj4EdEEvi20rocsparse_direction_NS_24const_host_device_scalarIT2_EEPKiS6_PKS3_S8_S4_PS3_21rocsparse_index_base_b.uses_vcc, 1
	.set _ZN9rocsparseL19gebsrmvn_4xn_kernelILj128ELj2ELj4EdEEvi20rocsparse_direction_NS_24const_host_device_scalarIT2_EEPKiS6_PKS3_S8_S4_PS3_21rocsparse_index_base_b.uses_flat_scratch, 0
	.set _ZN9rocsparseL19gebsrmvn_4xn_kernelILj128ELj2ELj4EdEEvi20rocsparse_direction_NS_24const_host_device_scalarIT2_EEPKiS6_PKS3_S8_S4_PS3_21rocsparse_index_base_b.has_dyn_sized_stack, 0
	.set _ZN9rocsparseL19gebsrmvn_4xn_kernelILj128ELj2ELj4EdEEvi20rocsparse_direction_NS_24const_host_device_scalarIT2_EEPKiS6_PKS3_S8_S4_PS3_21rocsparse_index_base_b.has_recursion, 0
	.set _ZN9rocsparseL19gebsrmvn_4xn_kernelILj128ELj2ELj4EdEEvi20rocsparse_direction_NS_24const_host_device_scalarIT2_EEPKiS6_PKS3_S8_S4_PS3_21rocsparse_index_base_b.has_indirect_call, 0
	.section	.AMDGPU.csdata,"",@progbits
; Kernel info:
; codeLenInByte = 1644
; TotalNumSgprs: 16
; NumVgprs: 40
; ScratchSize: 0
; MemoryBound: 0
; FloatMode: 240
; IeeeMode: 1
; LDSByteSize: 0 bytes/workgroup (compile time only)
; SGPRBlocks: 0
; VGPRBlocks: 4
; NumSGPRsForWavesPerEU: 16
; NumVGPRsForWavesPerEU: 40
; Occupancy: 16
; WaveLimiterHint : 1
; COMPUTE_PGM_RSRC2:SCRATCH_EN: 0
; COMPUTE_PGM_RSRC2:USER_SGPR: 2
; COMPUTE_PGM_RSRC2:TRAP_HANDLER: 0
; COMPUTE_PGM_RSRC2:TGID_X_EN: 1
; COMPUTE_PGM_RSRC2:TGID_Y_EN: 0
; COMPUTE_PGM_RSRC2:TGID_Z_EN: 0
; COMPUTE_PGM_RSRC2:TIDIG_COMP_CNT: 0
	.section	.text._ZN9rocsparseL19gebsrmvn_4xn_kernelILj128ELj2ELj8EdEEvi20rocsparse_direction_NS_24const_host_device_scalarIT2_EEPKiS6_PKS3_S8_S4_PS3_21rocsparse_index_base_b,"axG",@progbits,_ZN9rocsparseL19gebsrmvn_4xn_kernelILj128ELj2ELj8EdEEvi20rocsparse_direction_NS_24const_host_device_scalarIT2_EEPKiS6_PKS3_S8_S4_PS3_21rocsparse_index_base_b,comdat
	.globl	_ZN9rocsparseL19gebsrmvn_4xn_kernelILj128ELj2ELj8EdEEvi20rocsparse_direction_NS_24const_host_device_scalarIT2_EEPKiS6_PKS3_S8_S4_PS3_21rocsparse_index_base_b ; -- Begin function _ZN9rocsparseL19gebsrmvn_4xn_kernelILj128ELj2ELj8EdEEvi20rocsparse_direction_NS_24const_host_device_scalarIT2_EEPKiS6_PKS3_S8_S4_PS3_21rocsparse_index_base_b
	.p2align	8
	.type	_ZN9rocsparseL19gebsrmvn_4xn_kernelILj128ELj2ELj8EdEEvi20rocsparse_direction_NS_24const_host_device_scalarIT2_EEPKiS6_PKS3_S8_S4_PS3_21rocsparse_index_base_b,@function
_ZN9rocsparseL19gebsrmvn_4xn_kernelILj128ELj2ELj8EdEEvi20rocsparse_direction_NS_24const_host_device_scalarIT2_EEPKiS6_PKS3_S8_S4_PS3_21rocsparse_index_base_b: ; @_ZN9rocsparseL19gebsrmvn_4xn_kernelILj128ELj2ELj8EdEEvi20rocsparse_direction_NS_24const_host_device_scalarIT2_EEPKiS6_PKS3_S8_S4_PS3_21rocsparse_index_base_b
; %bb.0:
	s_clause 0x2
	s_load_b64 s[12:13], s[0:1], 0x40
	s_load_b64 s[4:5], s[0:1], 0x8
	;; [unrolled: 1-line block ×3, first 2 shown]
	s_wait_kmcnt 0x0
	s_bitcmp1_b32 s13, 0
	v_dual_mov_b32 v1, s4 :: v_dual_mov_b32 v2, s5
	s_cselect_b32 s6, -1, 0
	s_delay_alu instid0(SALU_CYCLE_1)
	s_and_b32 vcc_lo, exec_lo, s6
	s_xor_b32 s6, s6, -1
	s_cbranch_vccnz .LBB43_2
; %bb.1:
	v_dual_mov_b32 v1, s4 :: v_dual_mov_b32 v2, s5
	flat_load_b64 v[1:2], v[1:2]
.LBB43_2:
	v_dual_mov_b32 v4, s3 :: v_dual_mov_b32 v3, s2
	s_and_not1_b32 vcc_lo, exec_lo, s6
	s_cbranch_vccnz .LBB43_4
; %bb.3:
	v_dual_mov_b32 v4, s3 :: v_dual_mov_b32 v3, s2
	flat_load_b64 v[3:4], v[3:4]
.LBB43_4:
	s_wait_loadcnt_dscnt 0x0
	v_cmp_neq_f64_e32 vcc_lo, 0, v[1:2]
	v_cmp_neq_f64_e64 s2, 1.0, v[3:4]
	s_or_b32 s2, vcc_lo, s2
	s_wait_alu 0xfffe
	s_and_saveexec_b32 s3, s2
	s_cbranch_execz .LBB43_23
; %bb.5:
	s_load_b64 s[2:3], s[0:1], 0x0
	v_lshrrev_b32_e32 v5, 3, v0
	s_delay_alu instid0(VALU_DEP_1) | instskip(SKIP_1) | instid1(VALU_DEP_1)
	v_lshl_or_b32 v5, ttmp9, 4, v5
	s_wait_kmcnt 0x0
	v_cmp_gt_i32_e32 vcc_lo, s2, v5
	s_and_b32 exec_lo, exec_lo, vcc_lo
	s_cbranch_execz .LBB43_23
; %bb.6:
	s_load_b256 s[4:11], s[0:1], 0x10
	v_ashrrev_i32_e32 v6, 31, v5
	v_and_b32_e32 v0, 7, v0
	s_cmp_lg_u32 s3, 0
	s_delay_alu instid0(VALU_DEP_2) | instskip(SKIP_1) | instid1(VALU_DEP_1)
	v_lshlrev_b64_e32 v[6:7], 2, v[5:6]
	s_wait_kmcnt 0x0
	v_add_co_u32 v6, vcc_lo, s4, v6
	s_delay_alu instid0(VALU_DEP_1) | instskip(SKIP_4) | instid1(VALU_DEP_2)
	v_add_co_ci_u32_e64 v7, null, s5, v7, vcc_lo
	global_load_b64 v[6:7], v[6:7], off
	s_wait_loadcnt 0x0
	v_subrev_nc_u32_e32 v6, s12, v6
	v_subrev_nc_u32_e32 v19, s12, v7
	v_add_nc_u32_e32 v14, v6, v0
	s_delay_alu instid0(VALU_DEP_1)
	v_cmp_lt_i32_e64 s2, v14, v19
	s_cbranch_scc0 .LBB43_12
; %bb.7:
	v_mov_b32_e32 v6, 0
	v_dual_mov_b32 v10, 0 :: v_dual_mov_b32 v7, 0
	v_dual_mov_b32 v8, 0 :: v_dual_mov_b32 v11, 0
	;; [unrolled: 1-line block ×3, first 2 shown]
	v_mov_b32_e32 v13, 0
	s_and_saveexec_b32 s3, s2
	s_cbranch_execz .LBB43_11
; %bb.8:
	v_dual_mov_b32 v8, 0 :: v_dual_lshlrev_b32 v15, 3, v14
	v_dual_mov_b32 v6, 0 :: v_dual_mov_b32 v9, 0
	v_mov_b32_e32 v10, 0
	v_dual_mov_b32 v12, 0 :: v_dual_mov_b32 v17, v14
	v_dual_mov_b32 v7, 0 :: v_dual_mov_b32 v16, 0
	v_mov_b32_e32 v11, 0
	v_mov_b32_e32 v13, 0
	s_mov_b32 s4, 0
.LBB43_9:                               ; =>This Inner Loop Header: Depth=1
	v_ashrrev_i32_e32 v18, 31, v17
	s_delay_alu instid0(VALU_DEP_1) | instskip(SKIP_1) | instid1(VALU_DEP_2)
	v_lshlrev_b64_e32 v[20:21], 2, v[17:18]
	v_add_nc_u32_e32 v17, 8, v17
	v_add_co_u32 v20, vcc_lo, s6, v20
	s_wait_alu 0xfffd
	s_delay_alu instid0(VALU_DEP_3) | instskip(SKIP_3) | instid1(VALU_DEP_2)
	v_add_co_ci_u32_e64 v21, null, s7, v21, vcc_lo
	global_load_b32 v18, v[20:21], off
	v_lshlrev_b64_e32 v[20:21], 3, v[15:16]
	v_add_nc_u32_e32 v15, 64, v15
	v_add_co_u32 v36, vcc_lo, s8, v20
	s_wait_alu 0xfffd
	s_delay_alu instid0(VALU_DEP_3) | instskip(SKIP_3) | instid1(VALU_DEP_1)
	v_add_co_ci_u32_e64 v37, null, s9, v21, vcc_lo
	global_load_b128 v[20:23], v[36:37], off offset:16
	s_wait_loadcnt 0x1
	v_subrev_nc_u32_e32 v18, s12, v18
	v_dual_mov_b32 v25, v16 :: v_dual_lshlrev_b32 v24, 1, v18
	s_delay_alu instid0(VALU_DEP_1) | instskip(NEXT) | instid1(VALU_DEP_1)
	v_lshlrev_b64_e32 v[24:25], 3, v[24:25]
	v_add_co_u32 v28, vcc_lo, s10, v24
	s_wait_alu 0xfffd
	s_delay_alu instid0(VALU_DEP_2)
	v_add_co_ci_u32_e64 v29, null, s11, v25, vcc_lo
	v_cmp_ge_i32_e32 vcc_lo, v17, v19
	global_load_b128 v[24:27], v[36:37], off
	global_load_b128 v[28:31], v[28:29], off
	s_clause 0x1
	global_load_b128 v[32:35], v[36:37], off offset:32
	global_load_b128 v[36:39], v[36:37], off offset:48
	s_wait_alu 0xfffe
	s_or_b32 s4, vcc_lo, s4
	s_wait_loadcnt 0x2
	v_fma_f64 v[6:7], v[24:25], v[28:29], v[6:7]
	v_fma_f64 v[12:13], v[26:27], v[28:29], v[12:13]
	;; [unrolled: 1-line block ×4, first 2 shown]
	s_wait_loadcnt 0x1
	s_delay_alu instid0(VALU_DEP_4) | instskip(NEXT) | instid1(VALU_DEP_4)
	v_fma_f64 v[6:7], v[32:33], v[30:31], v[6:7]
	v_fma_f64 v[12:13], v[34:35], v[30:31], v[12:13]
	s_wait_loadcnt 0x0
	s_delay_alu instid0(VALU_DEP_4) | instskip(NEXT) | instid1(VALU_DEP_4)
	v_fma_f64 v[10:11], v[36:37], v[30:31], v[10:11]
	v_fma_f64 v[8:9], v[38:39], v[30:31], v[8:9]
	s_wait_alu 0xfffe
	s_and_not1_b32 exec_lo, exec_lo, s4
	s_cbranch_execnz .LBB43_9
; %bb.10:
	s_or_b32 exec_lo, exec_lo, s4
.LBB43_11:
	s_wait_alu 0xfffe
	s_or_b32 exec_lo, exec_lo, s3
	s_cbranch_execz .LBB43_13
	s_branch .LBB43_18
.LBB43_12:
                                        ; implicit-def: $vgpr6_vgpr7
                                        ; implicit-def: $vgpr8_vgpr9
                                        ; implicit-def: $vgpr10_vgpr11
                                        ; implicit-def: $vgpr12_vgpr13
.LBB43_13:
	v_mov_b32_e32 v6, 0
	v_dual_mov_b32 v10, 0 :: v_dual_mov_b32 v7, 0
	v_dual_mov_b32 v8, 0 :: v_dual_mov_b32 v11, 0
	;; [unrolled: 1-line block ×3, first 2 shown]
	v_mov_b32_e32 v13, 0
	s_and_saveexec_b32 s3, s2
	s_cbranch_execz .LBB43_17
; %bb.14:
	v_mov_b32_e32 v6, 0
	v_mov_b32_e32 v8, 0
	;; [unrolled: 1-line block ×3, first 2 shown]
	v_dual_mov_b32 v12, 0 :: v_dual_mov_b32 v17, 0
	v_dual_mov_b32 v7, 0 :: v_dual_lshlrev_b32 v16, 3, v14
	v_mov_b32_e32 v9, 0
	v_mov_b32_e32 v11, 0
	;; [unrolled: 1-line block ×3, first 2 shown]
	s_mov_b32 s2, 0
.LBB43_15:                              ; =>This Inner Loop Header: Depth=1
	v_ashrrev_i32_e32 v15, 31, v14
	s_delay_alu instid0(VALU_DEP_1) | instskip(SKIP_1) | instid1(VALU_DEP_2)
	v_lshlrev_b64_e32 v[20:21], 2, v[14:15]
	v_add_nc_u32_e32 v14, 8, v14
	v_add_co_u32 v20, vcc_lo, s6, v20
	s_wait_alu 0xfffd
	s_delay_alu instid0(VALU_DEP_3) | instskip(SKIP_3) | instid1(VALU_DEP_2)
	v_add_co_ci_u32_e64 v21, null, s7, v21, vcc_lo
	global_load_b32 v15, v[20:21], off
	v_lshlrev_b64_e32 v[20:21], 3, v[16:17]
	v_add_nc_u32_e32 v16, 64, v16
	v_add_co_u32 v34, vcc_lo, s8, v20
	s_wait_alu 0xfffd
	s_delay_alu instid0(VALU_DEP_3)
	v_add_co_ci_u32_e64 v35, null, s9, v21, vcc_lo
	s_clause 0x2
	global_load_b128 v[20:23], v[34:35], off offset:48
	global_load_b128 v[24:27], v[34:35], off offset:32
	;; [unrolled: 1-line block ×3, first 2 shown]
	s_wait_loadcnt 0x3
	v_subrev_nc_u32_e32 v15, s12, v15
	s_delay_alu instid0(VALU_DEP_1) | instskip(NEXT) | instid1(VALU_DEP_1)
	v_dual_mov_b32 v33, v17 :: v_dual_lshlrev_b32 v32, 1, v15
	v_lshlrev_b64_e32 v[32:33], 3, v[32:33]
	s_delay_alu instid0(VALU_DEP_1) | instskip(SKIP_1) | instid1(VALU_DEP_2)
	v_add_co_u32 v36, vcc_lo, s10, v32
	s_wait_alu 0xfffd
	v_add_co_ci_u32_e64 v37, null, s11, v33, vcc_lo
	v_cmp_ge_i32_e32 vcc_lo, v14, v19
	global_load_b128 v[32:35], v[34:35], off
	global_load_b128 v[36:39], v[36:37], off
	s_wait_alu 0xfffe
	s_or_b32 s2, vcc_lo, s2
	s_wait_loadcnt 0x0
	v_fma_f64 v[6:7], v[32:33], v[36:37], v[6:7]
	v_fma_f64 v[12:13], v[28:29], v[36:37], v[12:13]
	;; [unrolled: 1-line block ×4, first 2 shown]
	s_delay_alu instid0(VALU_DEP_4) | instskip(NEXT) | instid1(VALU_DEP_4)
	v_fma_f64 v[6:7], v[34:35], v[38:39], v[6:7]
	v_fma_f64 v[12:13], v[30:31], v[38:39], v[12:13]
	s_delay_alu instid0(VALU_DEP_4) | instskip(NEXT) | instid1(VALU_DEP_4)
	v_fma_f64 v[10:11], v[26:27], v[38:39], v[10:11]
	v_fma_f64 v[8:9], v[22:23], v[38:39], v[8:9]
	s_wait_alu 0xfffe
	s_and_not1_b32 exec_lo, exec_lo, s2
	s_cbranch_execnz .LBB43_15
; %bb.16:
	s_or_b32 exec_lo, exec_lo, s2
.LBB43_17:
	s_wait_alu 0xfffe
	s_or_b32 exec_lo, exec_lo, s3
.LBB43_18:
	v_mbcnt_lo_u32_b32 v24, -1, 0
	s_delay_alu instid0(VALU_DEP_1) | instskip(NEXT) | instid1(VALU_DEP_1)
	v_xor_b32_e32 v14, 4, v24
	v_cmp_gt_i32_e32 vcc_lo, 32, v14
	s_wait_alu 0xfffd
	v_cndmask_b32_e32 v14, v24, v14, vcc_lo
	s_delay_alu instid0(VALU_DEP_1)
	v_lshlrev_b32_e32 v21, 2, v14
	ds_bpermute_b32 v14, v21, v6
	ds_bpermute_b32 v15, v21, v7
	;; [unrolled: 1-line block ×8, first 2 shown]
	s_wait_dscnt 0x6
	v_add_f64_e32 v[6:7], v[6:7], v[14:15]
	s_wait_dscnt 0x4
	v_add_f64_e32 v[14:15], v[12:13], v[16:17]
	;; [unrolled: 2-line block ×3, first 2 shown]
	v_xor_b32_e32 v10, 2, v24
	s_wait_dscnt 0x0
	v_add_f64_e32 v[8:9], v[8:9], v[20:21]
	s_delay_alu instid0(VALU_DEP_2) | instskip(SKIP_2) | instid1(VALU_DEP_1)
	v_cmp_gt_i32_e32 vcc_lo, 32, v10
	s_wait_alu 0xfffd
	v_cndmask_b32_e32 v10, v24, v10, vcc_lo
	v_lshlrev_b32_e32 v12, 2, v10
	ds_bpermute_b32 v10, v12, v6
	ds_bpermute_b32 v11, v12, v7
	;; [unrolled: 1-line block ×8, first 2 shown]
	s_wait_dscnt 0x6
	v_add_f64_e32 v[12:13], v[6:7], v[10:11]
	s_wait_dscnt 0x4
	v_add_f64_e32 v[10:11], v[14:15], v[18:19]
	v_xor_b32_e32 v14, 1, v24
	s_wait_dscnt 0x2
	v_add_f64_e32 v[6:7], v[16:17], v[20:21]
	s_wait_dscnt 0x0
	v_add_f64_e32 v[8:9], v[8:9], v[22:23]
	v_cmp_gt_i32_e32 vcc_lo, 32, v14
	s_wait_alu 0xfffd
	v_cndmask_b32_e32 v14, v24, v14, vcc_lo
	v_cmp_eq_u32_e32 vcc_lo, 7, v0
	s_delay_alu instid0(VALU_DEP_2)
	v_lshlrev_b32_e32 v15, 2, v14
	ds_bpermute_b32 v20, v15, v12
	ds_bpermute_b32 v21, v15, v13
	;; [unrolled: 1-line block ×8, first 2 shown]
	s_and_b32 exec_lo, exec_lo, vcc_lo
	s_cbranch_execz .LBB43_23
; %bb.19:
	s_wait_dscnt 0x6
	v_add_f64_e32 v[12:13], v[12:13], v[20:21]
	s_wait_dscnt 0x4
	v_add_f64_e32 v[10:11], v[10:11], v[18:19]
	;; [unrolled: 2-line block ×4, first 2 shown]
	s_load_b64 s[0:1], s[0:1], 0x38
	s_mov_b32 s2, exec_lo
	v_cmpx_eq_f64_e32 0, v[3:4]
	s_wait_alu 0xfffe
	s_xor_b32 s2, exec_lo, s2
	s_cbranch_execz .LBB43_21
; %bb.20:
	v_mul_f64_e32 v[12:13], v[1:2], v[12:13]
	v_mul_f64_e32 v[14:15], v[1:2], v[10:11]
	;; [unrolled: 1-line block ×4, first 2 shown]
	v_lshlrev_b32_e32 v0, 2, v5
                                        ; implicit-def: $vgpr5
                                        ; implicit-def: $vgpr3_vgpr4
                                        ; implicit-def: $vgpr10_vgpr11
	s_delay_alu instid0(VALU_DEP_1) | instskip(NEXT) | instid1(VALU_DEP_1)
	v_ashrrev_i32_e32 v1, 31, v0
	v_lshlrev_b64_e32 v[0:1], 3, v[0:1]
	s_wait_kmcnt 0x0
	s_delay_alu instid0(VALU_DEP_1) | instskip(SKIP_1) | instid1(VALU_DEP_2)
	v_add_co_u32 v0, vcc_lo, s0, v0
	s_wait_alu 0xfffd
	v_add_co_ci_u32_e64 v1, null, s1, v1, vcc_lo
	s_clause 0x1
	global_store_b128 v[0:1], v[12:15], off
	global_store_b128 v[0:1], v[6:9], off offset:16
                                        ; implicit-def: $vgpr1_vgpr2
                                        ; implicit-def: $vgpr12_vgpr13
                                        ; implicit-def: $vgpr6_vgpr7
                                        ; implicit-def: $vgpr8_vgpr9
.LBB43_21:
	s_wait_alu 0xfffe
	s_and_not1_saveexec_b32 s2, s2
	s_cbranch_execz .LBB43_23
; %bb.22:
	v_lshlrev_b32_e32 v14, 2, v5
	v_mul_f64_e32 v[12:13], v[1:2], v[12:13]
	v_mul_f64_e32 v[10:11], v[1:2], v[10:11]
	;; [unrolled: 1-line block ×4, first 2 shown]
	v_ashrrev_i32_e32 v15, 31, v14
	s_delay_alu instid0(VALU_DEP_1) | instskip(SKIP_1) | instid1(VALU_DEP_1)
	v_lshlrev_b64_e32 v[14:15], 3, v[14:15]
	s_wait_kmcnt 0x0
	v_add_co_u32 v22, vcc_lo, s0, v14
	s_wait_alu 0xfffd
	s_delay_alu instid0(VALU_DEP_2)
	v_add_co_ci_u32_e64 v23, null, s1, v15, vcc_lo
	s_clause 0x1
	global_load_b128 v[14:17], v[22:23], off
	global_load_b128 v[18:21], v[22:23], off offset:16
	s_wait_loadcnt 0x1
	v_fma_f64 v[5:6], v[3:4], v[14:15], v[12:13]
	v_fma_f64 v[7:8], v[3:4], v[16:17], v[10:11]
	s_wait_loadcnt 0x0
	v_fma_f64 v[0:1], v[3:4], v[18:19], v[24:25]
	v_fma_f64 v[2:3], v[3:4], v[20:21], v[26:27]
	s_clause 0x1
	global_store_b128 v[22:23], v[5:8], off
	global_store_b128 v[22:23], v[0:3], off offset:16
.LBB43_23:
	s_endpgm
	.section	.rodata,"a",@progbits
	.p2align	6, 0x0
	.amdhsa_kernel _ZN9rocsparseL19gebsrmvn_4xn_kernelILj128ELj2ELj8EdEEvi20rocsparse_direction_NS_24const_host_device_scalarIT2_EEPKiS6_PKS3_S8_S4_PS3_21rocsparse_index_base_b
		.amdhsa_group_segment_fixed_size 0
		.amdhsa_private_segment_fixed_size 0
		.amdhsa_kernarg_size 72
		.amdhsa_user_sgpr_count 2
		.amdhsa_user_sgpr_dispatch_ptr 0
		.amdhsa_user_sgpr_queue_ptr 0
		.amdhsa_user_sgpr_kernarg_segment_ptr 1
		.amdhsa_user_sgpr_dispatch_id 0
		.amdhsa_user_sgpr_private_segment_size 0
		.amdhsa_wavefront_size32 1
		.amdhsa_uses_dynamic_stack 0
		.amdhsa_enable_private_segment 0
		.amdhsa_system_sgpr_workgroup_id_x 1
		.amdhsa_system_sgpr_workgroup_id_y 0
		.amdhsa_system_sgpr_workgroup_id_z 0
		.amdhsa_system_sgpr_workgroup_info 0
		.amdhsa_system_vgpr_workitem_id 0
		.amdhsa_next_free_vgpr 40
		.amdhsa_next_free_sgpr 14
		.amdhsa_reserve_vcc 1
		.amdhsa_float_round_mode_32 0
		.amdhsa_float_round_mode_16_64 0
		.amdhsa_float_denorm_mode_32 3
		.amdhsa_float_denorm_mode_16_64 3
		.amdhsa_fp16_overflow 0
		.amdhsa_workgroup_processor_mode 1
		.amdhsa_memory_ordered 1
		.amdhsa_forward_progress 1
		.amdhsa_inst_pref_size 14
		.amdhsa_round_robin_scheduling 0
		.amdhsa_exception_fp_ieee_invalid_op 0
		.amdhsa_exception_fp_denorm_src 0
		.amdhsa_exception_fp_ieee_div_zero 0
		.amdhsa_exception_fp_ieee_overflow 0
		.amdhsa_exception_fp_ieee_underflow 0
		.amdhsa_exception_fp_ieee_inexact 0
		.amdhsa_exception_int_div_zero 0
	.end_amdhsa_kernel
	.section	.text._ZN9rocsparseL19gebsrmvn_4xn_kernelILj128ELj2ELj8EdEEvi20rocsparse_direction_NS_24const_host_device_scalarIT2_EEPKiS6_PKS3_S8_S4_PS3_21rocsparse_index_base_b,"axG",@progbits,_ZN9rocsparseL19gebsrmvn_4xn_kernelILj128ELj2ELj8EdEEvi20rocsparse_direction_NS_24const_host_device_scalarIT2_EEPKiS6_PKS3_S8_S4_PS3_21rocsparse_index_base_b,comdat
.Lfunc_end43:
	.size	_ZN9rocsparseL19gebsrmvn_4xn_kernelILj128ELj2ELj8EdEEvi20rocsparse_direction_NS_24const_host_device_scalarIT2_EEPKiS6_PKS3_S8_S4_PS3_21rocsparse_index_base_b, .Lfunc_end43-_ZN9rocsparseL19gebsrmvn_4xn_kernelILj128ELj2ELj8EdEEvi20rocsparse_direction_NS_24const_host_device_scalarIT2_EEPKiS6_PKS3_S8_S4_PS3_21rocsparse_index_base_b
                                        ; -- End function
	.set _ZN9rocsparseL19gebsrmvn_4xn_kernelILj128ELj2ELj8EdEEvi20rocsparse_direction_NS_24const_host_device_scalarIT2_EEPKiS6_PKS3_S8_S4_PS3_21rocsparse_index_base_b.num_vgpr, 40
	.set _ZN9rocsparseL19gebsrmvn_4xn_kernelILj128ELj2ELj8EdEEvi20rocsparse_direction_NS_24const_host_device_scalarIT2_EEPKiS6_PKS3_S8_S4_PS3_21rocsparse_index_base_b.num_agpr, 0
	.set _ZN9rocsparseL19gebsrmvn_4xn_kernelILj128ELj2ELj8EdEEvi20rocsparse_direction_NS_24const_host_device_scalarIT2_EEPKiS6_PKS3_S8_S4_PS3_21rocsparse_index_base_b.numbered_sgpr, 14
	.set _ZN9rocsparseL19gebsrmvn_4xn_kernelILj128ELj2ELj8EdEEvi20rocsparse_direction_NS_24const_host_device_scalarIT2_EEPKiS6_PKS3_S8_S4_PS3_21rocsparse_index_base_b.num_named_barrier, 0
	.set _ZN9rocsparseL19gebsrmvn_4xn_kernelILj128ELj2ELj8EdEEvi20rocsparse_direction_NS_24const_host_device_scalarIT2_EEPKiS6_PKS3_S8_S4_PS3_21rocsparse_index_base_b.private_seg_size, 0
	.set _ZN9rocsparseL19gebsrmvn_4xn_kernelILj128ELj2ELj8EdEEvi20rocsparse_direction_NS_24const_host_device_scalarIT2_EEPKiS6_PKS3_S8_S4_PS3_21rocsparse_index_base_b.uses_vcc, 1
	.set _ZN9rocsparseL19gebsrmvn_4xn_kernelILj128ELj2ELj8EdEEvi20rocsparse_direction_NS_24const_host_device_scalarIT2_EEPKiS6_PKS3_S8_S4_PS3_21rocsparse_index_base_b.uses_flat_scratch, 0
	.set _ZN9rocsparseL19gebsrmvn_4xn_kernelILj128ELj2ELj8EdEEvi20rocsparse_direction_NS_24const_host_device_scalarIT2_EEPKiS6_PKS3_S8_S4_PS3_21rocsparse_index_base_b.has_dyn_sized_stack, 0
	.set _ZN9rocsparseL19gebsrmvn_4xn_kernelILj128ELj2ELj8EdEEvi20rocsparse_direction_NS_24const_host_device_scalarIT2_EEPKiS6_PKS3_S8_S4_PS3_21rocsparse_index_base_b.has_recursion, 0
	.set _ZN9rocsparseL19gebsrmvn_4xn_kernelILj128ELj2ELj8EdEEvi20rocsparse_direction_NS_24const_host_device_scalarIT2_EEPKiS6_PKS3_S8_S4_PS3_21rocsparse_index_base_b.has_indirect_call, 0
	.section	.AMDGPU.csdata,"",@progbits
; Kernel info:
; codeLenInByte = 1764
; TotalNumSgprs: 16
; NumVgprs: 40
; ScratchSize: 0
; MemoryBound: 0
; FloatMode: 240
; IeeeMode: 1
; LDSByteSize: 0 bytes/workgroup (compile time only)
; SGPRBlocks: 0
; VGPRBlocks: 4
; NumSGPRsForWavesPerEU: 16
; NumVGPRsForWavesPerEU: 40
; Occupancy: 16
; WaveLimiterHint : 1
; COMPUTE_PGM_RSRC2:SCRATCH_EN: 0
; COMPUTE_PGM_RSRC2:USER_SGPR: 2
; COMPUTE_PGM_RSRC2:TRAP_HANDLER: 0
; COMPUTE_PGM_RSRC2:TGID_X_EN: 1
; COMPUTE_PGM_RSRC2:TGID_Y_EN: 0
; COMPUTE_PGM_RSRC2:TGID_Z_EN: 0
; COMPUTE_PGM_RSRC2:TIDIG_COMP_CNT: 0
	.section	.text._ZN9rocsparseL19gebsrmvn_4xn_kernelILj128ELj2ELj16EdEEvi20rocsparse_direction_NS_24const_host_device_scalarIT2_EEPKiS6_PKS3_S8_S4_PS3_21rocsparse_index_base_b,"axG",@progbits,_ZN9rocsparseL19gebsrmvn_4xn_kernelILj128ELj2ELj16EdEEvi20rocsparse_direction_NS_24const_host_device_scalarIT2_EEPKiS6_PKS3_S8_S4_PS3_21rocsparse_index_base_b,comdat
	.globl	_ZN9rocsparseL19gebsrmvn_4xn_kernelILj128ELj2ELj16EdEEvi20rocsparse_direction_NS_24const_host_device_scalarIT2_EEPKiS6_PKS3_S8_S4_PS3_21rocsparse_index_base_b ; -- Begin function _ZN9rocsparseL19gebsrmvn_4xn_kernelILj128ELj2ELj16EdEEvi20rocsparse_direction_NS_24const_host_device_scalarIT2_EEPKiS6_PKS3_S8_S4_PS3_21rocsparse_index_base_b
	.p2align	8
	.type	_ZN9rocsparseL19gebsrmvn_4xn_kernelILj128ELj2ELj16EdEEvi20rocsparse_direction_NS_24const_host_device_scalarIT2_EEPKiS6_PKS3_S8_S4_PS3_21rocsparse_index_base_b,@function
_ZN9rocsparseL19gebsrmvn_4xn_kernelILj128ELj2ELj16EdEEvi20rocsparse_direction_NS_24const_host_device_scalarIT2_EEPKiS6_PKS3_S8_S4_PS3_21rocsparse_index_base_b: ; @_ZN9rocsparseL19gebsrmvn_4xn_kernelILj128ELj2ELj16EdEEvi20rocsparse_direction_NS_24const_host_device_scalarIT2_EEPKiS6_PKS3_S8_S4_PS3_21rocsparse_index_base_b
; %bb.0:
	s_clause 0x2
	s_load_b64 s[12:13], s[0:1], 0x40
	s_load_b64 s[4:5], s[0:1], 0x8
	;; [unrolled: 1-line block ×3, first 2 shown]
	s_wait_kmcnt 0x0
	s_bitcmp1_b32 s13, 0
	v_dual_mov_b32 v1, s4 :: v_dual_mov_b32 v2, s5
	s_cselect_b32 s6, -1, 0
	s_delay_alu instid0(SALU_CYCLE_1)
	s_and_b32 vcc_lo, exec_lo, s6
	s_xor_b32 s6, s6, -1
	s_cbranch_vccnz .LBB44_2
; %bb.1:
	v_dual_mov_b32 v1, s4 :: v_dual_mov_b32 v2, s5
	flat_load_b64 v[1:2], v[1:2]
.LBB44_2:
	v_dual_mov_b32 v4, s3 :: v_dual_mov_b32 v3, s2
	s_and_not1_b32 vcc_lo, exec_lo, s6
	s_cbranch_vccnz .LBB44_4
; %bb.3:
	v_dual_mov_b32 v4, s3 :: v_dual_mov_b32 v3, s2
	flat_load_b64 v[3:4], v[3:4]
.LBB44_4:
	s_wait_loadcnt_dscnt 0x0
	v_cmp_neq_f64_e32 vcc_lo, 0, v[1:2]
	v_cmp_neq_f64_e64 s2, 1.0, v[3:4]
	s_or_b32 s2, vcc_lo, s2
	s_wait_alu 0xfffe
	s_and_saveexec_b32 s3, s2
	s_cbranch_execz .LBB44_23
; %bb.5:
	s_load_b64 s[2:3], s[0:1], 0x0
	v_lshrrev_b32_e32 v5, 4, v0
	s_delay_alu instid0(VALU_DEP_1) | instskip(SKIP_1) | instid1(VALU_DEP_1)
	v_lshl_or_b32 v5, ttmp9, 3, v5
	s_wait_kmcnt 0x0
	v_cmp_gt_i32_e32 vcc_lo, s2, v5
	s_and_b32 exec_lo, exec_lo, vcc_lo
	s_cbranch_execz .LBB44_23
; %bb.6:
	s_load_b256 s[4:11], s[0:1], 0x10
	v_ashrrev_i32_e32 v6, 31, v5
	v_and_b32_e32 v0, 15, v0
	s_cmp_lg_u32 s3, 0
	s_delay_alu instid0(VALU_DEP_2) | instskip(SKIP_1) | instid1(VALU_DEP_1)
	v_lshlrev_b64_e32 v[6:7], 2, v[5:6]
	s_wait_kmcnt 0x0
	v_add_co_u32 v6, vcc_lo, s4, v6
	s_delay_alu instid0(VALU_DEP_1) | instskip(SKIP_4) | instid1(VALU_DEP_2)
	v_add_co_ci_u32_e64 v7, null, s5, v7, vcc_lo
	global_load_b64 v[6:7], v[6:7], off
	s_wait_loadcnt 0x0
	v_subrev_nc_u32_e32 v6, s12, v6
	v_subrev_nc_u32_e32 v19, s12, v7
	v_add_nc_u32_e32 v14, v6, v0
	s_delay_alu instid0(VALU_DEP_1)
	v_cmp_lt_i32_e64 s2, v14, v19
	s_cbranch_scc0 .LBB44_12
; %bb.7:
	v_mov_b32_e32 v6, 0
	v_dual_mov_b32 v10, 0 :: v_dual_mov_b32 v7, 0
	v_dual_mov_b32 v8, 0 :: v_dual_mov_b32 v11, 0
	;; [unrolled: 1-line block ×3, first 2 shown]
	v_mov_b32_e32 v13, 0
	s_and_saveexec_b32 s3, s2
	s_cbranch_execz .LBB44_11
; %bb.8:
	v_dual_mov_b32 v8, 0 :: v_dual_lshlrev_b32 v15, 3, v14
	v_dual_mov_b32 v6, 0 :: v_dual_mov_b32 v9, 0
	v_mov_b32_e32 v10, 0
	v_dual_mov_b32 v12, 0 :: v_dual_mov_b32 v17, v14
	v_dual_mov_b32 v7, 0 :: v_dual_mov_b32 v16, 0
	v_mov_b32_e32 v11, 0
	v_mov_b32_e32 v13, 0
	s_mov_b32 s4, 0
.LBB44_9:                               ; =>This Inner Loop Header: Depth=1
	v_ashrrev_i32_e32 v18, 31, v17
	s_delay_alu instid0(VALU_DEP_1) | instskip(SKIP_1) | instid1(VALU_DEP_2)
	v_lshlrev_b64_e32 v[20:21], 2, v[17:18]
	v_add_nc_u32_e32 v17, 16, v17
	v_add_co_u32 v20, vcc_lo, s6, v20
	s_wait_alu 0xfffd
	s_delay_alu instid0(VALU_DEP_3) | instskip(SKIP_3) | instid1(VALU_DEP_2)
	v_add_co_ci_u32_e64 v21, null, s7, v21, vcc_lo
	global_load_b32 v18, v[20:21], off
	v_lshlrev_b64_e32 v[20:21], 3, v[15:16]
	v_add_nc_u32_e32 v15, 0x80, v15
	v_add_co_u32 v36, vcc_lo, s8, v20
	s_wait_alu 0xfffd
	s_delay_alu instid0(VALU_DEP_3) | instskip(SKIP_3) | instid1(VALU_DEP_1)
	v_add_co_ci_u32_e64 v37, null, s9, v21, vcc_lo
	global_load_b128 v[20:23], v[36:37], off offset:16
	s_wait_loadcnt 0x1
	v_subrev_nc_u32_e32 v18, s12, v18
	v_dual_mov_b32 v25, v16 :: v_dual_lshlrev_b32 v24, 1, v18
	s_delay_alu instid0(VALU_DEP_1) | instskip(NEXT) | instid1(VALU_DEP_1)
	v_lshlrev_b64_e32 v[24:25], 3, v[24:25]
	v_add_co_u32 v28, vcc_lo, s10, v24
	s_wait_alu 0xfffd
	s_delay_alu instid0(VALU_DEP_2)
	v_add_co_ci_u32_e64 v29, null, s11, v25, vcc_lo
	v_cmp_ge_i32_e32 vcc_lo, v17, v19
	global_load_b128 v[24:27], v[36:37], off
	global_load_b128 v[28:31], v[28:29], off
	s_clause 0x1
	global_load_b128 v[32:35], v[36:37], off offset:32
	global_load_b128 v[36:39], v[36:37], off offset:48
	s_wait_alu 0xfffe
	s_or_b32 s4, vcc_lo, s4
	s_wait_loadcnt 0x2
	v_fma_f64 v[6:7], v[24:25], v[28:29], v[6:7]
	v_fma_f64 v[12:13], v[26:27], v[28:29], v[12:13]
	;; [unrolled: 1-line block ×4, first 2 shown]
	s_wait_loadcnt 0x1
	s_delay_alu instid0(VALU_DEP_4) | instskip(NEXT) | instid1(VALU_DEP_4)
	v_fma_f64 v[6:7], v[32:33], v[30:31], v[6:7]
	v_fma_f64 v[12:13], v[34:35], v[30:31], v[12:13]
	s_wait_loadcnt 0x0
	s_delay_alu instid0(VALU_DEP_4) | instskip(NEXT) | instid1(VALU_DEP_4)
	v_fma_f64 v[10:11], v[36:37], v[30:31], v[10:11]
	v_fma_f64 v[8:9], v[38:39], v[30:31], v[8:9]
	s_wait_alu 0xfffe
	s_and_not1_b32 exec_lo, exec_lo, s4
	s_cbranch_execnz .LBB44_9
; %bb.10:
	s_or_b32 exec_lo, exec_lo, s4
.LBB44_11:
	s_wait_alu 0xfffe
	s_or_b32 exec_lo, exec_lo, s3
	s_cbranch_execz .LBB44_13
	s_branch .LBB44_18
.LBB44_12:
                                        ; implicit-def: $vgpr6_vgpr7
                                        ; implicit-def: $vgpr8_vgpr9
                                        ; implicit-def: $vgpr10_vgpr11
                                        ; implicit-def: $vgpr12_vgpr13
.LBB44_13:
	v_mov_b32_e32 v6, 0
	v_dual_mov_b32 v10, 0 :: v_dual_mov_b32 v7, 0
	v_dual_mov_b32 v8, 0 :: v_dual_mov_b32 v11, 0
	;; [unrolled: 1-line block ×3, first 2 shown]
	v_mov_b32_e32 v13, 0
	s_and_saveexec_b32 s3, s2
	s_cbranch_execz .LBB44_17
; %bb.14:
	v_mov_b32_e32 v6, 0
	v_mov_b32_e32 v8, 0
	;; [unrolled: 1-line block ×3, first 2 shown]
	v_dual_mov_b32 v12, 0 :: v_dual_mov_b32 v17, 0
	v_dual_mov_b32 v7, 0 :: v_dual_lshlrev_b32 v16, 3, v14
	v_mov_b32_e32 v9, 0
	v_mov_b32_e32 v11, 0
	;; [unrolled: 1-line block ×3, first 2 shown]
	s_mov_b32 s2, 0
.LBB44_15:                              ; =>This Inner Loop Header: Depth=1
	v_ashrrev_i32_e32 v15, 31, v14
	s_delay_alu instid0(VALU_DEP_1) | instskip(SKIP_1) | instid1(VALU_DEP_2)
	v_lshlrev_b64_e32 v[20:21], 2, v[14:15]
	v_add_nc_u32_e32 v14, 16, v14
	v_add_co_u32 v20, vcc_lo, s6, v20
	s_wait_alu 0xfffd
	s_delay_alu instid0(VALU_DEP_3) | instskip(SKIP_3) | instid1(VALU_DEP_2)
	v_add_co_ci_u32_e64 v21, null, s7, v21, vcc_lo
	global_load_b32 v15, v[20:21], off
	v_lshlrev_b64_e32 v[20:21], 3, v[16:17]
	v_add_nc_u32_e32 v16, 0x80, v16
	v_add_co_u32 v34, vcc_lo, s8, v20
	s_wait_alu 0xfffd
	s_delay_alu instid0(VALU_DEP_3)
	v_add_co_ci_u32_e64 v35, null, s9, v21, vcc_lo
	s_clause 0x2
	global_load_b128 v[20:23], v[34:35], off offset:48
	global_load_b128 v[24:27], v[34:35], off offset:32
	;; [unrolled: 1-line block ×3, first 2 shown]
	s_wait_loadcnt 0x3
	v_subrev_nc_u32_e32 v15, s12, v15
	s_delay_alu instid0(VALU_DEP_1) | instskip(NEXT) | instid1(VALU_DEP_1)
	v_dual_mov_b32 v33, v17 :: v_dual_lshlrev_b32 v32, 1, v15
	v_lshlrev_b64_e32 v[32:33], 3, v[32:33]
	s_delay_alu instid0(VALU_DEP_1) | instskip(SKIP_1) | instid1(VALU_DEP_2)
	v_add_co_u32 v36, vcc_lo, s10, v32
	s_wait_alu 0xfffd
	v_add_co_ci_u32_e64 v37, null, s11, v33, vcc_lo
	v_cmp_ge_i32_e32 vcc_lo, v14, v19
	global_load_b128 v[32:35], v[34:35], off
	global_load_b128 v[36:39], v[36:37], off
	s_wait_alu 0xfffe
	s_or_b32 s2, vcc_lo, s2
	s_wait_loadcnt 0x0
	v_fma_f64 v[6:7], v[32:33], v[36:37], v[6:7]
	v_fma_f64 v[12:13], v[28:29], v[36:37], v[12:13]
	;; [unrolled: 1-line block ×4, first 2 shown]
	s_delay_alu instid0(VALU_DEP_4) | instskip(NEXT) | instid1(VALU_DEP_4)
	v_fma_f64 v[6:7], v[34:35], v[38:39], v[6:7]
	v_fma_f64 v[12:13], v[30:31], v[38:39], v[12:13]
	s_delay_alu instid0(VALU_DEP_4) | instskip(NEXT) | instid1(VALU_DEP_4)
	v_fma_f64 v[10:11], v[26:27], v[38:39], v[10:11]
	v_fma_f64 v[8:9], v[22:23], v[38:39], v[8:9]
	s_wait_alu 0xfffe
	s_and_not1_b32 exec_lo, exec_lo, s2
	s_cbranch_execnz .LBB44_15
; %bb.16:
	s_or_b32 exec_lo, exec_lo, s2
.LBB44_17:
	s_wait_alu 0xfffe
	s_or_b32 exec_lo, exec_lo, s3
.LBB44_18:
	v_mbcnt_lo_u32_b32 v24, -1, 0
	s_delay_alu instid0(VALU_DEP_1) | instskip(NEXT) | instid1(VALU_DEP_1)
	v_xor_b32_e32 v14, 8, v24
	v_cmp_gt_i32_e32 vcc_lo, 32, v14
	s_wait_alu 0xfffd
	v_cndmask_b32_e32 v14, v24, v14, vcc_lo
	s_delay_alu instid0(VALU_DEP_1)
	v_lshlrev_b32_e32 v21, 2, v14
	ds_bpermute_b32 v14, v21, v6
	ds_bpermute_b32 v15, v21, v7
	;; [unrolled: 1-line block ×8, first 2 shown]
	s_wait_dscnt 0x6
	v_add_f64_e32 v[6:7], v[6:7], v[14:15]
	v_xor_b32_e32 v14, 4, v24
	s_wait_dscnt 0x4
	v_add_f64_e32 v[12:13], v[12:13], v[16:17]
	s_wait_dscnt 0x2
	v_add_f64_e32 v[10:11], v[10:11], v[18:19]
	;; [unrolled: 2-line block ×3, first 2 shown]
	v_cmp_gt_i32_e32 vcc_lo, 32, v14
	s_wait_alu 0xfffd
	v_cndmask_b32_e32 v14, v24, v14, vcc_lo
	s_delay_alu instid0(VALU_DEP_1)
	v_lshlrev_b32_e32 v21, 2, v14
	ds_bpermute_b32 v14, v21, v6
	ds_bpermute_b32 v15, v21, v7
	;; [unrolled: 1-line block ×8, first 2 shown]
	s_wait_dscnt 0x6
	v_add_f64_e32 v[6:7], v[6:7], v[14:15]
	s_wait_dscnt 0x4
	v_add_f64_e32 v[14:15], v[12:13], v[16:17]
	;; [unrolled: 2-line block ×3, first 2 shown]
	v_xor_b32_e32 v10, 2, v24
	s_wait_dscnt 0x0
	v_add_f64_e32 v[8:9], v[8:9], v[20:21]
	s_delay_alu instid0(VALU_DEP_2) | instskip(SKIP_2) | instid1(VALU_DEP_1)
	v_cmp_gt_i32_e32 vcc_lo, 32, v10
	s_wait_alu 0xfffd
	v_cndmask_b32_e32 v10, v24, v10, vcc_lo
	v_lshlrev_b32_e32 v12, 2, v10
	ds_bpermute_b32 v10, v12, v6
	ds_bpermute_b32 v11, v12, v7
	ds_bpermute_b32 v18, v12, v14
	ds_bpermute_b32 v19, v12, v15
	ds_bpermute_b32 v20, v12, v16
	ds_bpermute_b32 v21, v12, v17
	ds_bpermute_b32 v22, v12, v8
	ds_bpermute_b32 v23, v12, v9
	s_wait_dscnt 0x6
	v_add_f64_e32 v[12:13], v[6:7], v[10:11]
	s_wait_dscnt 0x4
	v_add_f64_e32 v[10:11], v[14:15], v[18:19]
	v_xor_b32_e32 v14, 1, v24
	s_wait_dscnt 0x2
	v_add_f64_e32 v[6:7], v[16:17], v[20:21]
	s_wait_dscnt 0x0
	v_add_f64_e32 v[8:9], v[8:9], v[22:23]
	v_cmp_gt_i32_e32 vcc_lo, 32, v14
	s_wait_alu 0xfffd
	v_cndmask_b32_e32 v14, v24, v14, vcc_lo
	v_cmp_eq_u32_e32 vcc_lo, 15, v0
	s_delay_alu instid0(VALU_DEP_2)
	v_lshlrev_b32_e32 v15, 2, v14
	ds_bpermute_b32 v20, v15, v12
	ds_bpermute_b32 v21, v15, v13
	;; [unrolled: 1-line block ×8, first 2 shown]
	s_and_b32 exec_lo, exec_lo, vcc_lo
	s_cbranch_execz .LBB44_23
; %bb.19:
	s_wait_dscnt 0x6
	v_add_f64_e32 v[12:13], v[12:13], v[20:21]
	s_wait_dscnt 0x4
	v_add_f64_e32 v[10:11], v[10:11], v[18:19]
	;; [unrolled: 2-line block ×4, first 2 shown]
	s_load_b64 s[0:1], s[0:1], 0x38
	s_mov_b32 s2, exec_lo
	v_cmpx_eq_f64_e32 0, v[3:4]
	s_wait_alu 0xfffe
	s_xor_b32 s2, exec_lo, s2
	s_cbranch_execz .LBB44_21
; %bb.20:
	v_mul_f64_e32 v[12:13], v[1:2], v[12:13]
	v_mul_f64_e32 v[14:15], v[1:2], v[10:11]
	;; [unrolled: 1-line block ×4, first 2 shown]
	v_lshlrev_b32_e32 v0, 2, v5
                                        ; implicit-def: $vgpr5
                                        ; implicit-def: $vgpr3_vgpr4
                                        ; implicit-def: $vgpr10_vgpr11
	s_delay_alu instid0(VALU_DEP_1) | instskip(NEXT) | instid1(VALU_DEP_1)
	v_ashrrev_i32_e32 v1, 31, v0
	v_lshlrev_b64_e32 v[0:1], 3, v[0:1]
	s_wait_kmcnt 0x0
	s_delay_alu instid0(VALU_DEP_1) | instskip(SKIP_1) | instid1(VALU_DEP_2)
	v_add_co_u32 v0, vcc_lo, s0, v0
	s_wait_alu 0xfffd
	v_add_co_ci_u32_e64 v1, null, s1, v1, vcc_lo
	s_clause 0x1
	global_store_b128 v[0:1], v[12:15], off
	global_store_b128 v[0:1], v[6:9], off offset:16
                                        ; implicit-def: $vgpr1_vgpr2
                                        ; implicit-def: $vgpr12_vgpr13
                                        ; implicit-def: $vgpr6_vgpr7
                                        ; implicit-def: $vgpr8_vgpr9
.LBB44_21:
	s_wait_alu 0xfffe
	s_and_not1_saveexec_b32 s2, s2
	s_cbranch_execz .LBB44_23
; %bb.22:
	v_lshlrev_b32_e32 v14, 2, v5
	v_mul_f64_e32 v[12:13], v[1:2], v[12:13]
	v_mul_f64_e32 v[10:11], v[1:2], v[10:11]
	;; [unrolled: 1-line block ×4, first 2 shown]
	v_ashrrev_i32_e32 v15, 31, v14
	s_delay_alu instid0(VALU_DEP_1) | instskip(SKIP_1) | instid1(VALU_DEP_1)
	v_lshlrev_b64_e32 v[14:15], 3, v[14:15]
	s_wait_kmcnt 0x0
	v_add_co_u32 v22, vcc_lo, s0, v14
	s_wait_alu 0xfffd
	s_delay_alu instid0(VALU_DEP_2)
	v_add_co_ci_u32_e64 v23, null, s1, v15, vcc_lo
	s_clause 0x1
	global_load_b128 v[14:17], v[22:23], off
	global_load_b128 v[18:21], v[22:23], off offset:16
	s_wait_loadcnt 0x1
	v_fma_f64 v[5:6], v[3:4], v[14:15], v[12:13]
	v_fma_f64 v[7:8], v[3:4], v[16:17], v[10:11]
	s_wait_loadcnt 0x0
	v_fma_f64 v[0:1], v[3:4], v[18:19], v[24:25]
	v_fma_f64 v[2:3], v[3:4], v[20:21], v[26:27]
	s_clause 0x1
	global_store_b128 v[22:23], v[5:8], off
	global_store_b128 v[22:23], v[0:3], off offset:16
.LBB44_23:
	s_endpgm
	.section	.rodata,"a",@progbits
	.p2align	6, 0x0
	.amdhsa_kernel _ZN9rocsparseL19gebsrmvn_4xn_kernelILj128ELj2ELj16EdEEvi20rocsparse_direction_NS_24const_host_device_scalarIT2_EEPKiS6_PKS3_S8_S4_PS3_21rocsparse_index_base_b
		.amdhsa_group_segment_fixed_size 0
		.amdhsa_private_segment_fixed_size 0
		.amdhsa_kernarg_size 72
		.amdhsa_user_sgpr_count 2
		.amdhsa_user_sgpr_dispatch_ptr 0
		.amdhsa_user_sgpr_queue_ptr 0
		.amdhsa_user_sgpr_kernarg_segment_ptr 1
		.amdhsa_user_sgpr_dispatch_id 0
		.amdhsa_user_sgpr_private_segment_size 0
		.amdhsa_wavefront_size32 1
		.amdhsa_uses_dynamic_stack 0
		.amdhsa_enable_private_segment 0
		.amdhsa_system_sgpr_workgroup_id_x 1
		.amdhsa_system_sgpr_workgroup_id_y 0
		.amdhsa_system_sgpr_workgroup_id_z 0
		.amdhsa_system_sgpr_workgroup_info 0
		.amdhsa_system_vgpr_workitem_id 0
		.amdhsa_next_free_vgpr 40
		.amdhsa_next_free_sgpr 14
		.amdhsa_reserve_vcc 1
		.amdhsa_float_round_mode_32 0
		.amdhsa_float_round_mode_16_64 0
		.amdhsa_float_denorm_mode_32 3
		.amdhsa_float_denorm_mode_16_64 3
		.amdhsa_fp16_overflow 0
		.amdhsa_workgroup_processor_mode 1
		.amdhsa_memory_ordered 1
		.amdhsa_forward_progress 1
		.amdhsa_inst_pref_size 15
		.amdhsa_round_robin_scheduling 0
		.amdhsa_exception_fp_ieee_invalid_op 0
		.amdhsa_exception_fp_denorm_src 0
		.amdhsa_exception_fp_ieee_div_zero 0
		.amdhsa_exception_fp_ieee_overflow 0
		.amdhsa_exception_fp_ieee_underflow 0
		.amdhsa_exception_fp_ieee_inexact 0
		.amdhsa_exception_int_div_zero 0
	.end_amdhsa_kernel
	.section	.text._ZN9rocsparseL19gebsrmvn_4xn_kernelILj128ELj2ELj16EdEEvi20rocsparse_direction_NS_24const_host_device_scalarIT2_EEPKiS6_PKS3_S8_S4_PS3_21rocsparse_index_base_b,"axG",@progbits,_ZN9rocsparseL19gebsrmvn_4xn_kernelILj128ELj2ELj16EdEEvi20rocsparse_direction_NS_24const_host_device_scalarIT2_EEPKiS6_PKS3_S8_S4_PS3_21rocsparse_index_base_b,comdat
.Lfunc_end44:
	.size	_ZN9rocsparseL19gebsrmvn_4xn_kernelILj128ELj2ELj16EdEEvi20rocsparse_direction_NS_24const_host_device_scalarIT2_EEPKiS6_PKS3_S8_S4_PS3_21rocsparse_index_base_b, .Lfunc_end44-_ZN9rocsparseL19gebsrmvn_4xn_kernelILj128ELj2ELj16EdEEvi20rocsparse_direction_NS_24const_host_device_scalarIT2_EEPKiS6_PKS3_S8_S4_PS3_21rocsparse_index_base_b
                                        ; -- End function
	.set _ZN9rocsparseL19gebsrmvn_4xn_kernelILj128ELj2ELj16EdEEvi20rocsparse_direction_NS_24const_host_device_scalarIT2_EEPKiS6_PKS3_S8_S4_PS3_21rocsparse_index_base_b.num_vgpr, 40
	.set _ZN9rocsparseL19gebsrmvn_4xn_kernelILj128ELj2ELj16EdEEvi20rocsparse_direction_NS_24const_host_device_scalarIT2_EEPKiS6_PKS3_S8_S4_PS3_21rocsparse_index_base_b.num_agpr, 0
	.set _ZN9rocsparseL19gebsrmvn_4xn_kernelILj128ELj2ELj16EdEEvi20rocsparse_direction_NS_24const_host_device_scalarIT2_EEPKiS6_PKS3_S8_S4_PS3_21rocsparse_index_base_b.numbered_sgpr, 14
	.set _ZN9rocsparseL19gebsrmvn_4xn_kernelILj128ELj2ELj16EdEEvi20rocsparse_direction_NS_24const_host_device_scalarIT2_EEPKiS6_PKS3_S8_S4_PS3_21rocsparse_index_base_b.num_named_barrier, 0
	.set _ZN9rocsparseL19gebsrmvn_4xn_kernelILj128ELj2ELj16EdEEvi20rocsparse_direction_NS_24const_host_device_scalarIT2_EEPKiS6_PKS3_S8_S4_PS3_21rocsparse_index_base_b.private_seg_size, 0
	.set _ZN9rocsparseL19gebsrmvn_4xn_kernelILj128ELj2ELj16EdEEvi20rocsparse_direction_NS_24const_host_device_scalarIT2_EEPKiS6_PKS3_S8_S4_PS3_21rocsparse_index_base_b.uses_vcc, 1
	.set _ZN9rocsparseL19gebsrmvn_4xn_kernelILj128ELj2ELj16EdEEvi20rocsparse_direction_NS_24const_host_device_scalarIT2_EEPKiS6_PKS3_S8_S4_PS3_21rocsparse_index_base_b.uses_flat_scratch, 0
	.set _ZN9rocsparseL19gebsrmvn_4xn_kernelILj128ELj2ELj16EdEEvi20rocsparse_direction_NS_24const_host_device_scalarIT2_EEPKiS6_PKS3_S8_S4_PS3_21rocsparse_index_base_b.has_dyn_sized_stack, 0
	.set _ZN9rocsparseL19gebsrmvn_4xn_kernelILj128ELj2ELj16EdEEvi20rocsparse_direction_NS_24const_host_device_scalarIT2_EEPKiS6_PKS3_S8_S4_PS3_21rocsparse_index_base_b.has_recursion, 0
	.set _ZN9rocsparseL19gebsrmvn_4xn_kernelILj128ELj2ELj16EdEEvi20rocsparse_direction_NS_24const_host_device_scalarIT2_EEPKiS6_PKS3_S8_S4_PS3_21rocsparse_index_base_b.has_indirect_call, 0
	.section	.AMDGPU.csdata,"",@progbits
; Kernel info:
; codeLenInByte = 1892
; TotalNumSgprs: 16
; NumVgprs: 40
; ScratchSize: 0
; MemoryBound: 0
; FloatMode: 240
; IeeeMode: 1
; LDSByteSize: 0 bytes/workgroup (compile time only)
; SGPRBlocks: 0
; VGPRBlocks: 4
; NumSGPRsForWavesPerEU: 16
; NumVGPRsForWavesPerEU: 40
; Occupancy: 16
; WaveLimiterHint : 1
; COMPUTE_PGM_RSRC2:SCRATCH_EN: 0
; COMPUTE_PGM_RSRC2:USER_SGPR: 2
; COMPUTE_PGM_RSRC2:TRAP_HANDLER: 0
; COMPUTE_PGM_RSRC2:TGID_X_EN: 1
; COMPUTE_PGM_RSRC2:TGID_Y_EN: 0
; COMPUTE_PGM_RSRC2:TGID_Z_EN: 0
; COMPUTE_PGM_RSRC2:TIDIG_COMP_CNT: 0
	.section	.text._ZN9rocsparseL19gebsrmvn_4xn_kernelILj128ELj2ELj32EdEEvi20rocsparse_direction_NS_24const_host_device_scalarIT2_EEPKiS6_PKS3_S8_S4_PS3_21rocsparse_index_base_b,"axG",@progbits,_ZN9rocsparseL19gebsrmvn_4xn_kernelILj128ELj2ELj32EdEEvi20rocsparse_direction_NS_24const_host_device_scalarIT2_EEPKiS6_PKS3_S8_S4_PS3_21rocsparse_index_base_b,comdat
	.globl	_ZN9rocsparseL19gebsrmvn_4xn_kernelILj128ELj2ELj32EdEEvi20rocsparse_direction_NS_24const_host_device_scalarIT2_EEPKiS6_PKS3_S8_S4_PS3_21rocsparse_index_base_b ; -- Begin function _ZN9rocsparseL19gebsrmvn_4xn_kernelILj128ELj2ELj32EdEEvi20rocsparse_direction_NS_24const_host_device_scalarIT2_EEPKiS6_PKS3_S8_S4_PS3_21rocsparse_index_base_b
	.p2align	8
	.type	_ZN9rocsparseL19gebsrmvn_4xn_kernelILj128ELj2ELj32EdEEvi20rocsparse_direction_NS_24const_host_device_scalarIT2_EEPKiS6_PKS3_S8_S4_PS3_21rocsparse_index_base_b,@function
_ZN9rocsparseL19gebsrmvn_4xn_kernelILj128ELj2ELj32EdEEvi20rocsparse_direction_NS_24const_host_device_scalarIT2_EEPKiS6_PKS3_S8_S4_PS3_21rocsparse_index_base_b: ; @_ZN9rocsparseL19gebsrmvn_4xn_kernelILj128ELj2ELj32EdEEvi20rocsparse_direction_NS_24const_host_device_scalarIT2_EEPKiS6_PKS3_S8_S4_PS3_21rocsparse_index_base_b
; %bb.0:
	s_clause 0x2
	s_load_b64 s[12:13], s[0:1], 0x40
	s_load_b64 s[4:5], s[0:1], 0x8
	;; [unrolled: 1-line block ×3, first 2 shown]
	s_wait_kmcnt 0x0
	s_bitcmp1_b32 s13, 0
	v_dual_mov_b32 v1, s4 :: v_dual_mov_b32 v2, s5
	s_cselect_b32 s6, -1, 0
	s_delay_alu instid0(SALU_CYCLE_1)
	s_and_b32 vcc_lo, exec_lo, s6
	s_xor_b32 s6, s6, -1
	s_cbranch_vccnz .LBB45_2
; %bb.1:
	v_dual_mov_b32 v1, s4 :: v_dual_mov_b32 v2, s5
	flat_load_b64 v[1:2], v[1:2]
.LBB45_2:
	v_dual_mov_b32 v4, s3 :: v_dual_mov_b32 v3, s2
	s_and_not1_b32 vcc_lo, exec_lo, s6
	s_cbranch_vccnz .LBB45_4
; %bb.3:
	v_dual_mov_b32 v4, s3 :: v_dual_mov_b32 v3, s2
	flat_load_b64 v[3:4], v[3:4]
.LBB45_4:
	s_wait_loadcnt_dscnt 0x0
	v_cmp_neq_f64_e32 vcc_lo, 0, v[1:2]
	v_cmp_neq_f64_e64 s2, 1.0, v[3:4]
	s_or_b32 s2, vcc_lo, s2
	s_wait_alu 0xfffe
	s_and_saveexec_b32 s3, s2
	s_cbranch_execz .LBB45_23
; %bb.5:
	s_load_b64 s[2:3], s[0:1], 0x0
	v_lshrrev_b32_e32 v5, 5, v0
	s_delay_alu instid0(VALU_DEP_1) | instskip(SKIP_1) | instid1(VALU_DEP_1)
	v_lshl_or_b32 v5, ttmp9, 2, v5
	s_wait_kmcnt 0x0
	v_cmp_gt_i32_e32 vcc_lo, s2, v5
	s_and_b32 exec_lo, exec_lo, vcc_lo
	s_cbranch_execz .LBB45_23
; %bb.6:
	s_load_b256 s[4:11], s[0:1], 0x10
	v_ashrrev_i32_e32 v6, 31, v5
	v_and_b32_e32 v0, 31, v0
	s_cmp_lg_u32 s3, 0
	s_delay_alu instid0(VALU_DEP_2) | instskip(SKIP_1) | instid1(VALU_DEP_1)
	v_lshlrev_b64_e32 v[6:7], 2, v[5:6]
	s_wait_kmcnt 0x0
	v_add_co_u32 v6, vcc_lo, s4, v6
	s_delay_alu instid0(VALU_DEP_1) | instskip(SKIP_4) | instid1(VALU_DEP_2)
	v_add_co_ci_u32_e64 v7, null, s5, v7, vcc_lo
	global_load_b64 v[6:7], v[6:7], off
	s_wait_loadcnt 0x0
	v_subrev_nc_u32_e32 v6, s12, v6
	v_subrev_nc_u32_e32 v19, s12, v7
	v_add_nc_u32_e32 v14, v6, v0
	s_delay_alu instid0(VALU_DEP_1)
	v_cmp_lt_i32_e64 s2, v14, v19
	s_cbranch_scc0 .LBB45_12
; %bb.7:
	v_mov_b32_e32 v6, 0
	v_dual_mov_b32 v10, 0 :: v_dual_mov_b32 v7, 0
	v_dual_mov_b32 v8, 0 :: v_dual_mov_b32 v11, 0
	v_dual_mov_b32 v12, 0 :: v_dual_mov_b32 v9, 0
	v_mov_b32_e32 v13, 0
	s_and_saveexec_b32 s3, s2
	s_cbranch_execz .LBB45_11
; %bb.8:
	v_dual_mov_b32 v8, 0 :: v_dual_lshlrev_b32 v15, 3, v14
	v_dual_mov_b32 v6, 0 :: v_dual_mov_b32 v9, 0
	v_mov_b32_e32 v10, 0
	v_dual_mov_b32 v12, 0 :: v_dual_mov_b32 v17, v14
	v_dual_mov_b32 v7, 0 :: v_dual_mov_b32 v16, 0
	v_mov_b32_e32 v11, 0
	v_mov_b32_e32 v13, 0
	s_mov_b32 s4, 0
.LBB45_9:                               ; =>This Inner Loop Header: Depth=1
	v_ashrrev_i32_e32 v18, 31, v17
	s_delay_alu instid0(VALU_DEP_1) | instskip(SKIP_1) | instid1(VALU_DEP_2)
	v_lshlrev_b64_e32 v[20:21], 2, v[17:18]
	v_add_nc_u32_e32 v17, 32, v17
	v_add_co_u32 v20, vcc_lo, s6, v20
	s_wait_alu 0xfffd
	s_delay_alu instid0(VALU_DEP_3) | instskip(SKIP_3) | instid1(VALU_DEP_2)
	v_add_co_ci_u32_e64 v21, null, s7, v21, vcc_lo
	global_load_b32 v18, v[20:21], off
	v_lshlrev_b64_e32 v[20:21], 3, v[15:16]
	v_add_nc_u32_e32 v15, 0x100, v15
	v_add_co_u32 v36, vcc_lo, s8, v20
	s_wait_alu 0xfffd
	s_delay_alu instid0(VALU_DEP_3) | instskip(SKIP_3) | instid1(VALU_DEP_1)
	v_add_co_ci_u32_e64 v37, null, s9, v21, vcc_lo
	global_load_b128 v[20:23], v[36:37], off offset:16
	s_wait_loadcnt 0x1
	v_subrev_nc_u32_e32 v18, s12, v18
	v_dual_mov_b32 v25, v16 :: v_dual_lshlrev_b32 v24, 1, v18
	s_delay_alu instid0(VALU_DEP_1) | instskip(NEXT) | instid1(VALU_DEP_1)
	v_lshlrev_b64_e32 v[24:25], 3, v[24:25]
	v_add_co_u32 v28, vcc_lo, s10, v24
	s_wait_alu 0xfffd
	s_delay_alu instid0(VALU_DEP_2)
	v_add_co_ci_u32_e64 v29, null, s11, v25, vcc_lo
	v_cmp_ge_i32_e32 vcc_lo, v17, v19
	global_load_b128 v[24:27], v[36:37], off
	global_load_b128 v[28:31], v[28:29], off
	s_clause 0x1
	global_load_b128 v[32:35], v[36:37], off offset:32
	global_load_b128 v[36:39], v[36:37], off offset:48
	s_wait_alu 0xfffe
	s_or_b32 s4, vcc_lo, s4
	s_wait_loadcnt 0x2
	v_fma_f64 v[6:7], v[24:25], v[28:29], v[6:7]
	v_fma_f64 v[12:13], v[26:27], v[28:29], v[12:13]
	;; [unrolled: 1-line block ×4, first 2 shown]
	s_wait_loadcnt 0x1
	s_delay_alu instid0(VALU_DEP_4) | instskip(NEXT) | instid1(VALU_DEP_4)
	v_fma_f64 v[6:7], v[32:33], v[30:31], v[6:7]
	v_fma_f64 v[12:13], v[34:35], v[30:31], v[12:13]
	s_wait_loadcnt 0x0
	s_delay_alu instid0(VALU_DEP_4) | instskip(NEXT) | instid1(VALU_DEP_4)
	v_fma_f64 v[10:11], v[36:37], v[30:31], v[10:11]
	v_fma_f64 v[8:9], v[38:39], v[30:31], v[8:9]
	s_wait_alu 0xfffe
	s_and_not1_b32 exec_lo, exec_lo, s4
	s_cbranch_execnz .LBB45_9
; %bb.10:
	s_or_b32 exec_lo, exec_lo, s4
.LBB45_11:
	s_wait_alu 0xfffe
	s_or_b32 exec_lo, exec_lo, s3
	s_cbranch_execz .LBB45_13
	s_branch .LBB45_18
.LBB45_12:
                                        ; implicit-def: $vgpr6_vgpr7
                                        ; implicit-def: $vgpr8_vgpr9
                                        ; implicit-def: $vgpr10_vgpr11
                                        ; implicit-def: $vgpr12_vgpr13
.LBB45_13:
	v_mov_b32_e32 v6, 0
	v_dual_mov_b32 v10, 0 :: v_dual_mov_b32 v7, 0
	v_dual_mov_b32 v8, 0 :: v_dual_mov_b32 v11, 0
	;; [unrolled: 1-line block ×3, first 2 shown]
	v_mov_b32_e32 v13, 0
	s_and_saveexec_b32 s3, s2
	s_cbranch_execz .LBB45_17
; %bb.14:
	v_mov_b32_e32 v6, 0
	v_mov_b32_e32 v8, 0
	;; [unrolled: 1-line block ×3, first 2 shown]
	v_dual_mov_b32 v12, 0 :: v_dual_mov_b32 v17, 0
	v_dual_mov_b32 v7, 0 :: v_dual_lshlrev_b32 v16, 3, v14
	v_mov_b32_e32 v9, 0
	v_mov_b32_e32 v11, 0
	;; [unrolled: 1-line block ×3, first 2 shown]
	s_mov_b32 s2, 0
.LBB45_15:                              ; =>This Inner Loop Header: Depth=1
	v_ashrrev_i32_e32 v15, 31, v14
	s_delay_alu instid0(VALU_DEP_1) | instskip(SKIP_1) | instid1(VALU_DEP_2)
	v_lshlrev_b64_e32 v[20:21], 2, v[14:15]
	v_add_nc_u32_e32 v14, 32, v14
	v_add_co_u32 v20, vcc_lo, s6, v20
	s_wait_alu 0xfffd
	s_delay_alu instid0(VALU_DEP_3) | instskip(SKIP_3) | instid1(VALU_DEP_2)
	v_add_co_ci_u32_e64 v21, null, s7, v21, vcc_lo
	global_load_b32 v15, v[20:21], off
	v_lshlrev_b64_e32 v[20:21], 3, v[16:17]
	v_add_nc_u32_e32 v16, 0x100, v16
	v_add_co_u32 v34, vcc_lo, s8, v20
	s_wait_alu 0xfffd
	s_delay_alu instid0(VALU_DEP_3)
	v_add_co_ci_u32_e64 v35, null, s9, v21, vcc_lo
	s_clause 0x2
	global_load_b128 v[20:23], v[34:35], off offset:48
	global_load_b128 v[24:27], v[34:35], off offset:32
	;; [unrolled: 1-line block ×3, first 2 shown]
	s_wait_loadcnt 0x3
	v_subrev_nc_u32_e32 v15, s12, v15
	s_delay_alu instid0(VALU_DEP_1) | instskip(NEXT) | instid1(VALU_DEP_1)
	v_dual_mov_b32 v33, v17 :: v_dual_lshlrev_b32 v32, 1, v15
	v_lshlrev_b64_e32 v[32:33], 3, v[32:33]
	s_delay_alu instid0(VALU_DEP_1) | instskip(SKIP_1) | instid1(VALU_DEP_2)
	v_add_co_u32 v36, vcc_lo, s10, v32
	s_wait_alu 0xfffd
	v_add_co_ci_u32_e64 v37, null, s11, v33, vcc_lo
	v_cmp_ge_i32_e32 vcc_lo, v14, v19
	global_load_b128 v[32:35], v[34:35], off
	global_load_b128 v[36:39], v[36:37], off
	s_wait_alu 0xfffe
	s_or_b32 s2, vcc_lo, s2
	s_wait_loadcnt 0x0
	v_fma_f64 v[6:7], v[32:33], v[36:37], v[6:7]
	v_fma_f64 v[12:13], v[28:29], v[36:37], v[12:13]
	;; [unrolled: 1-line block ×4, first 2 shown]
	s_delay_alu instid0(VALU_DEP_4) | instskip(NEXT) | instid1(VALU_DEP_4)
	v_fma_f64 v[6:7], v[34:35], v[38:39], v[6:7]
	v_fma_f64 v[12:13], v[30:31], v[38:39], v[12:13]
	s_delay_alu instid0(VALU_DEP_4) | instskip(NEXT) | instid1(VALU_DEP_4)
	v_fma_f64 v[10:11], v[26:27], v[38:39], v[10:11]
	v_fma_f64 v[8:9], v[22:23], v[38:39], v[8:9]
	s_wait_alu 0xfffe
	s_and_not1_b32 exec_lo, exec_lo, s2
	s_cbranch_execnz .LBB45_15
; %bb.16:
	s_or_b32 exec_lo, exec_lo, s2
.LBB45_17:
	s_wait_alu 0xfffe
	s_or_b32 exec_lo, exec_lo, s3
.LBB45_18:
	v_mbcnt_lo_u32_b32 v24, -1, 0
	s_delay_alu instid0(VALU_DEP_1) | instskip(NEXT) | instid1(VALU_DEP_1)
	v_xor_b32_e32 v14, 16, v24
	v_cmp_gt_i32_e32 vcc_lo, 32, v14
	s_wait_alu 0xfffd
	v_cndmask_b32_e32 v14, v24, v14, vcc_lo
	s_delay_alu instid0(VALU_DEP_1)
	v_lshlrev_b32_e32 v21, 2, v14
	ds_bpermute_b32 v14, v21, v6
	ds_bpermute_b32 v15, v21, v7
	;; [unrolled: 1-line block ×8, first 2 shown]
	s_wait_dscnt 0x6
	v_add_f64_e32 v[6:7], v[6:7], v[14:15]
	v_xor_b32_e32 v14, 8, v24
	s_wait_dscnt 0x4
	v_add_f64_e32 v[12:13], v[12:13], v[16:17]
	s_wait_dscnt 0x2
	v_add_f64_e32 v[10:11], v[10:11], v[18:19]
	;; [unrolled: 2-line block ×3, first 2 shown]
	v_cmp_gt_i32_e32 vcc_lo, 32, v14
	s_wait_alu 0xfffd
	v_cndmask_b32_e32 v14, v24, v14, vcc_lo
	s_delay_alu instid0(VALU_DEP_1)
	v_lshlrev_b32_e32 v21, 2, v14
	ds_bpermute_b32 v14, v21, v6
	ds_bpermute_b32 v15, v21, v7
	;; [unrolled: 1-line block ×8, first 2 shown]
	s_wait_dscnt 0x6
	v_add_f64_e32 v[6:7], v[6:7], v[14:15]
	v_xor_b32_e32 v14, 4, v24
	s_wait_dscnt 0x4
	v_add_f64_e32 v[12:13], v[12:13], v[16:17]
	s_wait_dscnt 0x2
	v_add_f64_e32 v[10:11], v[10:11], v[18:19]
	;; [unrolled: 2-line block ×3, first 2 shown]
	v_cmp_gt_i32_e32 vcc_lo, 32, v14
	s_wait_alu 0xfffd
	v_cndmask_b32_e32 v14, v24, v14, vcc_lo
	s_delay_alu instid0(VALU_DEP_1)
	v_lshlrev_b32_e32 v21, 2, v14
	ds_bpermute_b32 v14, v21, v6
	ds_bpermute_b32 v15, v21, v7
	;; [unrolled: 1-line block ×8, first 2 shown]
	s_wait_dscnt 0x6
	v_add_f64_e32 v[6:7], v[6:7], v[14:15]
	s_wait_dscnt 0x4
	v_add_f64_e32 v[14:15], v[12:13], v[16:17]
	;; [unrolled: 2-line block ×3, first 2 shown]
	v_xor_b32_e32 v10, 2, v24
	s_wait_dscnt 0x0
	v_add_f64_e32 v[8:9], v[8:9], v[20:21]
	s_delay_alu instid0(VALU_DEP_2) | instskip(SKIP_2) | instid1(VALU_DEP_1)
	v_cmp_gt_i32_e32 vcc_lo, 32, v10
	s_wait_alu 0xfffd
	v_cndmask_b32_e32 v10, v24, v10, vcc_lo
	v_lshlrev_b32_e32 v12, 2, v10
	ds_bpermute_b32 v10, v12, v6
	ds_bpermute_b32 v11, v12, v7
	;; [unrolled: 1-line block ×8, first 2 shown]
	s_wait_dscnt 0x6
	v_add_f64_e32 v[12:13], v[6:7], v[10:11]
	s_wait_dscnt 0x4
	v_add_f64_e32 v[10:11], v[14:15], v[18:19]
	v_xor_b32_e32 v14, 1, v24
	s_wait_dscnt 0x2
	v_add_f64_e32 v[6:7], v[16:17], v[20:21]
	s_wait_dscnt 0x0
	v_add_f64_e32 v[8:9], v[8:9], v[22:23]
	v_cmp_gt_i32_e32 vcc_lo, 32, v14
	s_wait_alu 0xfffd
	v_cndmask_b32_e32 v14, v24, v14, vcc_lo
	v_cmp_eq_u32_e32 vcc_lo, 31, v0
	s_delay_alu instid0(VALU_DEP_2)
	v_lshlrev_b32_e32 v15, 2, v14
	ds_bpermute_b32 v20, v15, v12
	ds_bpermute_b32 v21, v15, v13
	;; [unrolled: 1-line block ×8, first 2 shown]
	s_and_b32 exec_lo, exec_lo, vcc_lo
	s_cbranch_execz .LBB45_23
; %bb.19:
	s_wait_dscnt 0x6
	v_add_f64_e32 v[12:13], v[12:13], v[20:21]
	s_wait_dscnt 0x4
	v_add_f64_e32 v[10:11], v[10:11], v[18:19]
	;; [unrolled: 2-line block ×4, first 2 shown]
	s_load_b64 s[0:1], s[0:1], 0x38
	s_mov_b32 s2, exec_lo
	v_cmpx_eq_f64_e32 0, v[3:4]
	s_wait_alu 0xfffe
	s_xor_b32 s2, exec_lo, s2
	s_cbranch_execz .LBB45_21
; %bb.20:
	v_mul_f64_e32 v[12:13], v[1:2], v[12:13]
	v_mul_f64_e32 v[14:15], v[1:2], v[10:11]
	;; [unrolled: 1-line block ×4, first 2 shown]
	v_lshlrev_b32_e32 v0, 2, v5
                                        ; implicit-def: $vgpr5
                                        ; implicit-def: $vgpr3_vgpr4
                                        ; implicit-def: $vgpr10_vgpr11
	s_delay_alu instid0(VALU_DEP_1) | instskip(NEXT) | instid1(VALU_DEP_1)
	v_ashrrev_i32_e32 v1, 31, v0
	v_lshlrev_b64_e32 v[0:1], 3, v[0:1]
	s_wait_kmcnt 0x0
	s_delay_alu instid0(VALU_DEP_1) | instskip(SKIP_1) | instid1(VALU_DEP_2)
	v_add_co_u32 v0, vcc_lo, s0, v0
	s_wait_alu 0xfffd
	v_add_co_ci_u32_e64 v1, null, s1, v1, vcc_lo
	s_clause 0x1
	global_store_b128 v[0:1], v[12:15], off
	global_store_b128 v[0:1], v[6:9], off offset:16
                                        ; implicit-def: $vgpr1_vgpr2
                                        ; implicit-def: $vgpr12_vgpr13
                                        ; implicit-def: $vgpr6_vgpr7
                                        ; implicit-def: $vgpr8_vgpr9
.LBB45_21:
	s_wait_alu 0xfffe
	s_and_not1_saveexec_b32 s2, s2
	s_cbranch_execz .LBB45_23
; %bb.22:
	v_lshlrev_b32_e32 v14, 2, v5
	v_mul_f64_e32 v[12:13], v[1:2], v[12:13]
	v_mul_f64_e32 v[10:11], v[1:2], v[10:11]
	;; [unrolled: 1-line block ×4, first 2 shown]
	v_ashrrev_i32_e32 v15, 31, v14
	s_delay_alu instid0(VALU_DEP_1) | instskip(SKIP_1) | instid1(VALU_DEP_1)
	v_lshlrev_b64_e32 v[14:15], 3, v[14:15]
	s_wait_kmcnt 0x0
	v_add_co_u32 v22, vcc_lo, s0, v14
	s_wait_alu 0xfffd
	s_delay_alu instid0(VALU_DEP_2)
	v_add_co_ci_u32_e64 v23, null, s1, v15, vcc_lo
	s_clause 0x1
	global_load_b128 v[14:17], v[22:23], off
	global_load_b128 v[18:21], v[22:23], off offset:16
	s_wait_loadcnt 0x1
	v_fma_f64 v[5:6], v[3:4], v[14:15], v[12:13]
	v_fma_f64 v[7:8], v[3:4], v[16:17], v[10:11]
	s_wait_loadcnt 0x0
	v_fma_f64 v[0:1], v[3:4], v[18:19], v[24:25]
	v_fma_f64 v[2:3], v[3:4], v[20:21], v[26:27]
	s_clause 0x1
	global_store_b128 v[22:23], v[5:8], off
	global_store_b128 v[22:23], v[0:3], off offset:16
.LBB45_23:
	s_endpgm
	.section	.rodata,"a",@progbits
	.p2align	6, 0x0
	.amdhsa_kernel _ZN9rocsparseL19gebsrmvn_4xn_kernelILj128ELj2ELj32EdEEvi20rocsparse_direction_NS_24const_host_device_scalarIT2_EEPKiS6_PKS3_S8_S4_PS3_21rocsparse_index_base_b
		.amdhsa_group_segment_fixed_size 0
		.amdhsa_private_segment_fixed_size 0
		.amdhsa_kernarg_size 72
		.amdhsa_user_sgpr_count 2
		.amdhsa_user_sgpr_dispatch_ptr 0
		.amdhsa_user_sgpr_queue_ptr 0
		.amdhsa_user_sgpr_kernarg_segment_ptr 1
		.amdhsa_user_sgpr_dispatch_id 0
		.amdhsa_user_sgpr_private_segment_size 0
		.amdhsa_wavefront_size32 1
		.amdhsa_uses_dynamic_stack 0
		.amdhsa_enable_private_segment 0
		.amdhsa_system_sgpr_workgroup_id_x 1
		.amdhsa_system_sgpr_workgroup_id_y 0
		.amdhsa_system_sgpr_workgroup_id_z 0
		.amdhsa_system_sgpr_workgroup_info 0
		.amdhsa_system_vgpr_workitem_id 0
		.amdhsa_next_free_vgpr 40
		.amdhsa_next_free_sgpr 14
		.amdhsa_reserve_vcc 1
		.amdhsa_float_round_mode_32 0
		.amdhsa_float_round_mode_16_64 0
		.amdhsa_float_denorm_mode_32 3
		.amdhsa_float_denorm_mode_16_64 3
		.amdhsa_fp16_overflow 0
		.amdhsa_workgroup_processor_mode 1
		.amdhsa_memory_ordered 1
		.amdhsa_forward_progress 1
		.amdhsa_inst_pref_size 16
		.amdhsa_round_robin_scheduling 0
		.amdhsa_exception_fp_ieee_invalid_op 0
		.amdhsa_exception_fp_denorm_src 0
		.amdhsa_exception_fp_ieee_div_zero 0
		.amdhsa_exception_fp_ieee_overflow 0
		.amdhsa_exception_fp_ieee_underflow 0
		.amdhsa_exception_fp_ieee_inexact 0
		.amdhsa_exception_int_div_zero 0
	.end_amdhsa_kernel
	.section	.text._ZN9rocsparseL19gebsrmvn_4xn_kernelILj128ELj2ELj32EdEEvi20rocsparse_direction_NS_24const_host_device_scalarIT2_EEPKiS6_PKS3_S8_S4_PS3_21rocsparse_index_base_b,"axG",@progbits,_ZN9rocsparseL19gebsrmvn_4xn_kernelILj128ELj2ELj32EdEEvi20rocsparse_direction_NS_24const_host_device_scalarIT2_EEPKiS6_PKS3_S8_S4_PS3_21rocsparse_index_base_b,comdat
.Lfunc_end45:
	.size	_ZN9rocsparseL19gebsrmvn_4xn_kernelILj128ELj2ELj32EdEEvi20rocsparse_direction_NS_24const_host_device_scalarIT2_EEPKiS6_PKS3_S8_S4_PS3_21rocsparse_index_base_b, .Lfunc_end45-_ZN9rocsparseL19gebsrmvn_4xn_kernelILj128ELj2ELj32EdEEvi20rocsparse_direction_NS_24const_host_device_scalarIT2_EEPKiS6_PKS3_S8_S4_PS3_21rocsparse_index_base_b
                                        ; -- End function
	.set _ZN9rocsparseL19gebsrmvn_4xn_kernelILj128ELj2ELj32EdEEvi20rocsparse_direction_NS_24const_host_device_scalarIT2_EEPKiS6_PKS3_S8_S4_PS3_21rocsparse_index_base_b.num_vgpr, 40
	.set _ZN9rocsparseL19gebsrmvn_4xn_kernelILj128ELj2ELj32EdEEvi20rocsparse_direction_NS_24const_host_device_scalarIT2_EEPKiS6_PKS3_S8_S4_PS3_21rocsparse_index_base_b.num_agpr, 0
	.set _ZN9rocsparseL19gebsrmvn_4xn_kernelILj128ELj2ELj32EdEEvi20rocsparse_direction_NS_24const_host_device_scalarIT2_EEPKiS6_PKS3_S8_S4_PS3_21rocsparse_index_base_b.numbered_sgpr, 14
	.set _ZN9rocsparseL19gebsrmvn_4xn_kernelILj128ELj2ELj32EdEEvi20rocsparse_direction_NS_24const_host_device_scalarIT2_EEPKiS6_PKS3_S8_S4_PS3_21rocsparse_index_base_b.num_named_barrier, 0
	.set _ZN9rocsparseL19gebsrmvn_4xn_kernelILj128ELj2ELj32EdEEvi20rocsparse_direction_NS_24const_host_device_scalarIT2_EEPKiS6_PKS3_S8_S4_PS3_21rocsparse_index_base_b.private_seg_size, 0
	.set _ZN9rocsparseL19gebsrmvn_4xn_kernelILj128ELj2ELj32EdEEvi20rocsparse_direction_NS_24const_host_device_scalarIT2_EEPKiS6_PKS3_S8_S4_PS3_21rocsparse_index_base_b.uses_vcc, 1
	.set _ZN9rocsparseL19gebsrmvn_4xn_kernelILj128ELj2ELj32EdEEvi20rocsparse_direction_NS_24const_host_device_scalarIT2_EEPKiS6_PKS3_S8_S4_PS3_21rocsparse_index_base_b.uses_flat_scratch, 0
	.set _ZN9rocsparseL19gebsrmvn_4xn_kernelILj128ELj2ELj32EdEEvi20rocsparse_direction_NS_24const_host_device_scalarIT2_EEPKiS6_PKS3_S8_S4_PS3_21rocsparse_index_base_b.has_dyn_sized_stack, 0
	.set _ZN9rocsparseL19gebsrmvn_4xn_kernelILj128ELj2ELj32EdEEvi20rocsparse_direction_NS_24const_host_device_scalarIT2_EEPKiS6_PKS3_S8_S4_PS3_21rocsparse_index_base_b.has_recursion, 0
	.set _ZN9rocsparseL19gebsrmvn_4xn_kernelILj128ELj2ELj32EdEEvi20rocsparse_direction_NS_24const_host_device_scalarIT2_EEPKiS6_PKS3_S8_S4_PS3_21rocsparse_index_base_b.has_indirect_call, 0
	.section	.AMDGPU.csdata,"",@progbits
; Kernel info:
; codeLenInByte = 2012
; TotalNumSgprs: 16
; NumVgprs: 40
; ScratchSize: 0
; MemoryBound: 0
; FloatMode: 240
; IeeeMode: 1
; LDSByteSize: 0 bytes/workgroup (compile time only)
; SGPRBlocks: 0
; VGPRBlocks: 4
; NumSGPRsForWavesPerEU: 16
; NumVGPRsForWavesPerEU: 40
; Occupancy: 16
; WaveLimiterHint : 1
; COMPUTE_PGM_RSRC2:SCRATCH_EN: 0
; COMPUTE_PGM_RSRC2:USER_SGPR: 2
; COMPUTE_PGM_RSRC2:TRAP_HANDLER: 0
; COMPUTE_PGM_RSRC2:TGID_X_EN: 1
; COMPUTE_PGM_RSRC2:TGID_Y_EN: 0
; COMPUTE_PGM_RSRC2:TGID_Z_EN: 0
; COMPUTE_PGM_RSRC2:TIDIG_COMP_CNT: 0
	.section	.text._ZN9rocsparseL19gebsrmvn_4xn_kernelILj128ELj2ELj64EdEEvi20rocsparse_direction_NS_24const_host_device_scalarIT2_EEPKiS6_PKS3_S8_S4_PS3_21rocsparse_index_base_b,"axG",@progbits,_ZN9rocsparseL19gebsrmvn_4xn_kernelILj128ELj2ELj64EdEEvi20rocsparse_direction_NS_24const_host_device_scalarIT2_EEPKiS6_PKS3_S8_S4_PS3_21rocsparse_index_base_b,comdat
	.globl	_ZN9rocsparseL19gebsrmvn_4xn_kernelILj128ELj2ELj64EdEEvi20rocsparse_direction_NS_24const_host_device_scalarIT2_EEPKiS6_PKS3_S8_S4_PS3_21rocsparse_index_base_b ; -- Begin function _ZN9rocsparseL19gebsrmvn_4xn_kernelILj128ELj2ELj64EdEEvi20rocsparse_direction_NS_24const_host_device_scalarIT2_EEPKiS6_PKS3_S8_S4_PS3_21rocsparse_index_base_b
	.p2align	8
	.type	_ZN9rocsparseL19gebsrmvn_4xn_kernelILj128ELj2ELj64EdEEvi20rocsparse_direction_NS_24const_host_device_scalarIT2_EEPKiS6_PKS3_S8_S4_PS3_21rocsparse_index_base_b,@function
_ZN9rocsparseL19gebsrmvn_4xn_kernelILj128ELj2ELj64EdEEvi20rocsparse_direction_NS_24const_host_device_scalarIT2_EEPKiS6_PKS3_S8_S4_PS3_21rocsparse_index_base_b: ; @_ZN9rocsparseL19gebsrmvn_4xn_kernelILj128ELj2ELj64EdEEvi20rocsparse_direction_NS_24const_host_device_scalarIT2_EEPKiS6_PKS3_S8_S4_PS3_21rocsparse_index_base_b
; %bb.0:
	s_clause 0x2
	s_load_b64 s[12:13], s[0:1], 0x40
	s_load_b64 s[4:5], s[0:1], 0x8
	;; [unrolled: 1-line block ×3, first 2 shown]
	s_wait_kmcnt 0x0
	s_bitcmp1_b32 s13, 0
	v_dual_mov_b32 v1, s4 :: v_dual_mov_b32 v2, s5
	s_cselect_b32 s6, -1, 0
	s_delay_alu instid0(SALU_CYCLE_1)
	s_and_b32 vcc_lo, exec_lo, s6
	s_xor_b32 s6, s6, -1
	s_cbranch_vccnz .LBB46_2
; %bb.1:
	v_dual_mov_b32 v1, s4 :: v_dual_mov_b32 v2, s5
	flat_load_b64 v[1:2], v[1:2]
.LBB46_2:
	v_dual_mov_b32 v4, s3 :: v_dual_mov_b32 v3, s2
	s_and_not1_b32 vcc_lo, exec_lo, s6
	s_cbranch_vccnz .LBB46_4
; %bb.3:
	v_dual_mov_b32 v4, s3 :: v_dual_mov_b32 v3, s2
	flat_load_b64 v[3:4], v[3:4]
.LBB46_4:
	s_wait_loadcnt_dscnt 0x0
	v_cmp_neq_f64_e32 vcc_lo, 0, v[1:2]
	v_cmp_neq_f64_e64 s2, 1.0, v[3:4]
	s_or_b32 s2, vcc_lo, s2
	s_wait_alu 0xfffe
	s_and_saveexec_b32 s3, s2
	s_cbranch_execz .LBB46_23
; %bb.5:
	s_load_b64 s[2:3], s[0:1], 0x0
	v_lshrrev_b32_e32 v5, 6, v0
	s_delay_alu instid0(VALU_DEP_1) | instskip(SKIP_1) | instid1(VALU_DEP_1)
	v_lshl_or_b32 v5, ttmp9, 1, v5
	s_wait_kmcnt 0x0
	v_cmp_gt_i32_e32 vcc_lo, s2, v5
	s_and_b32 exec_lo, exec_lo, vcc_lo
	s_cbranch_execz .LBB46_23
; %bb.6:
	s_load_b256 s[4:11], s[0:1], 0x10
	v_ashrrev_i32_e32 v6, 31, v5
	v_and_b32_e32 v0, 63, v0
	s_cmp_lg_u32 s3, 0
	s_delay_alu instid0(VALU_DEP_2) | instskip(SKIP_1) | instid1(VALU_DEP_1)
	v_lshlrev_b64_e32 v[6:7], 2, v[5:6]
	s_wait_kmcnt 0x0
	v_add_co_u32 v6, vcc_lo, s4, v6
	s_delay_alu instid0(VALU_DEP_1) | instskip(SKIP_4) | instid1(VALU_DEP_2)
	v_add_co_ci_u32_e64 v7, null, s5, v7, vcc_lo
	global_load_b64 v[6:7], v[6:7], off
	s_wait_loadcnt 0x0
	v_subrev_nc_u32_e32 v6, s12, v6
	v_subrev_nc_u32_e32 v19, s12, v7
	v_add_nc_u32_e32 v14, v6, v0
	s_delay_alu instid0(VALU_DEP_1)
	v_cmp_lt_i32_e64 s2, v14, v19
	s_cbranch_scc0 .LBB46_12
; %bb.7:
	v_mov_b32_e32 v6, 0
	v_dual_mov_b32 v10, 0 :: v_dual_mov_b32 v7, 0
	v_dual_mov_b32 v8, 0 :: v_dual_mov_b32 v11, 0
	;; [unrolled: 1-line block ×3, first 2 shown]
	v_mov_b32_e32 v13, 0
	s_and_saveexec_b32 s3, s2
	s_cbranch_execz .LBB46_11
; %bb.8:
	v_dual_mov_b32 v8, 0 :: v_dual_lshlrev_b32 v15, 3, v14
	v_dual_mov_b32 v6, 0 :: v_dual_mov_b32 v9, 0
	v_mov_b32_e32 v10, 0
	v_dual_mov_b32 v12, 0 :: v_dual_mov_b32 v17, v14
	v_dual_mov_b32 v7, 0 :: v_dual_mov_b32 v16, 0
	v_mov_b32_e32 v11, 0
	v_mov_b32_e32 v13, 0
	s_mov_b32 s4, 0
.LBB46_9:                               ; =>This Inner Loop Header: Depth=1
	v_ashrrev_i32_e32 v18, 31, v17
	s_delay_alu instid0(VALU_DEP_1) | instskip(SKIP_1) | instid1(VALU_DEP_2)
	v_lshlrev_b64_e32 v[20:21], 2, v[17:18]
	v_add_nc_u32_e32 v17, 64, v17
	v_add_co_u32 v20, vcc_lo, s6, v20
	s_wait_alu 0xfffd
	s_delay_alu instid0(VALU_DEP_3) | instskip(SKIP_3) | instid1(VALU_DEP_2)
	v_add_co_ci_u32_e64 v21, null, s7, v21, vcc_lo
	global_load_b32 v18, v[20:21], off
	v_lshlrev_b64_e32 v[20:21], 3, v[15:16]
	v_add_nc_u32_e32 v15, 0x200, v15
	v_add_co_u32 v36, vcc_lo, s8, v20
	s_wait_alu 0xfffd
	s_delay_alu instid0(VALU_DEP_3) | instskip(SKIP_3) | instid1(VALU_DEP_1)
	v_add_co_ci_u32_e64 v37, null, s9, v21, vcc_lo
	global_load_b128 v[20:23], v[36:37], off offset:16
	s_wait_loadcnt 0x1
	v_subrev_nc_u32_e32 v18, s12, v18
	v_dual_mov_b32 v25, v16 :: v_dual_lshlrev_b32 v24, 1, v18
	s_delay_alu instid0(VALU_DEP_1) | instskip(NEXT) | instid1(VALU_DEP_1)
	v_lshlrev_b64_e32 v[24:25], 3, v[24:25]
	v_add_co_u32 v28, vcc_lo, s10, v24
	s_wait_alu 0xfffd
	s_delay_alu instid0(VALU_DEP_2)
	v_add_co_ci_u32_e64 v29, null, s11, v25, vcc_lo
	v_cmp_ge_i32_e32 vcc_lo, v17, v19
	global_load_b128 v[24:27], v[36:37], off
	global_load_b128 v[28:31], v[28:29], off
	s_clause 0x1
	global_load_b128 v[32:35], v[36:37], off offset:32
	global_load_b128 v[36:39], v[36:37], off offset:48
	s_wait_alu 0xfffe
	s_or_b32 s4, vcc_lo, s4
	s_wait_loadcnt 0x2
	v_fma_f64 v[6:7], v[24:25], v[28:29], v[6:7]
	v_fma_f64 v[12:13], v[26:27], v[28:29], v[12:13]
	;; [unrolled: 1-line block ×4, first 2 shown]
	s_wait_loadcnt 0x1
	s_delay_alu instid0(VALU_DEP_4) | instskip(NEXT) | instid1(VALU_DEP_4)
	v_fma_f64 v[6:7], v[32:33], v[30:31], v[6:7]
	v_fma_f64 v[12:13], v[34:35], v[30:31], v[12:13]
	s_wait_loadcnt 0x0
	s_delay_alu instid0(VALU_DEP_4) | instskip(NEXT) | instid1(VALU_DEP_4)
	v_fma_f64 v[10:11], v[36:37], v[30:31], v[10:11]
	v_fma_f64 v[8:9], v[38:39], v[30:31], v[8:9]
	s_wait_alu 0xfffe
	s_and_not1_b32 exec_lo, exec_lo, s4
	s_cbranch_execnz .LBB46_9
; %bb.10:
	s_or_b32 exec_lo, exec_lo, s4
.LBB46_11:
	s_wait_alu 0xfffe
	s_or_b32 exec_lo, exec_lo, s3
	s_cbranch_execz .LBB46_13
	s_branch .LBB46_18
.LBB46_12:
                                        ; implicit-def: $vgpr6_vgpr7
                                        ; implicit-def: $vgpr8_vgpr9
                                        ; implicit-def: $vgpr10_vgpr11
                                        ; implicit-def: $vgpr12_vgpr13
.LBB46_13:
	v_mov_b32_e32 v6, 0
	v_dual_mov_b32 v10, 0 :: v_dual_mov_b32 v7, 0
	v_dual_mov_b32 v8, 0 :: v_dual_mov_b32 v11, 0
	;; [unrolled: 1-line block ×3, first 2 shown]
	v_mov_b32_e32 v13, 0
	s_and_saveexec_b32 s3, s2
	s_cbranch_execz .LBB46_17
; %bb.14:
	v_mov_b32_e32 v6, 0
	v_mov_b32_e32 v8, 0
	;; [unrolled: 1-line block ×3, first 2 shown]
	v_dual_mov_b32 v12, 0 :: v_dual_mov_b32 v17, 0
	v_dual_mov_b32 v7, 0 :: v_dual_lshlrev_b32 v16, 3, v14
	v_mov_b32_e32 v9, 0
	v_mov_b32_e32 v11, 0
	;; [unrolled: 1-line block ×3, first 2 shown]
	s_mov_b32 s2, 0
.LBB46_15:                              ; =>This Inner Loop Header: Depth=1
	v_ashrrev_i32_e32 v15, 31, v14
	s_delay_alu instid0(VALU_DEP_1) | instskip(SKIP_1) | instid1(VALU_DEP_2)
	v_lshlrev_b64_e32 v[20:21], 2, v[14:15]
	v_add_nc_u32_e32 v14, 64, v14
	v_add_co_u32 v20, vcc_lo, s6, v20
	s_wait_alu 0xfffd
	s_delay_alu instid0(VALU_DEP_3) | instskip(SKIP_3) | instid1(VALU_DEP_2)
	v_add_co_ci_u32_e64 v21, null, s7, v21, vcc_lo
	global_load_b32 v15, v[20:21], off
	v_lshlrev_b64_e32 v[20:21], 3, v[16:17]
	v_add_nc_u32_e32 v16, 0x200, v16
	v_add_co_u32 v34, vcc_lo, s8, v20
	s_wait_alu 0xfffd
	s_delay_alu instid0(VALU_DEP_3)
	v_add_co_ci_u32_e64 v35, null, s9, v21, vcc_lo
	s_clause 0x2
	global_load_b128 v[20:23], v[34:35], off offset:48
	global_load_b128 v[24:27], v[34:35], off offset:32
	;; [unrolled: 1-line block ×3, first 2 shown]
	s_wait_loadcnt 0x3
	v_subrev_nc_u32_e32 v15, s12, v15
	s_delay_alu instid0(VALU_DEP_1) | instskip(NEXT) | instid1(VALU_DEP_1)
	v_dual_mov_b32 v33, v17 :: v_dual_lshlrev_b32 v32, 1, v15
	v_lshlrev_b64_e32 v[32:33], 3, v[32:33]
	s_delay_alu instid0(VALU_DEP_1) | instskip(SKIP_1) | instid1(VALU_DEP_2)
	v_add_co_u32 v36, vcc_lo, s10, v32
	s_wait_alu 0xfffd
	v_add_co_ci_u32_e64 v37, null, s11, v33, vcc_lo
	v_cmp_ge_i32_e32 vcc_lo, v14, v19
	global_load_b128 v[32:35], v[34:35], off
	global_load_b128 v[36:39], v[36:37], off
	s_wait_alu 0xfffe
	s_or_b32 s2, vcc_lo, s2
	s_wait_loadcnt 0x0
	v_fma_f64 v[6:7], v[32:33], v[36:37], v[6:7]
	v_fma_f64 v[12:13], v[28:29], v[36:37], v[12:13]
	;; [unrolled: 1-line block ×4, first 2 shown]
	s_delay_alu instid0(VALU_DEP_4) | instskip(NEXT) | instid1(VALU_DEP_4)
	v_fma_f64 v[6:7], v[34:35], v[38:39], v[6:7]
	v_fma_f64 v[12:13], v[30:31], v[38:39], v[12:13]
	s_delay_alu instid0(VALU_DEP_4) | instskip(NEXT) | instid1(VALU_DEP_4)
	v_fma_f64 v[10:11], v[26:27], v[38:39], v[10:11]
	v_fma_f64 v[8:9], v[22:23], v[38:39], v[8:9]
	s_wait_alu 0xfffe
	s_and_not1_b32 exec_lo, exec_lo, s2
	s_cbranch_execnz .LBB46_15
; %bb.16:
	s_or_b32 exec_lo, exec_lo, s2
.LBB46_17:
	s_wait_alu 0xfffe
	s_or_b32 exec_lo, exec_lo, s3
.LBB46_18:
	v_mbcnt_lo_u32_b32 v24, -1, 0
	s_delay_alu instid0(VALU_DEP_1) | instskip(NEXT) | instid1(VALU_DEP_1)
	v_or_b32_e32 v14, 32, v24
	v_cmp_gt_i32_e32 vcc_lo, 32, v14
	s_wait_alu 0xfffd
	v_cndmask_b32_e32 v14, v24, v14, vcc_lo
	s_delay_alu instid0(VALU_DEP_1)
	v_lshlrev_b32_e32 v21, 2, v14
	ds_bpermute_b32 v14, v21, v6
	ds_bpermute_b32 v15, v21, v7
	ds_bpermute_b32 v16, v21, v12
	ds_bpermute_b32 v17, v21, v13
	ds_bpermute_b32 v18, v21, v10
	ds_bpermute_b32 v19, v21, v11
	ds_bpermute_b32 v20, v21, v8
	ds_bpermute_b32 v21, v21, v9
	s_wait_dscnt 0x6
	v_add_f64_e32 v[6:7], v[6:7], v[14:15]
	v_xor_b32_e32 v14, 16, v24
	s_wait_dscnt 0x4
	v_add_f64_e32 v[12:13], v[12:13], v[16:17]
	s_wait_dscnt 0x2
	v_add_f64_e32 v[10:11], v[10:11], v[18:19]
	s_wait_dscnt 0x0
	v_add_f64_e32 v[8:9], v[8:9], v[20:21]
	v_cmp_gt_i32_e32 vcc_lo, 32, v14
	s_wait_alu 0xfffd
	v_cndmask_b32_e32 v14, v24, v14, vcc_lo
	s_delay_alu instid0(VALU_DEP_1)
	v_lshlrev_b32_e32 v21, 2, v14
	ds_bpermute_b32 v14, v21, v6
	ds_bpermute_b32 v15, v21, v7
	ds_bpermute_b32 v16, v21, v12
	ds_bpermute_b32 v17, v21, v13
	ds_bpermute_b32 v18, v21, v10
	ds_bpermute_b32 v19, v21, v11
	ds_bpermute_b32 v20, v21, v8
	ds_bpermute_b32 v21, v21, v9
	s_wait_dscnt 0x6
	v_add_f64_e32 v[6:7], v[6:7], v[14:15]
	v_xor_b32_e32 v14, 8, v24
	s_wait_dscnt 0x4
	v_add_f64_e32 v[12:13], v[12:13], v[16:17]
	s_wait_dscnt 0x2
	v_add_f64_e32 v[10:11], v[10:11], v[18:19]
	s_wait_dscnt 0x0
	v_add_f64_e32 v[8:9], v[8:9], v[20:21]
	v_cmp_gt_i32_e32 vcc_lo, 32, v14
	s_wait_alu 0xfffd
	v_cndmask_b32_e32 v14, v24, v14, vcc_lo
	s_delay_alu instid0(VALU_DEP_1)
	v_lshlrev_b32_e32 v21, 2, v14
	ds_bpermute_b32 v14, v21, v6
	ds_bpermute_b32 v15, v21, v7
	ds_bpermute_b32 v16, v21, v12
	ds_bpermute_b32 v17, v21, v13
	ds_bpermute_b32 v18, v21, v10
	ds_bpermute_b32 v19, v21, v11
	ds_bpermute_b32 v20, v21, v8
	ds_bpermute_b32 v21, v21, v9
	s_wait_dscnt 0x6
	v_add_f64_e32 v[6:7], v[6:7], v[14:15]
	v_xor_b32_e32 v14, 4, v24
	s_wait_dscnt 0x4
	v_add_f64_e32 v[12:13], v[12:13], v[16:17]
	s_wait_dscnt 0x2
	v_add_f64_e32 v[10:11], v[10:11], v[18:19]
	s_wait_dscnt 0x0
	v_add_f64_e32 v[8:9], v[8:9], v[20:21]
	v_cmp_gt_i32_e32 vcc_lo, 32, v14
	s_wait_alu 0xfffd
	v_cndmask_b32_e32 v14, v24, v14, vcc_lo
	s_delay_alu instid0(VALU_DEP_1)
	v_lshlrev_b32_e32 v21, 2, v14
	ds_bpermute_b32 v14, v21, v6
	ds_bpermute_b32 v15, v21, v7
	;; [unrolled: 1-line block ×8, first 2 shown]
	s_wait_dscnt 0x6
	v_add_f64_e32 v[6:7], v[6:7], v[14:15]
	s_wait_dscnt 0x4
	v_add_f64_e32 v[14:15], v[12:13], v[16:17]
	;; [unrolled: 2-line block ×3, first 2 shown]
	v_xor_b32_e32 v10, 2, v24
	s_wait_dscnt 0x0
	v_add_f64_e32 v[8:9], v[8:9], v[20:21]
	s_delay_alu instid0(VALU_DEP_2) | instskip(SKIP_2) | instid1(VALU_DEP_1)
	v_cmp_gt_i32_e32 vcc_lo, 32, v10
	s_wait_alu 0xfffd
	v_cndmask_b32_e32 v10, v24, v10, vcc_lo
	v_lshlrev_b32_e32 v12, 2, v10
	ds_bpermute_b32 v10, v12, v6
	ds_bpermute_b32 v11, v12, v7
	;; [unrolled: 1-line block ×8, first 2 shown]
	s_wait_dscnt 0x6
	v_add_f64_e32 v[12:13], v[6:7], v[10:11]
	s_wait_dscnt 0x4
	v_add_f64_e32 v[10:11], v[14:15], v[18:19]
	v_xor_b32_e32 v14, 1, v24
	s_wait_dscnt 0x2
	v_add_f64_e32 v[6:7], v[16:17], v[20:21]
	s_wait_dscnt 0x0
	v_add_f64_e32 v[8:9], v[8:9], v[22:23]
	v_cmp_gt_i32_e32 vcc_lo, 32, v14
	s_wait_alu 0xfffd
	v_cndmask_b32_e32 v14, v24, v14, vcc_lo
	v_cmp_eq_u32_e32 vcc_lo, 63, v0
	s_delay_alu instid0(VALU_DEP_2)
	v_lshlrev_b32_e32 v15, 2, v14
	ds_bpermute_b32 v20, v15, v12
	ds_bpermute_b32 v21, v15, v13
	ds_bpermute_b32 v18, v15, v10
	ds_bpermute_b32 v19, v15, v11
	ds_bpermute_b32 v16, v15, v6
	ds_bpermute_b32 v17, v15, v7
	ds_bpermute_b32 v14, v15, v8
	ds_bpermute_b32 v15, v15, v9
	s_and_b32 exec_lo, exec_lo, vcc_lo
	s_cbranch_execz .LBB46_23
; %bb.19:
	s_wait_dscnt 0x6
	v_add_f64_e32 v[12:13], v[12:13], v[20:21]
	s_wait_dscnt 0x4
	v_add_f64_e32 v[10:11], v[10:11], v[18:19]
	s_wait_dscnt 0x2
	v_add_f64_e32 v[6:7], v[6:7], v[16:17]
	s_wait_dscnt 0x0
	v_add_f64_e32 v[8:9], v[8:9], v[14:15]
	s_load_b64 s[0:1], s[0:1], 0x38
	s_mov_b32 s2, exec_lo
	v_cmpx_eq_f64_e32 0, v[3:4]
	s_wait_alu 0xfffe
	s_xor_b32 s2, exec_lo, s2
	s_cbranch_execz .LBB46_21
; %bb.20:
	v_mul_f64_e32 v[12:13], v[1:2], v[12:13]
	v_mul_f64_e32 v[14:15], v[1:2], v[10:11]
	;; [unrolled: 1-line block ×4, first 2 shown]
	v_lshlrev_b32_e32 v0, 2, v5
                                        ; implicit-def: $vgpr5
                                        ; implicit-def: $vgpr3_vgpr4
                                        ; implicit-def: $vgpr10_vgpr11
	s_delay_alu instid0(VALU_DEP_1) | instskip(NEXT) | instid1(VALU_DEP_1)
	v_ashrrev_i32_e32 v1, 31, v0
	v_lshlrev_b64_e32 v[0:1], 3, v[0:1]
	s_wait_kmcnt 0x0
	s_delay_alu instid0(VALU_DEP_1) | instskip(SKIP_1) | instid1(VALU_DEP_2)
	v_add_co_u32 v0, vcc_lo, s0, v0
	s_wait_alu 0xfffd
	v_add_co_ci_u32_e64 v1, null, s1, v1, vcc_lo
	s_clause 0x1
	global_store_b128 v[0:1], v[12:15], off
	global_store_b128 v[0:1], v[6:9], off offset:16
                                        ; implicit-def: $vgpr1_vgpr2
                                        ; implicit-def: $vgpr12_vgpr13
                                        ; implicit-def: $vgpr6_vgpr7
                                        ; implicit-def: $vgpr8_vgpr9
.LBB46_21:
	s_wait_alu 0xfffe
	s_and_not1_saveexec_b32 s2, s2
	s_cbranch_execz .LBB46_23
; %bb.22:
	v_lshlrev_b32_e32 v14, 2, v5
	v_mul_f64_e32 v[12:13], v[1:2], v[12:13]
	v_mul_f64_e32 v[10:11], v[1:2], v[10:11]
	;; [unrolled: 1-line block ×4, first 2 shown]
	v_ashrrev_i32_e32 v15, 31, v14
	s_delay_alu instid0(VALU_DEP_1) | instskip(SKIP_1) | instid1(VALU_DEP_1)
	v_lshlrev_b64_e32 v[14:15], 3, v[14:15]
	s_wait_kmcnt 0x0
	v_add_co_u32 v22, vcc_lo, s0, v14
	s_wait_alu 0xfffd
	s_delay_alu instid0(VALU_DEP_2)
	v_add_co_ci_u32_e64 v23, null, s1, v15, vcc_lo
	s_clause 0x1
	global_load_b128 v[14:17], v[22:23], off
	global_load_b128 v[18:21], v[22:23], off offset:16
	s_wait_loadcnt 0x1
	v_fma_f64 v[5:6], v[3:4], v[14:15], v[12:13]
	v_fma_f64 v[7:8], v[3:4], v[16:17], v[10:11]
	s_wait_loadcnt 0x0
	v_fma_f64 v[0:1], v[3:4], v[18:19], v[24:25]
	v_fma_f64 v[2:3], v[3:4], v[20:21], v[26:27]
	s_clause 0x1
	global_store_b128 v[22:23], v[5:8], off
	global_store_b128 v[22:23], v[0:3], off offset:16
.LBB46_23:
	s_endpgm
	.section	.rodata,"a",@progbits
	.p2align	6, 0x0
	.amdhsa_kernel _ZN9rocsparseL19gebsrmvn_4xn_kernelILj128ELj2ELj64EdEEvi20rocsparse_direction_NS_24const_host_device_scalarIT2_EEPKiS6_PKS3_S8_S4_PS3_21rocsparse_index_base_b
		.amdhsa_group_segment_fixed_size 0
		.amdhsa_private_segment_fixed_size 0
		.amdhsa_kernarg_size 72
		.amdhsa_user_sgpr_count 2
		.amdhsa_user_sgpr_dispatch_ptr 0
		.amdhsa_user_sgpr_queue_ptr 0
		.amdhsa_user_sgpr_kernarg_segment_ptr 1
		.amdhsa_user_sgpr_dispatch_id 0
		.amdhsa_user_sgpr_private_segment_size 0
		.amdhsa_wavefront_size32 1
		.amdhsa_uses_dynamic_stack 0
		.amdhsa_enable_private_segment 0
		.amdhsa_system_sgpr_workgroup_id_x 1
		.amdhsa_system_sgpr_workgroup_id_y 0
		.amdhsa_system_sgpr_workgroup_id_z 0
		.amdhsa_system_sgpr_workgroup_info 0
		.amdhsa_system_vgpr_workitem_id 0
		.amdhsa_next_free_vgpr 40
		.amdhsa_next_free_sgpr 14
		.amdhsa_reserve_vcc 1
		.amdhsa_float_round_mode_32 0
		.amdhsa_float_round_mode_16_64 0
		.amdhsa_float_denorm_mode_32 3
		.amdhsa_float_denorm_mode_16_64 3
		.amdhsa_fp16_overflow 0
		.amdhsa_workgroup_processor_mode 1
		.amdhsa_memory_ordered 1
		.amdhsa_forward_progress 1
		.amdhsa_inst_pref_size 17
		.amdhsa_round_robin_scheduling 0
		.amdhsa_exception_fp_ieee_invalid_op 0
		.amdhsa_exception_fp_denorm_src 0
		.amdhsa_exception_fp_ieee_div_zero 0
		.amdhsa_exception_fp_ieee_overflow 0
		.amdhsa_exception_fp_ieee_underflow 0
		.amdhsa_exception_fp_ieee_inexact 0
		.amdhsa_exception_int_div_zero 0
	.end_amdhsa_kernel
	.section	.text._ZN9rocsparseL19gebsrmvn_4xn_kernelILj128ELj2ELj64EdEEvi20rocsparse_direction_NS_24const_host_device_scalarIT2_EEPKiS6_PKS3_S8_S4_PS3_21rocsparse_index_base_b,"axG",@progbits,_ZN9rocsparseL19gebsrmvn_4xn_kernelILj128ELj2ELj64EdEEvi20rocsparse_direction_NS_24const_host_device_scalarIT2_EEPKiS6_PKS3_S8_S4_PS3_21rocsparse_index_base_b,comdat
.Lfunc_end46:
	.size	_ZN9rocsparseL19gebsrmvn_4xn_kernelILj128ELj2ELj64EdEEvi20rocsparse_direction_NS_24const_host_device_scalarIT2_EEPKiS6_PKS3_S8_S4_PS3_21rocsparse_index_base_b, .Lfunc_end46-_ZN9rocsparseL19gebsrmvn_4xn_kernelILj128ELj2ELj64EdEEvi20rocsparse_direction_NS_24const_host_device_scalarIT2_EEPKiS6_PKS3_S8_S4_PS3_21rocsparse_index_base_b
                                        ; -- End function
	.set _ZN9rocsparseL19gebsrmvn_4xn_kernelILj128ELj2ELj64EdEEvi20rocsparse_direction_NS_24const_host_device_scalarIT2_EEPKiS6_PKS3_S8_S4_PS3_21rocsparse_index_base_b.num_vgpr, 40
	.set _ZN9rocsparseL19gebsrmvn_4xn_kernelILj128ELj2ELj64EdEEvi20rocsparse_direction_NS_24const_host_device_scalarIT2_EEPKiS6_PKS3_S8_S4_PS3_21rocsparse_index_base_b.num_agpr, 0
	.set _ZN9rocsparseL19gebsrmvn_4xn_kernelILj128ELj2ELj64EdEEvi20rocsparse_direction_NS_24const_host_device_scalarIT2_EEPKiS6_PKS3_S8_S4_PS3_21rocsparse_index_base_b.numbered_sgpr, 14
	.set _ZN9rocsparseL19gebsrmvn_4xn_kernelILj128ELj2ELj64EdEEvi20rocsparse_direction_NS_24const_host_device_scalarIT2_EEPKiS6_PKS3_S8_S4_PS3_21rocsparse_index_base_b.num_named_barrier, 0
	.set _ZN9rocsparseL19gebsrmvn_4xn_kernelILj128ELj2ELj64EdEEvi20rocsparse_direction_NS_24const_host_device_scalarIT2_EEPKiS6_PKS3_S8_S4_PS3_21rocsparse_index_base_b.private_seg_size, 0
	.set _ZN9rocsparseL19gebsrmvn_4xn_kernelILj128ELj2ELj64EdEEvi20rocsparse_direction_NS_24const_host_device_scalarIT2_EEPKiS6_PKS3_S8_S4_PS3_21rocsparse_index_base_b.uses_vcc, 1
	.set _ZN9rocsparseL19gebsrmvn_4xn_kernelILj128ELj2ELj64EdEEvi20rocsparse_direction_NS_24const_host_device_scalarIT2_EEPKiS6_PKS3_S8_S4_PS3_21rocsparse_index_base_b.uses_flat_scratch, 0
	.set _ZN9rocsparseL19gebsrmvn_4xn_kernelILj128ELj2ELj64EdEEvi20rocsparse_direction_NS_24const_host_device_scalarIT2_EEPKiS6_PKS3_S8_S4_PS3_21rocsparse_index_base_b.has_dyn_sized_stack, 0
	.set _ZN9rocsparseL19gebsrmvn_4xn_kernelILj128ELj2ELj64EdEEvi20rocsparse_direction_NS_24const_host_device_scalarIT2_EEPKiS6_PKS3_S8_S4_PS3_21rocsparse_index_base_b.has_recursion, 0
	.set _ZN9rocsparseL19gebsrmvn_4xn_kernelILj128ELj2ELj64EdEEvi20rocsparse_direction_NS_24const_host_device_scalarIT2_EEPKiS6_PKS3_S8_S4_PS3_21rocsparse_index_base_b.has_indirect_call, 0
	.section	.AMDGPU.csdata,"",@progbits
; Kernel info:
; codeLenInByte = 2132
; TotalNumSgprs: 16
; NumVgprs: 40
; ScratchSize: 0
; MemoryBound: 0
; FloatMode: 240
; IeeeMode: 1
; LDSByteSize: 0 bytes/workgroup (compile time only)
; SGPRBlocks: 0
; VGPRBlocks: 4
; NumSGPRsForWavesPerEU: 16
; NumVGPRsForWavesPerEU: 40
; Occupancy: 16
; WaveLimiterHint : 1
; COMPUTE_PGM_RSRC2:SCRATCH_EN: 0
; COMPUTE_PGM_RSRC2:USER_SGPR: 2
; COMPUTE_PGM_RSRC2:TRAP_HANDLER: 0
; COMPUTE_PGM_RSRC2:TGID_X_EN: 1
; COMPUTE_PGM_RSRC2:TGID_Y_EN: 0
; COMPUTE_PGM_RSRC2:TGID_Z_EN: 0
; COMPUTE_PGM_RSRC2:TIDIG_COMP_CNT: 0
	.section	.text._ZN9rocsparseL19gebsrmvn_4xn_kernelILj128ELj3ELj4EdEEvi20rocsparse_direction_NS_24const_host_device_scalarIT2_EEPKiS6_PKS3_S8_S4_PS3_21rocsparse_index_base_b,"axG",@progbits,_ZN9rocsparseL19gebsrmvn_4xn_kernelILj128ELj3ELj4EdEEvi20rocsparse_direction_NS_24const_host_device_scalarIT2_EEPKiS6_PKS3_S8_S4_PS3_21rocsparse_index_base_b,comdat
	.globl	_ZN9rocsparseL19gebsrmvn_4xn_kernelILj128ELj3ELj4EdEEvi20rocsparse_direction_NS_24const_host_device_scalarIT2_EEPKiS6_PKS3_S8_S4_PS3_21rocsparse_index_base_b ; -- Begin function _ZN9rocsparseL19gebsrmvn_4xn_kernelILj128ELj3ELj4EdEEvi20rocsparse_direction_NS_24const_host_device_scalarIT2_EEPKiS6_PKS3_S8_S4_PS3_21rocsparse_index_base_b
	.p2align	8
	.type	_ZN9rocsparseL19gebsrmvn_4xn_kernelILj128ELj3ELj4EdEEvi20rocsparse_direction_NS_24const_host_device_scalarIT2_EEPKiS6_PKS3_S8_S4_PS3_21rocsparse_index_base_b,@function
_ZN9rocsparseL19gebsrmvn_4xn_kernelILj128ELj3ELj4EdEEvi20rocsparse_direction_NS_24const_host_device_scalarIT2_EEPKiS6_PKS3_S8_S4_PS3_21rocsparse_index_base_b: ; @_ZN9rocsparseL19gebsrmvn_4xn_kernelILj128ELj3ELj4EdEEvi20rocsparse_direction_NS_24const_host_device_scalarIT2_EEPKiS6_PKS3_S8_S4_PS3_21rocsparse_index_base_b
; %bb.0:
	s_clause 0x2
	s_load_b64 s[12:13], s[0:1], 0x40
	s_load_b64 s[4:5], s[0:1], 0x8
	;; [unrolled: 1-line block ×3, first 2 shown]
	s_wait_kmcnt 0x0
	s_bitcmp1_b32 s13, 0
	v_dual_mov_b32 v1, s4 :: v_dual_mov_b32 v2, s5
	s_cselect_b32 s6, -1, 0
	s_delay_alu instid0(SALU_CYCLE_1)
	s_and_b32 vcc_lo, exec_lo, s6
	s_xor_b32 s6, s6, -1
	s_cbranch_vccnz .LBB47_2
; %bb.1:
	v_dual_mov_b32 v1, s4 :: v_dual_mov_b32 v2, s5
	flat_load_b64 v[1:2], v[1:2]
.LBB47_2:
	v_dual_mov_b32 v4, s3 :: v_dual_mov_b32 v3, s2
	s_and_not1_b32 vcc_lo, exec_lo, s6
	s_cbranch_vccnz .LBB47_4
; %bb.3:
	v_dual_mov_b32 v4, s3 :: v_dual_mov_b32 v3, s2
	flat_load_b64 v[3:4], v[3:4]
.LBB47_4:
	s_wait_loadcnt_dscnt 0x0
	v_cmp_neq_f64_e32 vcc_lo, 0, v[1:2]
	v_cmp_neq_f64_e64 s2, 1.0, v[3:4]
	s_or_b32 s2, vcc_lo, s2
	s_wait_alu 0xfffe
	s_and_saveexec_b32 s3, s2
	s_cbranch_execz .LBB47_23
; %bb.5:
	s_load_b64 s[2:3], s[0:1], 0x0
	v_lshrrev_b32_e32 v5, 2, v0
	s_delay_alu instid0(VALU_DEP_1) | instskip(SKIP_1) | instid1(VALU_DEP_1)
	v_lshl_or_b32 v5, ttmp9, 5, v5
	s_wait_kmcnt 0x0
	v_cmp_gt_i32_e32 vcc_lo, s2, v5
	s_and_b32 exec_lo, exec_lo, vcc_lo
	s_cbranch_execz .LBB47_23
; %bb.6:
	s_load_b256 s[4:11], s[0:1], 0x10
	v_ashrrev_i32_e32 v6, 31, v5
	v_and_b32_e32 v0, 3, v0
	s_cmp_lg_u32 s3, 0
	s_delay_alu instid0(VALU_DEP_2) | instskip(SKIP_1) | instid1(VALU_DEP_1)
	v_lshlrev_b64_e32 v[6:7], 2, v[5:6]
	s_wait_kmcnt 0x0
	v_add_co_u32 v6, vcc_lo, s4, v6
	s_delay_alu instid0(VALU_DEP_1) | instskip(SKIP_4) | instid1(VALU_DEP_2)
	v_add_co_ci_u32_e64 v7, null, s5, v7, vcc_lo
	global_load_b64 v[6:7], v[6:7], off
	s_wait_loadcnt 0x0
	v_subrev_nc_u32_e32 v6, s12, v6
	v_subrev_nc_u32_e32 v20, s12, v7
	v_add_nc_u32_e32 v12, v6, v0
	s_delay_alu instid0(VALU_DEP_1)
	v_cmp_lt_i32_e64 s2, v12, v20
	s_cbranch_scc0 .LBB47_12
; %bb.7:
	v_mov_b32_e32 v6, 0
	v_dual_mov_b32 v10, 0 :: v_dual_mov_b32 v7, 0
	v_dual_mov_b32 v8, 0 :: v_dual_mov_b32 v11, 0
	;; [unrolled: 1-line block ×3, first 2 shown]
	v_mov_b32_e32 v15, 0
	s_and_saveexec_b32 s3, s2
	s_cbranch_execz .LBB47_11
; %bb.8:
	v_dual_mov_b32 v6, 0 :: v_dual_mov_b32 v17, 0
	v_mul_lo_u32 v16, v12, 12
	v_dual_mov_b32 v7, 0 :: v_dual_mov_b32 v8, 0
	v_dual_mov_b32 v9, 0 :: v_dual_mov_b32 v10, 0
	;; [unrolled: 1-line block ×4, first 2 shown]
	s_mov_b32 s4, 0
.LBB47_9:                               ; =>This Inner Loop Header: Depth=1
	s_delay_alu instid0(VALU_DEP_1) | instskip(SKIP_2) | instid1(VALU_DEP_3)
	v_ashrrev_i32_e32 v19, 31, v18
	v_dual_mov_b32 v42, v17 :: v_dual_add_nc_u32 v29, 4, v16
	v_dual_mov_b32 v30, v17 :: v_dual_add_nc_u32 v37, 8, v16
	v_lshlrev_b64_e32 v[21:22], 2, v[18:19]
	v_add_nc_u32_e32 v18, 4, v18
	s_delay_alu instid0(VALU_DEP_3) | instskip(NEXT) | instid1(VALU_DEP_3)
	v_lshlrev_b64_e32 v[29:30], 3, v[29:30]
	v_add_co_u32 v21, vcc_lo, s6, v21
	s_wait_alu 0xfffd
	s_delay_alu instid0(VALU_DEP_4) | instskip(SKIP_3) | instid1(VALU_DEP_2)
	v_add_co_ci_u32_e64 v22, null, s7, v22, vcc_lo
	global_load_b32 v13, v[21:22], off
	v_lshlrev_b64_e32 v[21:22], 3, v[16:17]
	v_add_nc_u32_e32 v16, 48, v16
	v_add_co_u32 v25, vcc_lo, s8, v21
	s_wait_alu 0xfffd
	s_delay_alu instid0(VALU_DEP_3) | instskip(SKIP_3) | instid1(VALU_DEP_1)
	v_add_co_ci_u32_e64 v26, null, s9, v22, vcc_lo
	global_load_b128 v[21:24], v[25:26], off offset:16
	s_wait_loadcnt 0x1
	v_subrev_nc_u32_e32 v13, s12, v13
	v_lshl_add_u32 v41, v13, 1, v13
	s_delay_alu instid0(VALU_DEP_1) | instskip(SKIP_2) | instid1(VALU_DEP_3)
	v_dual_mov_b32 v34, v17 :: v_dual_add_nc_u32 v33, 1, v41
	v_lshlrev_b64_e32 v[27:28], 3, v[41:42]
	v_add_nc_u32_e32 v41, 2, v41
	v_lshlrev_b64_e32 v[33:34], 3, v[33:34]
	s_delay_alu instid0(VALU_DEP_3) | instskip(SKIP_1) | instid1(VALU_DEP_4)
	v_add_co_u32 v31, vcc_lo, s10, v27
	s_wait_alu 0xfffd
	v_add_co_ci_u32_e64 v32, null, s11, v28, vcc_lo
	global_load_b128 v[25:28], v[25:26], off
	global_load_b64 v[45:46], v[31:32], off
	v_add_co_u32 v35, vcc_lo, s8, v29
	s_wait_alu 0xfffd
	v_add_co_ci_u32_e64 v36, null, s9, v30, vcc_lo
	v_add_co_u32 v38, vcc_lo, s10, v33
	s_wait_alu 0xfffd
	v_add_co_ci_u32_e64 v39, null, s11, v34, vcc_lo
	s_clause 0x1
	global_load_b128 v[29:32], v[35:36], off offset:16
	global_load_b128 v[33:36], v[35:36], off
	global_load_b64 v[47:48], v[38:39], off
	v_mov_b32_e32 v38, v17
	v_lshlrev_b64_e32 v[41:42], 3, v[41:42]
	s_delay_alu instid0(VALU_DEP_2) | instskip(NEXT) | instid1(VALU_DEP_1)
	v_lshlrev_b64_e32 v[37:38], 3, v[37:38]
	v_add_co_u32 v43, vcc_lo, s8, v37
	s_wait_alu 0xfffd
	s_delay_alu instid0(VALU_DEP_2) | instskip(NEXT) | instid1(VALU_DEP_4)
	v_add_co_ci_u32_e64 v44, null, s9, v38, vcc_lo
	v_add_co_u32 v49, vcc_lo, s10, v41
	s_wait_alu 0xfffd
	v_add_co_ci_u32_e64 v50, null, s11, v42, vcc_lo
	s_clause 0x1
	global_load_b128 v[37:40], v[43:44], off offset:16
	global_load_b128 v[41:44], v[43:44], off
	global_load_b64 v[49:50], v[49:50], off
	v_cmp_ge_i32_e32 vcc_lo, v18, v20
	s_wait_alu 0xfffe
	s_or_b32 s4, vcc_lo, s4
	s_wait_loadcnt 0x6
	v_fma_f64 v[6:7], v[25:26], v[45:46], v[6:7]
	v_fma_f64 v[13:14], v[27:28], v[45:46], v[14:15]
	;; [unrolled: 1-line block ×4, first 2 shown]
	s_wait_loadcnt 0x3
	s_delay_alu instid0(VALU_DEP_4) | instskip(NEXT) | instid1(VALU_DEP_4)
	v_fma_f64 v[6:7], v[33:34], v[47:48], v[6:7]
	v_fma_f64 v[13:14], v[35:36], v[47:48], v[13:14]
	s_delay_alu instid0(VALU_DEP_4) | instskip(NEXT) | instid1(VALU_DEP_4)
	v_fma_f64 v[10:11], v[29:30], v[47:48], v[10:11]
	v_fma_f64 v[8:9], v[31:32], v[47:48], v[8:9]
	s_wait_loadcnt 0x0
	s_delay_alu instid0(VALU_DEP_4) | instskip(NEXT) | instid1(VALU_DEP_4)
	v_fma_f64 v[6:7], v[41:42], v[49:50], v[6:7]
	v_fma_f64 v[14:15], v[43:44], v[49:50], v[13:14]
	s_delay_alu instid0(VALU_DEP_4) | instskip(NEXT) | instid1(VALU_DEP_4)
	v_fma_f64 v[10:11], v[37:38], v[49:50], v[10:11]
	v_fma_f64 v[8:9], v[39:40], v[49:50], v[8:9]
	s_wait_alu 0xfffe
	s_and_not1_b32 exec_lo, exec_lo, s4
	s_cbranch_execnz .LBB47_9
; %bb.10:
	s_or_b32 exec_lo, exec_lo, s4
.LBB47_11:
	s_wait_alu 0xfffe
	s_or_b32 exec_lo, exec_lo, s3
	s_cbranch_execz .LBB47_13
	s_branch .LBB47_18
.LBB47_12:
                                        ; implicit-def: $vgpr6_vgpr7
                                        ; implicit-def: $vgpr8_vgpr9
                                        ; implicit-def: $vgpr10_vgpr11
                                        ; implicit-def: $vgpr14_vgpr15
.LBB47_13:
	v_mov_b32_e32 v6, 0
	v_dual_mov_b32 v10, 0 :: v_dual_mov_b32 v7, 0
	v_dual_mov_b32 v8, 0 :: v_dual_mov_b32 v11, 0
	;; [unrolled: 1-line block ×3, first 2 shown]
	v_mov_b32_e32 v15, 0
	s_and_saveexec_b32 s3, s2
	s_cbranch_execz .LBB47_17
; %bb.14:
	v_mad_co_u64_u32 v[16:17], null, v12, 12, 11
	v_mov_b32_e32 v6, 0
	v_dual_mov_b32 v10, 0 :: v_dual_mov_b32 v7, 0
	v_dual_mov_b32 v8, 0 :: v_dual_mov_b32 v11, 0
	;; [unrolled: 1-line block ×3, first 2 shown]
	v_mov_b32_e32 v15, 0
	v_mov_b32_e32 v19, 0
	s_mov_b32 s2, 0
.LBB47_15:                              ; =>This Inner Loop Header: Depth=1
	v_ashrrev_i32_e32 v13, 31, v12
	s_delay_alu instid0(VALU_DEP_2) | instskip(SKIP_1) | instid1(VALU_DEP_3)
	v_dual_mov_b32 v30, v19 :: v_dual_add_nc_u32 v21, -5, v16
	v_dual_mov_b32 v22, v19 :: v_dual_add_nc_u32 v23, -2, v16
	v_lshlrev_b64_e32 v[17:18], 2, v[12:13]
	v_mov_b32_e32 v24, v19
	v_add_nc_u32_e32 v12, 4, v12
	s_delay_alu instid0(VALU_DEP_4) | instskip(NEXT) | instid1(VALU_DEP_3)
	v_lshlrev_b64_e32 v[21:22], 3, v[21:22]
	v_lshlrev_b64_e32 v[23:24], 3, v[23:24]
	v_add_co_u32 v17, vcc_lo, s6, v17
	s_wait_alu 0xfffd
	v_add_co_ci_u32_e64 v18, null, s7, v18, vcc_lo
	global_load_b32 v13, v[17:18], off
	v_dual_mov_b32 v17, v19 :: v_dual_add_nc_u32 v18, -11, v16
	s_delay_alu instid0(VALU_DEP_1) | instskip(NEXT) | instid1(VALU_DEP_1)
	v_lshlrev_b64_e32 v[25:26], 3, v[18:19]
	v_add_co_u32 v25, vcc_lo, s8, v25
	s_wait_alu 0xfffd
	s_delay_alu instid0(VALU_DEP_2)
	v_add_co_ci_u32_e64 v26, null, s9, v26, vcc_lo
	v_add_co_u32 v31, vcc_lo, s8, v21
	s_wait_alu 0xfffd
	v_add_co_ci_u32_e64 v32, null, s9, v22, vcc_lo
	v_add_co_u32 v33, vcc_lo, s8, v23
	s_wait_alu 0xfffd
	v_add_co_ci_u32_e64 v34, null, s9, v24, vcc_lo
	s_clause 0x3
	global_load_b128 v[21:24], v[25:26], off offset:16
	global_load_b128 v[25:28], v[25:26], off
	global_load_b64 v[31:32], v[31:32], off
	global_load_b64 v[33:34], v[33:34], off
	s_wait_loadcnt 0x4
	v_subrev_nc_u32_e32 v13, s12, v13
	s_delay_alu instid0(VALU_DEP_1) | instskip(NEXT) | instid1(VALU_DEP_1)
	v_lshl_add_u32 v29, v13, 1, v13
	v_lshlrev_b64_e32 v[35:36], 3, v[29:30]
	v_add_nc_u32_e32 v18, 1, v29
	s_delay_alu instid0(VALU_DEP_1) | instskip(NEXT) | instid1(VALU_DEP_3)
	v_lshlrev_b64_e32 v[37:38], 3, v[18:19]
	v_add_co_u32 v35, vcc_lo, s10, v35
	s_wait_alu 0xfffd
	s_delay_alu instid0(VALU_DEP_4) | instskip(SKIP_1) | instid1(VALU_DEP_4)
	v_add_co_ci_u32_e64 v36, null, s11, v36, vcc_lo
	v_add_nc_u32_e32 v18, -7, v16
	v_add_co_u32 v37, vcc_lo, s10, v37
	global_load_b64 v[35:36], v[35:36], off
	s_wait_alu 0xfffd
	v_add_co_ci_u32_e64 v38, null, s11, v38, vcc_lo
	v_lshlrev_b64_e32 v[39:40], 3, v[18:19]
	v_add_nc_u32_e32 v18, -4, v16
	global_load_b64 v[37:38], v[37:38], off
	v_lshlrev_b64_e32 v[41:42], 3, v[18:19]
	v_add_nc_u32_e32 v18, -1, v16
	v_add_co_u32 v39, vcc_lo, s8, v39
	s_wait_alu 0xfffd
	v_add_co_ci_u32_e64 v40, null, s9, v40, vcc_lo
	s_delay_alu instid0(VALU_DEP_3)
	v_lshlrev_b64_e32 v[43:44], 3, v[18:19]
	v_add_co_u32 v41, vcc_lo, s8, v41
	s_wait_alu 0xfffd
	v_add_co_ci_u32_e64 v42, null, s9, v42, vcc_lo
	global_load_b64 v[39:40], v[39:40], off
	v_add_co_u32 v43, vcc_lo, s8, v43
	s_wait_alu 0xfffd
	v_add_co_ci_u32_e64 v44, null, s9, v44, vcc_lo
	s_clause 0x1
	global_load_b64 v[41:42], v[41:42], off
	global_load_b64 v[43:44], v[43:44], off
	v_lshlrev_b64_e32 v[17:18], 3, v[16:17]
	s_delay_alu instid0(VALU_DEP_1) | instskip(SKIP_1) | instid1(VALU_DEP_2)
	v_add_co_u32 v45, vcc_lo, s8, v17
	s_wait_alu 0xfffd
	v_add_co_ci_u32_e64 v46, null, s9, v18, vcc_lo
	v_add_nc_u32_e32 v18, 2, v29
	s_delay_alu instid0(VALU_DEP_1) | instskip(SKIP_1) | instid1(VALU_DEP_1)
	v_lshlrev_b64_e32 v[29:30], 3, v[18:19]
	v_add_nc_u32_e32 v18, -6, v16
	v_lshlrev_b64_e32 v[47:48], 3, v[18:19]
	v_add_nc_u32_e32 v18, -3, v16
	s_delay_alu instid0(VALU_DEP_4) | instskip(SKIP_2) | instid1(VALU_DEP_3)
	v_add_co_u32 v29, vcc_lo, s10, v29
	s_wait_alu 0xfffd
	v_add_co_ci_u32_e64 v30, null, s11, v30, vcc_lo
	v_lshlrev_b64_e32 v[17:18], 3, v[18:19]
	v_add_co_u32 v47, vcc_lo, s8, v47
	s_wait_alu 0xfffd
	v_add_co_ci_u32_e64 v48, null, s9, v48, vcc_lo
	v_add_nc_u32_e32 v16, 48, v16
	s_delay_alu instid0(VALU_DEP_4)
	v_add_co_u32 v17, vcc_lo, s8, v17
	s_wait_alu 0xfffd
	v_add_co_ci_u32_e64 v18, null, s9, v18, vcc_lo
	global_load_b64 v[29:30], v[29:30], off
	s_clause 0x2
	global_load_b64 v[47:48], v[47:48], off
	global_load_b64 v[17:18], v[17:18], off
	;; [unrolled: 1-line block ×3, first 2 shown]
	v_cmp_ge_i32_e32 vcc_lo, v12, v20
	s_wait_alu 0xfffe
	s_or_b32 s2, vcc_lo, s2
	s_wait_loadcnt 0x8
	v_fma_f64 v[6:7], v[25:26], v[35:36], v[6:7]
	v_fma_f64 v[13:14], v[23:24], v[35:36], v[14:15]
	;; [unrolled: 1-line block ×4, first 2 shown]
	s_wait_loadcnt 0x7
	s_delay_alu instid0(VALU_DEP_4) | instskip(SKIP_1) | instid1(VALU_DEP_4)
	v_fma_f64 v[6:7], v[27:28], v[37:38], v[6:7]
	s_wait_loadcnt 0x6
	v_fma_f64 v[13:14], v[39:40], v[37:38], v[13:14]
	s_wait_loadcnt 0x5
	s_delay_alu instid0(VALU_DEP_4) | instskip(SKIP_1) | instid1(VALU_DEP_4)
	v_fma_f64 v[10:11], v[41:42], v[37:38], v[10:11]
	s_wait_loadcnt 0x4
	v_fma_f64 v[8:9], v[43:44], v[37:38], v[8:9]
	;; [unrolled: 5-line block ×4, first 2 shown]
	s_wait_alu 0xfffe
	s_and_not1_b32 exec_lo, exec_lo, s2
	s_cbranch_execnz .LBB47_15
; %bb.16:
	s_or_b32 exec_lo, exec_lo, s2
.LBB47_17:
	s_wait_alu 0xfffe
	s_or_b32 exec_lo, exec_lo, s3
.LBB47_18:
	v_mbcnt_lo_u32_b32 v22, -1, 0
	s_delay_alu instid0(VALU_DEP_1) | instskip(NEXT) | instid1(VALU_DEP_1)
	v_xor_b32_e32 v12, 2, v22
	v_cmp_gt_i32_e32 vcc_lo, 32, v12
	s_wait_alu 0xfffd
	v_cndmask_b32_e32 v12, v22, v12, vcc_lo
	s_delay_alu instid0(VALU_DEP_1)
	v_lshlrev_b32_e32 v21, 2, v12
	ds_bpermute_b32 v12, v21, v6
	ds_bpermute_b32 v13, v21, v7
	;; [unrolled: 1-line block ×4, first 2 shown]
	s_wait_dscnt 0x2
	v_add_f64_e32 v[12:13], v[6:7], v[12:13]
	s_wait_dscnt 0x0
	v_add_f64_e32 v[6:7], v[10:11], v[18:19]
	v_xor_b32_e32 v10, 1, v22
	s_delay_alu instid0(VALU_DEP_1)
	v_cmp_gt_i32_e32 vcc_lo, 32, v10
	s_wait_alu 0xfffd
	v_cndmask_b32_e32 v10, v22, v10, vcc_lo
	ds_bpermute_b32 v16, v21, v14
	ds_bpermute_b32 v17, v21, v15
	;; [unrolled: 1-line block ×4, first 2 shown]
	v_cmp_eq_u32_e32 vcc_lo, 3, v0
	s_wait_dscnt 0x2
	v_add_f64_e32 v[14:15], v[14:15], v[16:17]
	v_lshlrev_b32_e32 v17, 2, v10
	s_wait_dscnt 0x0
	v_add_f64_e32 v[8:9], v[8:9], v[20:21]
	ds_bpermute_b32 v20, v17, v12
	ds_bpermute_b32 v21, v17, v13
	;; [unrolled: 1-line block ×8, first 2 shown]
	s_and_b32 exec_lo, exec_lo, vcc_lo
	s_cbranch_execz .LBB47_23
; %bb.19:
	s_wait_dscnt 0x6
	v_add_f64_e32 v[12:13], v[12:13], v[20:21]
	s_wait_dscnt 0x2
	v_add_f64_e32 v[10:11], v[14:15], v[10:11]
	v_add_f64_e32 v[6:7], v[6:7], v[18:19]
	s_wait_dscnt 0x0
	v_add_f64_e32 v[8:9], v[8:9], v[16:17]
	s_load_b64 s[0:1], s[0:1], 0x38
	s_mov_b32 s2, exec_lo
	v_cmpx_eq_f64_e32 0, v[3:4]
	s_wait_alu 0xfffe
	s_xor_b32 s2, exec_lo, s2
	s_cbranch_execz .LBB47_21
; %bb.20:
	v_mul_f64_e32 v[12:13], v[1:2], v[12:13]
	v_mul_f64_e32 v[14:15], v[1:2], v[10:11]
	v_mul_f64_e32 v[6:7], v[1:2], v[6:7]
	v_mul_f64_e32 v[8:9], v[1:2], v[8:9]
	v_lshlrev_b32_e32 v0, 2, v5
                                        ; implicit-def: $vgpr5
                                        ; implicit-def: $vgpr3_vgpr4
                                        ; implicit-def: $vgpr10_vgpr11
	s_delay_alu instid0(VALU_DEP_1) | instskip(NEXT) | instid1(VALU_DEP_1)
	v_ashrrev_i32_e32 v1, 31, v0
	v_lshlrev_b64_e32 v[0:1], 3, v[0:1]
	s_wait_kmcnt 0x0
	s_delay_alu instid0(VALU_DEP_1) | instskip(SKIP_1) | instid1(VALU_DEP_2)
	v_add_co_u32 v0, vcc_lo, s0, v0
	s_wait_alu 0xfffd
	v_add_co_ci_u32_e64 v1, null, s1, v1, vcc_lo
	s_clause 0x1
	global_store_b128 v[0:1], v[12:15], off
	global_store_b128 v[0:1], v[6:9], off offset:16
                                        ; implicit-def: $vgpr1_vgpr2
                                        ; implicit-def: $vgpr12_vgpr13
                                        ; implicit-def: $vgpr6_vgpr7
                                        ; implicit-def: $vgpr8_vgpr9
.LBB47_21:
	s_wait_alu 0xfffe
	s_and_not1_saveexec_b32 s2, s2
	s_cbranch_execz .LBB47_23
; %bb.22:
	v_lshlrev_b32_e32 v14, 2, v5
	v_mul_f64_e32 v[12:13], v[1:2], v[12:13]
	v_mul_f64_e32 v[10:11], v[1:2], v[10:11]
	;; [unrolled: 1-line block ×4, first 2 shown]
	v_ashrrev_i32_e32 v15, 31, v14
	s_delay_alu instid0(VALU_DEP_1) | instskip(SKIP_1) | instid1(VALU_DEP_1)
	v_lshlrev_b64_e32 v[14:15], 3, v[14:15]
	s_wait_kmcnt 0x0
	v_add_co_u32 v22, vcc_lo, s0, v14
	s_wait_alu 0xfffd
	s_delay_alu instid0(VALU_DEP_2)
	v_add_co_ci_u32_e64 v23, null, s1, v15, vcc_lo
	s_clause 0x1
	global_load_b128 v[14:17], v[22:23], off
	global_load_b128 v[18:21], v[22:23], off offset:16
	s_wait_loadcnt 0x1
	v_fma_f64 v[5:6], v[3:4], v[14:15], v[12:13]
	v_fma_f64 v[7:8], v[3:4], v[16:17], v[10:11]
	s_wait_loadcnt 0x0
	v_fma_f64 v[0:1], v[3:4], v[18:19], v[24:25]
	v_fma_f64 v[2:3], v[3:4], v[20:21], v[26:27]
	s_clause 0x1
	global_store_b128 v[22:23], v[5:8], off
	global_store_b128 v[22:23], v[0:3], off offset:16
.LBB47_23:
	s_endpgm
	.section	.rodata,"a",@progbits
	.p2align	6, 0x0
	.amdhsa_kernel _ZN9rocsparseL19gebsrmvn_4xn_kernelILj128ELj3ELj4EdEEvi20rocsparse_direction_NS_24const_host_device_scalarIT2_EEPKiS6_PKS3_S8_S4_PS3_21rocsparse_index_base_b
		.amdhsa_group_segment_fixed_size 0
		.amdhsa_private_segment_fixed_size 0
		.amdhsa_kernarg_size 72
		.amdhsa_user_sgpr_count 2
		.amdhsa_user_sgpr_dispatch_ptr 0
		.amdhsa_user_sgpr_queue_ptr 0
		.amdhsa_user_sgpr_kernarg_segment_ptr 1
		.amdhsa_user_sgpr_dispatch_id 0
		.amdhsa_user_sgpr_private_segment_size 0
		.amdhsa_wavefront_size32 1
		.amdhsa_uses_dynamic_stack 0
		.amdhsa_enable_private_segment 0
		.amdhsa_system_sgpr_workgroup_id_x 1
		.amdhsa_system_sgpr_workgroup_id_y 0
		.amdhsa_system_sgpr_workgroup_id_z 0
		.amdhsa_system_sgpr_workgroup_info 0
		.amdhsa_system_vgpr_workitem_id 0
		.amdhsa_next_free_vgpr 51
		.amdhsa_next_free_sgpr 14
		.amdhsa_reserve_vcc 1
		.amdhsa_float_round_mode_32 0
		.amdhsa_float_round_mode_16_64 0
		.amdhsa_float_denorm_mode_32 3
		.amdhsa_float_denorm_mode_16_64 3
		.amdhsa_fp16_overflow 0
		.amdhsa_workgroup_processor_mode 1
		.amdhsa_memory_ordered 1
		.amdhsa_forward_progress 1
		.amdhsa_inst_pref_size 19
		.amdhsa_round_robin_scheduling 0
		.amdhsa_exception_fp_ieee_invalid_op 0
		.amdhsa_exception_fp_denorm_src 0
		.amdhsa_exception_fp_ieee_div_zero 0
		.amdhsa_exception_fp_ieee_overflow 0
		.amdhsa_exception_fp_ieee_underflow 0
		.amdhsa_exception_fp_ieee_inexact 0
		.amdhsa_exception_int_div_zero 0
	.end_amdhsa_kernel
	.section	.text._ZN9rocsparseL19gebsrmvn_4xn_kernelILj128ELj3ELj4EdEEvi20rocsparse_direction_NS_24const_host_device_scalarIT2_EEPKiS6_PKS3_S8_S4_PS3_21rocsparse_index_base_b,"axG",@progbits,_ZN9rocsparseL19gebsrmvn_4xn_kernelILj128ELj3ELj4EdEEvi20rocsparse_direction_NS_24const_host_device_scalarIT2_EEPKiS6_PKS3_S8_S4_PS3_21rocsparse_index_base_b,comdat
.Lfunc_end47:
	.size	_ZN9rocsparseL19gebsrmvn_4xn_kernelILj128ELj3ELj4EdEEvi20rocsparse_direction_NS_24const_host_device_scalarIT2_EEPKiS6_PKS3_S8_S4_PS3_21rocsparse_index_base_b, .Lfunc_end47-_ZN9rocsparseL19gebsrmvn_4xn_kernelILj128ELj3ELj4EdEEvi20rocsparse_direction_NS_24const_host_device_scalarIT2_EEPKiS6_PKS3_S8_S4_PS3_21rocsparse_index_base_b
                                        ; -- End function
	.set _ZN9rocsparseL19gebsrmvn_4xn_kernelILj128ELj3ELj4EdEEvi20rocsparse_direction_NS_24const_host_device_scalarIT2_EEPKiS6_PKS3_S8_S4_PS3_21rocsparse_index_base_b.num_vgpr, 51
	.set _ZN9rocsparseL19gebsrmvn_4xn_kernelILj128ELj3ELj4EdEEvi20rocsparse_direction_NS_24const_host_device_scalarIT2_EEPKiS6_PKS3_S8_S4_PS3_21rocsparse_index_base_b.num_agpr, 0
	.set _ZN9rocsparseL19gebsrmvn_4xn_kernelILj128ELj3ELj4EdEEvi20rocsparse_direction_NS_24const_host_device_scalarIT2_EEPKiS6_PKS3_S8_S4_PS3_21rocsparse_index_base_b.numbered_sgpr, 14
	.set _ZN9rocsparseL19gebsrmvn_4xn_kernelILj128ELj3ELj4EdEEvi20rocsparse_direction_NS_24const_host_device_scalarIT2_EEPKiS6_PKS3_S8_S4_PS3_21rocsparse_index_base_b.num_named_barrier, 0
	.set _ZN9rocsparseL19gebsrmvn_4xn_kernelILj128ELj3ELj4EdEEvi20rocsparse_direction_NS_24const_host_device_scalarIT2_EEPKiS6_PKS3_S8_S4_PS3_21rocsparse_index_base_b.private_seg_size, 0
	.set _ZN9rocsparseL19gebsrmvn_4xn_kernelILj128ELj3ELj4EdEEvi20rocsparse_direction_NS_24const_host_device_scalarIT2_EEPKiS6_PKS3_S8_S4_PS3_21rocsparse_index_base_b.uses_vcc, 1
	.set _ZN9rocsparseL19gebsrmvn_4xn_kernelILj128ELj3ELj4EdEEvi20rocsparse_direction_NS_24const_host_device_scalarIT2_EEPKiS6_PKS3_S8_S4_PS3_21rocsparse_index_base_b.uses_flat_scratch, 0
	.set _ZN9rocsparseL19gebsrmvn_4xn_kernelILj128ELj3ELj4EdEEvi20rocsparse_direction_NS_24const_host_device_scalarIT2_EEPKiS6_PKS3_S8_S4_PS3_21rocsparse_index_base_b.has_dyn_sized_stack, 0
	.set _ZN9rocsparseL19gebsrmvn_4xn_kernelILj128ELj3ELj4EdEEvi20rocsparse_direction_NS_24const_host_device_scalarIT2_EEPKiS6_PKS3_S8_S4_PS3_21rocsparse_index_base_b.has_recursion, 0
	.set _ZN9rocsparseL19gebsrmvn_4xn_kernelILj128ELj3ELj4EdEEvi20rocsparse_direction_NS_24const_host_device_scalarIT2_EEPKiS6_PKS3_S8_S4_PS3_21rocsparse_index_base_b.has_indirect_call, 0
	.section	.AMDGPU.csdata,"",@progbits
; Kernel info:
; codeLenInByte = 2380
; TotalNumSgprs: 16
; NumVgprs: 51
; ScratchSize: 0
; MemoryBound: 0
; FloatMode: 240
; IeeeMode: 1
; LDSByteSize: 0 bytes/workgroup (compile time only)
; SGPRBlocks: 0
; VGPRBlocks: 6
; NumSGPRsForWavesPerEU: 16
; NumVGPRsForWavesPerEU: 51
; Occupancy: 16
; WaveLimiterHint : 1
; COMPUTE_PGM_RSRC2:SCRATCH_EN: 0
; COMPUTE_PGM_RSRC2:USER_SGPR: 2
; COMPUTE_PGM_RSRC2:TRAP_HANDLER: 0
; COMPUTE_PGM_RSRC2:TGID_X_EN: 1
; COMPUTE_PGM_RSRC2:TGID_Y_EN: 0
; COMPUTE_PGM_RSRC2:TGID_Z_EN: 0
; COMPUTE_PGM_RSRC2:TIDIG_COMP_CNT: 0
	.section	.text._ZN9rocsparseL19gebsrmvn_4xn_kernelILj128ELj3ELj8EdEEvi20rocsparse_direction_NS_24const_host_device_scalarIT2_EEPKiS6_PKS3_S8_S4_PS3_21rocsparse_index_base_b,"axG",@progbits,_ZN9rocsparseL19gebsrmvn_4xn_kernelILj128ELj3ELj8EdEEvi20rocsparse_direction_NS_24const_host_device_scalarIT2_EEPKiS6_PKS3_S8_S4_PS3_21rocsparse_index_base_b,comdat
	.globl	_ZN9rocsparseL19gebsrmvn_4xn_kernelILj128ELj3ELj8EdEEvi20rocsparse_direction_NS_24const_host_device_scalarIT2_EEPKiS6_PKS3_S8_S4_PS3_21rocsparse_index_base_b ; -- Begin function _ZN9rocsparseL19gebsrmvn_4xn_kernelILj128ELj3ELj8EdEEvi20rocsparse_direction_NS_24const_host_device_scalarIT2_EEPKiS6_PKS3_S8_S4_PS3_21rocsparse_index_base_b
	.p2align	8
	.type	_ZN9rocsparseL19gebsrmvn_4xn_kernelILj128ELj3ELj8EdEEvi20rocsparse_direction_NS_24const_host_device_scalarIT2_EEPKiS6_PKS3_S8_S4_PS3_21rocsparse_index_base_b,@function
_ZN9rocsparseL19gebsrmvn_4xn_kernelILj128ELj3ELj8EdEEvi20rocsparse_direction_NS_24const_host_device_scalarIT2_EEPKiS6_PKS3_S8_S4_PS3_21rocsparse_index_base_b: ; @_ZN9rocsparseL19gebsrmvn_4xn_kernelILj128ELj3ELj8EdEEvi20rocsparse_direction_NS_24const_host_device_scalarIT2_EEPKiS6_PKS3_S8_S4_PS3_21rocsparse_index_base_b
; %bb.0:
	s_clause 0x2
	s_load_b64 s[12:13], s[0:1], 0x40
	s_load_b64 s[4:5], s[0:1], 0x8
	;; [unrolled: 1-line block ×3, first 2 shown]
	s_wait_kmcnt 0x0
	s_bitcmp1_b32 s13, 0
	v_dual_mov_b32 v1, s4 :: v_dual_mov_b32 v2, s5
	s_cselect_b32 s6, -1, 0
	s_delay_alu instid0(SALU_CYCLE_1)
	s_and_b32 vcc_lo, exec_lo, s6
	s_xor_b32 s6, s6, -1
	s_cbranch_vccnz .LBB48_2
; %bb.1:
	v_dual_mov_b32 v1, s4 :: v_dual_mov_b32 v2, s5
	flat_load_b64 v[1:2], v[1:2]
.LBB48_2:
	v_dual_mov_b32 v4, s3 :: v_dual_mov_b32 v3, s2
	s_and_not1_b32 vcc_lo, exec_lo, s6
	s_cbranch_vccnz .LBB48_4
; %bb.3:
	v_dual_mov_b32 v4, s3 :: v_dual_mov_b32 v3, s2
	flat_load_b64 v[3:4], v[3:4]
.LBB48_4:
	s_wait_loadcnt_dscnt 0x0
	v_cmp_neq_f64_e32 vcc_lo, 0, v[1:2]
	v_cmp_neq_f64_e64 s2, 1.0, v[3:4]
	s_or_b32 s2, vcc_lo, s2
	s_wait_alu 0xfffe
	s_and_saveexec_b32 s3, s2
	s_cbranch_execz .LBB48_23
; %bb.5:
	s_load_b64 s[2:3], s[0:1], 0x0
	v_lshrrev_b32_e32 v5, 3, v0
	s_delay_alu instid0(VALU_DEP_1) | instskip(SKIP_1) | instid1(VALU_DEP_1)
	v_lshl_or_b32 v5, ttmp9, 4, v5
	s_wait_kmcnt 0x0
	v_cmp_gt_i32_e32 vcc_lo, s2, v5
	s_and_b32 exec_lo, exec_lo, vcc_lo
	s_cbranch_execz .LBB48_23
; %bb.6:
	s_load_b256 s[4:11], s[0:1], 0x10
	v_ashrrev_i32_e32 v6, 31, v5
	v_and_b32_e32 v0, 7, v0
	s_cmp_lg_u32 s3, 0
	s_delay_alu instid0(VALU_DEP_2) | instskip(SKIP_1) | instid1(VALU_DEP_1)
	v_lshlrev_b64_e32 v[6:7], 2, v[5:6]
	s_wait_kmcnt 0x0
	v_add_co_u32 v6, vcc_lo, s4, v6
	s_delay_alu instid0(VALU_DEP_1) | instskip(SKIP_4) | instid1(VALU_DEP_2)
	v_add_co_ci_u32_e64 v7, null, s5, v7, vcc_lo
	global_load_b64 v[6:7], v[6:7], off
	s_wait_loadcnt 0x0
	v_subrev_nc_u32_e32 v6, s12, v6
	v_subrev_nc_u32_e32 v20, s12, v7
	v_add_nc_u32_e32 v14, v6, v0
	s_delay_alu instid0(VALU_DEP_1)
	v_cmp_lt_i32_e64 s2, v14, v20
	s_cbranch_scc0 .LBB48_12
; %bb.7:
	v_mov_b32_e32 v6, 0
	v_dual_mov_b32 v10, 0 :: v_dual_mov_b32 v7, 0
	v_dual_mov_b32 v8, 0 :: v_dual_mov_b32 v11, 0
	;; [unrolled: 1-line block ×3, first 2 shown]
	v_mov_b32_e32 v13, 0
	s_and_saveexec_b32 s3, s2
	s_cbranch_execz .LBB48_11
; %bb.8:
	v_mul_lo_u32 v15, v14, 12
	v_mov_b32_e32 v6, 0
	v_mov_b32_e32 v8, 0
	;; [unrolled: 1-line block ×3, first 2 shown]
	v_dual_mov_b32 v12, 0 :: v_dual_mov_b32 v17, v14
	v_dual_mov_b32 v7, 0 :: v_dual_mov_b32 v16, 0
	v_mov_b32_e32 v9, 0
	v_mov_b32_e32 v11, 0
	;; [unrolled: 1-line block ×3, first 2 shown]
	s_mov_b32 s4, 0
.LBB48_9:                               ; =>This Inner Loop Header: Depth=1
	v_ashrrev_i32_e32 v18, 31, v17
	v_dual_mov_b32 v42, v16 :: v_dual_add_nc_u32 v29, 4, v15
	v_dual_mov_b32 v30, v16 :: v_dual_add_nc_u32 v37, 8, v15
	s_delay_alu instid0(VALU_DEP_3) | instskip(SKIP_1) | instid1(VALU_DEP_3)
	v_lshlrev_b64_e32 v[18:19], 2, v[17:18]
	v_add_nc_u32_e32 v17, 8, v17
	v_lshlrev_b64_e32 v[29:30], 3, v[29:30]
	s_delay_alu instid0(VALU_DEP_3) | instskip(SKIP_1) | instid1(VALU_DEP_4)
	v_add_co_u32 v18, vcc_lo, s6, v18
	s_wait_alu 0xfffd
	v_add_co_ci_u32_e64 v19, null, s7, v19, vcc_lo
	global_load_b32 v25, v[18:19], off
	v_lshlrev_b64_e32 v[18:19], 3, v[15:16]
	v_add_nc_u32_e32 v15, 0x60, v15
	s_delay_alu instid0(VALU_DEP_2) | instskip(SKIP_1) | instid1(VALU_DEP_3)
	v_add_co_u32 v18, vcc_lo, s8, v18
	s_wait_alu 0xfffd
	v_add_co_ci_u32_e64 v19, null, s9, v19, vcc_lo
	global_load_b128 v[21:24], v[18:19], off offset:16
	s_wait_loadcnt 0x1
	v_subrev_nc_u32_e32 v25, s12, v25
	s_delay_alu instid0(VALU_DEP_1) | instskip(NEXT) | instid1(VALU_DEP_1)
	v_lshl_add_u32 v41, v25, 1, v25
	v_dual_mov_b32 v34, v16 :: v_dual_add_nc_u32 v33, 1, v41
	v_lshlrev_b64_e32 v[25:26], 3, v[41:42]
	v_add_nc_u32_e32 v41, 2, v41
	s_delay_alu instid0(VALU_DEP_3) | instskip(NEXT) | instid1(VALU_DEP_3)
	v_lshlrev_b64_e32 v[33:34], 3, v[33:34]
	v_add_co_u32 v31, vcc_lo, s10, v25
	s_wait_alu 0xfffd
	s_delay_alu instid0(VALU_DEP_4)
	v_add_co_ci_u32_e64 v32, null, s11, v26, vcc_lo
	global_load_b128 v[25:28], v[18:19], off
	global_load_b64 v[18:19], v[31:32], off
	v_add_co_u32 v35, vcc_lo, s8, v29
	s_wait_alu 0xfffd
	v_add_co_ci_u32_e64 v36, null, s9, v30, vcc_lo
	v_add_co_u32 v38, vcc_lo, s10, v33
	s_wait_alu 0xfffd
	v_add_co_ci_u32_e64 v39, null, s11, v34, vcc_lo
	s_clause 0x1
	global_load_b128 v[29:32], v[35:36], off offset:16
	global_load_b128 v[33:36], v[35:36], off
	global_load_b64 v[45:46], v[38:39], off
	v_mov_b32_e32 v38, v16
	v_lshlrev_b64_e32 v[41:42], 3, v[41:42]
	s_delay_alu instid0(VALU_DEP_2) | instskip(NEXT) | instid1(VALU_DEP_1)
	v_lshlrev_b64_e32 v[37:38], 3, v[37:38]
	v_add_co_u32 v43, vcc_lo, s8, v37
	s_wait_alu 0xfffd
	s_delay_alu instid0(VALU_DEP_2) | instskip(NEXT) | instid1(VALU_DEP_4)
	v_add_co_ci_u32_e64 v44, null, s9, v38, vcc_lo
	v_add_co_u32 v47, vcc_lo, s10, v41
	s_wait_alu 0xfffd
	v_add_co_ci_u32_e64 v48, null, s11, v42, vcc_lo
	s_clause 0x1
	global_load_b128 v[37:40], v[43:44], off offset:16
	global_load_b128 v[41:44], v[43:44], off
	global_load_b64 v[47:48], v[47:48], off
	v_cmp_ge_i32_e32 vcc_lo, v17, v20
	s_wait_alu 0xfffe
	s_or_b32 s4, vcc_lo, s4
	s_wait_loadcnt 0x6
	v_fma_f64 v[6:7], v[25:26], v[18:19], v[6:7]
	v_fma_f64 v[12:13], v[27:28], v[18:19], v[12:13]
	v_fma_f64 v[10:11], v[21:22], v[18:19], v[10:11]
	v_fma_f64 v[8:9], v[23:24], v[18:19], v[8:9]
	s_wait_loadcnt 0x3
	s_delay_alu instid0(VALU_DEP_4) | instskip(NEXT) | instid1(VALU_DEP_4)
	v_fma_f64 v[6:7], v[33:34], v[45:46], v[6:7]
	v_fma_f64 v[12:13], v[35:36], v[45:46], v[12:13]
	s_delay_alu instid0(VALU_DEP_4) | instskip(NEXT) | instid1(VALU_DEP_4)
	v_fma_f64 v[10:11], v[29:30], v[45:46], v[10:11]
	v_fma_f64 v[8:9], v[31:32], v[45:46], v[8:9]
	s_wait_loadcnt 0x0
	s_delay_alu instid0(VALU_DEP_4) | instskip(NEXT) | instid1(VALU_DEP_4)
	v_fma_f64 v[6:7], v[41:42], v[47:48], v[6:7]
	v_fma_f64 v[12:13], v[43:44], v[47:48], v[12:13]
	s_delay_alu instid0(VALU_DEP_4) | instskip(NEXT) | instid1(VALU_DEP_4)
	v_fma_f64 v[10:11], v[37:38], v[47:48], v[10:11]
	v_fma_f64 v[8:9], v[39:40], v[47:48], v[8:9]
	s_wait_alu 0xfffe
	s_and_not1_b32 exec_lo, exec_lo, s4
	s_cbranch_execnz .LBB48_9
; %bb.10:
	s_or_b32 exec_lo, exec_lo, s4
.LBB48_11:
	s_wait_alu 0xfffe
	s_or_b32 exec_lo, exec_lo, s3
	s_cbranch_execz .LBB48_13
	s_branch .LBB48_18
.LBB48_12:
                                        ; implicit-def: $vgpr6_vgpr7
                                        ; implicit-def: $vgpr8_vgpr9
                                        ; implicit-def: $vgpr10_vgpr11
                                        ; implicit-def: $vgpr12_vgpr13
.LBB48_13:
	v_mov_b32_e32 v6, 0
	v_dual_mov_b32 v10, 0 :: v_dual_mov_b32 v7, 0
	v_dual_mov_b32 v8, 0 :: v_dual_mov_b32 v11, 0
	;; [unrolled: 1-line block ×3, first 2 shown]
	v_mov_b32_e32 v13, 0
	s_and_saveexec_b32 s3, s2
	s_cbranch_execz .LBB48_17
; %bb.14:
	v_mad_co_u64_u32 v[16:17], null, v14, 12, 11
	v_mov_b32_e32 v6, 0
	v_dual_mov_b32 v10, 0 :: v_dual_mov_b32 v7, 0
	v_dual_mov_b32 v8, 0 :: v_dual_mov_b32 v11, 0
	;; [unrolled: 1-line block ×3, first 2 shown]
	v_mov_b32_e32 v13, 0
	v_mov_b32_e32 v19, 0
	s_mov_b32 s2, 0
.LBB48_15:                              ; =>This Inner Loop Header: Depth=1
	v_ashrrev_i32_e32 v15, 31, v14
	s_delay_alu instid0(VALU_DEP_2) | instskip(SKIP_1) | instid1(VALU_DEP_3)
	v_dual_mov_b32 v30, v19 :: v_dual_add_nc_u32 v21, -5, v16
	v_dual_mov_b32 v22, v19 :: v_dual_add_nc_u32 v23, -2, v16
	v_lshlrev_b64_e32 v[17:18], 2, v[14:15]
	v_mov_b32_e32 v24, v19
	v_add_nc_u32_e32 v14, 8, v14
	s_delay_alu instid0(VALU_DEP_4) | instskip(NEXT) | instid1(VALU_DEP_3)
	v_lshlrev_b64_e32 v[21:22], 3, v[21:22]
	v_lshlrev_b64_e32 v[23:24], 3, v[23:24]
	v_add_co_u32 v17, vcc_lo, s6, v17
	s_wait_alu 0xfffd
	v_add_co_ci_u32_e64 v18, null, s7, v18, vcc_lo
	global_load_b32 v15, v[17:18], off
	v_dual_mov_b32 v17, v19 :: v_dual_add_nc_u32 v18, -11, v16
	s_delay_alu instid0(VALU_DEP_1) | instskip(NEXT) | instid1(VALU_DEP_1)
	v_lshlrev_b64_e32 v[25:26], 3, v[18:19]
	v_add_co_u32 v25, vcc_lo, s8, v25
	s_wait_alu 0xfffd
	s_delay_alu instid0(VALU_DEP_2)
	v_add_co_ci_u32_e64 v26, null, s9, v26, vcc_lo
	v_add_co_u32 v31, vcc_lo, s8, v21
	s_wait_alu 0xfffd
	v_add_co_ci_u32_e64 v32, null, s9, v22, vcc_lo
	v_add_co_u32 v33, vcc_lo, s8, v23
	s_wait_alu 0xfffd
	v_add_co_ci_u32_e64 v34, null, s9, v24, vcc_lo
	s_clause 0x3
	global_load_b128 v[21:24], v[25:26], off offset:16
	global_load_b128 v[25:28], v[25:26], off
	global_load_b64 v[31:32], v[31:32], off
	global_load_b64 v[33:34], v[33:34], off
	s_wait_loadcnt 0x4
	v_subrev_nc_u32_e32 v15, s12, v15
	s_delay_alu instid0(VALU_DEP_1) | instskip(NEXT) | instid1(VALU_DEP_1)
	v_lshl_add_u32 v29, v15, 1, v15
	v_lshlrev_b64_e32 v[35:36], 3, v[29:30]
	v_add_nc_u32_e32 v18, 1, v29
	s_delay_alu instid0(VALU_DEP_1) | instskip(NEXT) | instid1(VALU_DEP_3)
	v_lshlrev_b64_e32 v[37:38], 3, v[18:19]
	v_add_co_u32 v35, vcc_lo, s10, v35
	s_wait_alu 0xfffd
	s_delay_alu instid0(VALU_DEP_4) | instskip(SKIP_1) | instid1(VALU_DEP_4)
	v_add_co_ci_u32_e64 v36, null, s11, v36, vcc_lo
	v_add_nc_u32_e32 v18, -7, v16
	v_add_co_u32 v37, vcc_lo, s10, v37
	global_load_b64 v[35:36], v[35:36], off
	s_wait_alu 0xfffd
	v_add_co_ci_u32_e64 v38, null, s11, v38, vcc_lo
	v_lshlrev_b64_e32 v[39:40], 3, v[18:19]
	v_add_nc_u32_e32 v18, -4, v16
	global_load_b64 v[37:38], v[37:38], off
	v_lshlrev_b64_e32 v[41:42], 3, v[18:19]
	v_add_nc_u32_e32 v18, -1, v16
	v_add_co_u32 v39, vcc_lo, s8, v39
	s_wait_alu 0xfffd
	v_add_co_ci_u32_e64 v40, null, s9, v40, vcc_lo
	s_delay_alu instid0(VALU_DEP_3)
	v_lshlrev_b64_e32 v[43:44], 3, v[18:19]
	v_add_co_u32 v41, vcc_lo, s8, v41
	s_wait_alu 0xfffd
	v_add_co_ci_u32_e64 v42, null, s9, v42, vcc_lo
	global_load_b64 v[39:40], v[39:40], off
	v_add_co_u32 v43, vcc_lo, s8, v43
	s_wait_alu 0xfffd
	v_add_co_ci_u32_e64 v44, null, s9, v44, vcc_lo
	s_clause 0x1
	global_load_b64 v[41:42], v[41:42], off
	global_load_b64 v[43:44], v[43:44], off
	v_lshlrev_b64_e32 v[17:18], 3, v[16:17]
	s_delay_alu instid0(VALU_DEP_1) | instskip(SKIP_1) | instid1(VALU_DEP_2)
	v_add_co_u32 v45, vcc_lo, s8, v17
	s_wait_alu 0xfffd
	v_add_co_ci_u32_e64 v46, null, s9, v18, vcc_lo
	v_add_nc_u32_e32 v18, 2, v29
	s_delay_alu instid0(VALU_DEP_1) | instskip(SKIP_1) | instid1(VALU_DEP_1)
	v_lshlrev_b64_e32 v[29:30], 3, v[18:19]
	v_add_nc_u32_e32 v18, -6, v16
	v_lshlrev_b64_e32 v[47:48], 3, v[18:19]
	v_add_nc_u32_e32 v18, -3, v16
	s_delay_alu instid0(VALU_DEP_4) | instskip(SKIP_2) | instid1(VALU_DEP_3)
	v_add_co_u32 v29, vcc_lo, s10, v29
	s_wait_alu 0xfffd
	v_add_co_ci_u32_e64 v30, null, s11, v30, vcc_lo
	v_lshlrev_b64_e32 v[17:18], 3, v[18:19]
	v_add_co_u32 v47, vcc_lo, s8, v47
	s_wait_alu 0xfffd
	v_add_co_ci_u32_e64 v48, null, s9, v48, vcc_lo
	v_add_nc_u32_e32 v16, 0x60, v16
	s_delay_alu instid0(VALU_DEP_4)
	v_add_co_u32 v17, vcc_lo, s8, v17
	s_wait_alu 0xfffd
	v_add_co_ci_u32_e64 v18, null, s9, v18, vcc_lo
	global_load_b64 v[29:30], v[29:30], off
	s_clause 0x2
	global_load_b64 v[47:48], v[47:48], off
	global_load_b64 v[17:18], v[17:18], off
	;; [unrolled: 1-line block ×3, first 2 shown]
	v_cmp_ge_i32_e32 vcc_lo, v14, v20
	s_wait_alu 0xfffe
	s_or_b32 s2, vcc_lo, s2
	s_wait_loadcnt 0x8
	v_fma_f64 v[6:7], v[25:26], v[35:36], v[6:7]
	v_fma_f64 v[12:13], v[23:24], v[35:36], v[12:13]
	;; [unrolled: 1-line block ×4, first 2 shown]
	s_wait_loadcnt 0x7
	s_delay_alu instid0(VALU_DEP_4) | instskip(SKIP_1) | instid1(VALU_DEP_4)
	v_fma_f64 v[6:7], v[27:28], v[37:38], v[6:7]
	s_wait_loadcnt 0x6
	v_fma_f64 v[12:13], v[39:40], v[37:38], v[12:13]
	s_wait_loadcnt 0x5
	s_delay_alu instid0(VALU_DEP_4) | instskip(SKIP_1) | instid1(VALU_DEP_4)
	v_fma_f64 v[10:11], v[41:42], v[37:38], v[10:11]
	s_wait_loadcnt 0x4
	v_fma_f64 v[8:9], v[43:44], v[37:38], v[8:9]
	;; [unrolled: 5-line block ×4, first 2 shown]
	s_wait_alu 0xfffe
	s_and_not1_b32 exec_lo, exec_lo, s2
	s_cbranch_execnz .LBB48_15
; %bb.16:
	s_or_b32 exec_lo, exec_lo, s2
.LBB48_17:
	s_wait_alu 0xfffe
	s_or_b32 exec_lo, exec_lo, s3
.LBB48_18:
	v_mbcnt_lo_u32_b32 v24, -1, 0
	s_delay_alu instid0(VALU_DEP_1) | instskip(NEXT) | instid1(VALU_DEP_1)
	v_xor_b32_e32 v14, 4, v24
	v_cmp_gt_i32_e32 vcc_lo, 32, v14
	s_wait_alu 0xfffd
	v_cndmask_b32_e32 v14, v24, v14, vcc_lo
	s_delay_alu instid0(VALU_DEP_1)
	v_lshlrev_b32_e32 v21, 2, v14
	ds_bpermute_b32 v14, v21, v6
	ds_bpermute_b32 v15, v21, v7
	;; [unrolled: 1-line block ×8, first 2 shown]
	s_wait_dscnt 0x6
	v_add_f64_e32 v[6:7], v[6:7], v[14:15]
	s_wait_dscnt 0x4
	v_add_f64_e32 v[14:15], v[12:13], v[16:17]
	;; [unrolled: 2-line block ×3, first 2 shown]
	v_xor_b32_e32 v10, 2, v24
	s_wait_dscnt 0x0
	v_add_f64_e32 v[8:9], v[8:9], v[20:21]
	s_delay_alu instid0(VALU_DEP_2) | instskip(SKIP_2) | instid1(VALU_DEP_1)
	v_cmp_gt_i32_e32 vcc_lo, 32, v10
	s_wait_alu 0xfffd
	v_cndmask_b32_e32 v10, v24, v10, vcc_lo
	v_lshlrev_b32_e32 v12, 2, v10
	ds_bpermute_b32 v10, v12, v6
	ds_bpermute_b32 v11, v12, v7
	ds_bpermute_b32 v18, v12, v14
	ds_bpermute_b32 v19, v12, v15
	ds_bpermute_b32 v20, v12, v16
	ds_bpermute_b32 v21, v12, v17
	ds_bpermute_b32 v22, v12, v8
	ds_bpermute_b32 v23, v12, v9
	s_wait_dscnt 0x6
	v_add_f64_e32 v[12:13], v[6:7], v[10:11]
	s_wait_dscnt 0x4
	v_add_f64_e32 v[10:11], v[14:15], v[18:19]
	v_xor_b32_e32 v14, 1, v24
	s_wait_dscnt 0x2
	v_add_f64_e32 v[6:7], v[16:17], v[20:21]
	s_wait_dscnt 0x0
	v_add_f64_e32 v[8:9], v[8:9], v[22:23]
	v_cmp_gt_i32_e32 vcc_lo, 32, v14
	s_wait_alu 0xfffd
	v_cndmask_b32_e32 v14, v24, v14, vcc_lo
	v_cmp_eq_u32_e32 vcc_lo, 7, v0
	s_delay_alu instid0(VALU_DEP_2)
	v_lshlrev_b32_e32 v15, 2, v14
	ds_bpermute_b32 v20, v15, v12
	ds_bpermute_b32 v21, v15, v13
	;; [unrolled: 1-line block ×8, first 2 shown]
	s_and_b32 exec_lo, exec_lo, vcc_lo
	s_cbranch_execz .LBB48_23
; %bb.19:
	s_wait_dscnt 0x6
	v_add_f64_e32 v[12:13], v[12:13], v[20:21]
	s_wait_dscnt 0x4
	v_add_f64_e32 v[10:11], v[10:11], v[18:19]
	;; [unrolled: 2-line block ×4, first 2 shown]
	s_load_b64 s[0:1], s[0:1], 0x38
	s_mov_b32 s2, exec_lo
	v_cmpx_eq_f64_e32 0, v[3:4]
	s_wait_alu 0xfffe
	s_xor_b32 s2, exec_lo, s2
	s_cbranch_execz .LBB48_21
; %bb.20:
	v_mul_f64_e32 v[12:13], v[1:2], v[12:13]
	v_mul_f64_e32 v[14:15], v[1:2], v[10:11]
	;; [unrolled: 1-line block ×4, first 2 shown]
	v_lshlrev_b32_e32 v0, 2, v5
                                        ; implicit-def: $vgpr5
                                        ; implicit-def: $vgpr3_vgpr4
                                        ; implicit-def: $vgpr10_vgpr11
	s_delay_alu instid0(VALU_DEP_1) | instskip(NEXT) | instid1(VALU_DEP_1)
	v_ashrrev_i32_e32 v1, 31, v0
	v_lshlrev_b64_e32 v[0:1], 3, v[0:1]
	s_wait_kmcnt 0x0
	s_delay_alu instid0(VALU_DEP_1) | instskip(SKIP_1) | instid1(VALU_DEP_2)
	v_add_co_u32 v0, vcc_lo, s0, v0
	s_wait_alu 0xfffd
	v_add_co_ci_u32_e64 v1, null, s1, v1, vcc_lo
	s_clause 0x1
	global_store_b128 v[0:1], v[12:15], off
	global_store_b128 v[0:1], v[6:9], off offset:16
                                        ; implicit-def: $vgpr1_vgpr2
                                        ; implicit-def: $vgpr12_vgpr13
                                        ; implicit-def: $vgpr6_vgpr7
                                        ; implicit-def: $vgpr8_vgpr9
.LBB48_21:
	s_wait_alu 0xfffe
	s_and_not1_saveexec_b32 s2, s2
	s_cbranch_execz .LBB48_23
; %bb.22:
	v_lshlrev_b32_e32 v14, 2, v5
	v_mul_f64_e32 v[12:13], v[1:2], v[12:13]
	v_mul_f64_e32 v[10:11], v[1:2], v[10:11]
	;; [unrolled: 1-line block ×4, first 2 shown]
	v_ashrrev_i32_e32 v15, 31, v14
	s_delay_alu instid0(VALU_DEP_1) | instskip(SKIP_1) | instid1(VALU_DEP_1)
	v_lshlrev_b64_e32 v[14:15], 3, v[14:15]
	s_wait_kmcnt 0x0
	v_add_co_u32 v22, vcc_lo, s0, v14
	s_wait_alu 0xfffd
	s_delay_alu instid0(VALU_DEP_2)
	v_add_co_ci_u32_e64 v23, null, s1, v15, vcc_lo
	s_clause 0x1
	global_load_b128 v[14:17], v[22:23], off
	global_load_b128 v[18:21], v[22:23], off offset:16
	s_wait_loadcnt 0x1
	v_fma_f64 v[5:6], v[3:4], v[14:15], v[12:13]
	v_fma_f64 v[7:8], v[3:4], v[16:17], v[10:11]
	s_wait_loadcnt 0x0
	v_fma_f64 v[0:1], v[3:4], v[18:19], v[24:25]
	v_fma_f64 v[2:3], v[3:4], v[20:21], v[26:27]
	s_clause 0x1
	global_store_b128 v[22:23], v[5:8], off
	global_store_b128 v[22:23], v[0:3], off offset:16
.LBB48_23:
	s_endpgm
	.section	.rodata,"a",@progbits
	.p2align	6, 0x0
	.amdhsa_kernel _ZN9rocsparseL19gebsrmvn_4xn_kernelILj128ELj3ELj8EdEEvi20rocsparse_direction_NS_24const_host_device_scalarIT2_EEPKiS6_PKS3_S8_S4_PS3_21rocsparse_index_base_b
		.amdhsa_group_segment_fixed_size 0
		.amdhsa_private_segment_fixed_size 0
		.amdhsa_kernarg_size 72
		.amdhsa_user_sgpr_count 2
		.amdhsa_user_sgpr_dispatch_ptr 0
		.amdhsa_user_sgpr_queue_ptr 0
		.amdhsa_user_sgpr_kernarg_segment_ptr 1
		.amdhsa_user_sgpr_dispatch_id 0
		.amdhsa_user_sgpr_private_segment_size 0
		.amdhsa_wavefront_size32 1
		.amdhsa_uses_dynamic_stack 0
		.amdhsa_enable_private_segment 0
		.amdhsa_system_sgpr_workgroup_id_x 1
		.amdhsa_system_sgpr_workgroup_id_y 0
		.amdhsa_system_sgpr_workgroup_id_z 0
		.amdhsa_system_sgpr_workgroup_info 0
		.amdhsa_system_vgpr_workitem_id 0
		.amdhsa_next_free_vgpr 49
		.amdhsa_next_free_sgpr 14
		.amdhsa_reserve_vcc 1
		.amdhsa_float_round_mode_32 0
		.amdhsa_float_round_mode_16_64 0
		.amdhsa_float_denorm_mode_32 3
		.amdhsa_float_denorm_mode_16_64 3
		.amdhsa_fp16_overflow 0
		.amdhsa_workgroup_processor_mode 1
		.amdhsa_memory_ordered 1
		.amdhsa_forward_progress 1
		.amdhsa_inst_pref_size 20
		.amdhsa_round_robin_scheduling 0
		.amdhsa_exception_fp_ieee_invalid_op 0
		.amdhsa_exception_fp_denorm_src 0
		.amdhsa_exception_fp_ieee_div_zero 0
		.amdhsa_exception_fp_ieee_overflow 0
		.amdhsa_exception_fp_ieee_underflow 0
		.amdhsa_exception_fp_ieee_inexact 0
		.amdhsa_exception_int_div_zero 0
	.end_amdhsa_kernel
	.section	.text._ZN9rocsparseL19gebsrmvn_4xn_kernelILj128ELj3ELj8EdEEvi20rocsparse_direction_NS_24const_host_device_scalarIT2_EEPKiS6_PKS3_S8_S4_PS3_21rocsparse_index_base_b,"axG",@progbits,_ZN9rocsparseL19gebsrmvn_4xn_kernelILj128ELj3ELj8EdEEvi20rocsparse_direction_NS_24const_host_device_scalarIT2_EEPKiS6_PKS3_S8_S4_PS3_21rocsparse_index_base_b,comdat
.Lfunc_end48:
	.size	_ZN9rocsparseL19gebsrmvn_4xn_kernelILj128ELj3ELj8EdEEvi20rocsparse_direction_NS_24const_host_device_scalarIT2_EEPKiS6_PKS3_S8_S4_PS3_21rocsparse_index_base_b, .Lfunc_end48-_ZN9rocsparseL19gebsrmvn_4xn_kernelILj128ELj3ELj8EdEEvi20rocsparse_direction_NS_24const_host_device_scalarIT2_EEPKiS6_PKS3_S8_S4_PS3_21rocsparse_index_base_b
                                        ; -- End function
	.set _ZN9rocsparseL19gebsrmvn_4xn_kernelILj128ELj3ELj8EdEEvi20rocsparse_direction_NS_24const_host_device_scalarIT2_EEPKiS6_PKS3_S8_S4_PS3_21rocsparse_index_base_b.num_vgpr, 49
	.set _ZN9rocsparseL19gebsrmvn_4xn_kernelILj128ELj3ELj8EdEEvi20rocsparse_direction_NS_24const_host_device_scalarIT2_EEPKiS6_PKS3_S8_S4_PS3_21rocsparse_index_base_b.num_agpr, 0
	.set _ZN9rocsparseL19gebsrmvn_4xn_kernelILj128ELj3ELj8EdEEvi20rocsparse_direction_NS_24const_host_device_scalarIT2_EEPKiS6_PKS3_S8_S4_PS3_21rocsparse_index_base_b.numbered_sgpr, 14
	.set _ZN9rocsparseL19gebsrmvn_4xn_kernelILj128ELj3ELj8EdEEvi20rocsparse_direction_NS_24const_host_device_scalarIT2_EEPKiS6_PKS3_S8_S4_PS3_21rocsparse_index_base_b.num_named_barrier, 0
	.set _ZN9rocsparseL19gebsrmvn_4xn_kernelILj128ELj3ELj8EdEEvi20rocsparse_direction_NS_24const_host_device_scalarIT2_EEPKiS6_PKS3_S8_S4_PS3_21rocsparse_index_base_b.private_seg_size, 0
	.set _ZN9rocsparseL19gebsrmvn_4xn_kernelILj128ELj3ELj8EdEEvi20rocsparse_direction_NS_24const_host_device_scalarIT2_EEPKiS6_PKS3_S8_S4_PS3_21rocsparse_index_base_b.uses_vcc, 1
	.set _ZN9rocsparseL19gebsrmvn_4xn_kernelILj128ELj3ELj8EdEEvi20rocsparse_direction_NS_24const_host_device_scalarIT2_EEPKiS6_PKS3_S8_S4_PS3_21rocsparse_index_base_b.uses_flat_scratch, 0
	.set _ZN9rocsparseL19gebsrmvn_4xn_kernelILj128ELj3ELj8EdEEvi20rocsparse_direction_NS_24const_host_device_scalarIT2_EEPKiS6_PKS3_S8_S4_PS3_21rocsparse_index_base_b.has_dyn_sized_stack, 0
	.set _ZN9rocsparseL19gebsrmvn_4xn_kernelILj128ELj3ELj8EdEEvi20rocsparse_direction_NS_24const_host_device_scalarIT2_EEPKiS6_PKS3_S8_S4_PS3_21rocsparse_index_base_b.has_recursion, 0
	.set _ZN9rocsparseL19gebsrmvn_4xn_kernelILj128ELj3ELj8EdEEvi20rocsparse_direction_NS_24const_host_device_scalarIT2_EEPKiS6_PKS3_S8_S4_PS3_21rocsparse_index_base_b.has_indirect_call, 0
	.section	.AMDGPU.csdata,"",@progbits
; Kernel info:
; codeLenInByte = 2512
; TotalNumSgprs: 16
; NumVgprs: 49
; ScratchSize: 0
; MemoryBound: 0
; FloatMode: 240
; IeeeMode: 1
; LDSByteSize: 0 bytes/workgroup (compile time only)
; SGPRBlocks: 0
; VGPRBlocks: 6
; NumSGPRsForWavesPerEU: 16
; NumVGPRsForWavesPerEU: 49
; Occupancy: 16
; WaveLimiterHint : 1
; COMPUTE_PGM_RSRC2:SCRATCH_EN: 0
; COMPUTE_PGM_RSRC2:USER_SGPR: 2
; COMPUTE_PGM_RSRC2:TRAP_HANDLER: 0
; COMPUTE_PGM_RSRC2:TGID_X_EN: 1
; COMPUTE_PGM_RSRC2:TGID_Y_EN: 0
; COMPUTE_PGM_RSRC2:TGID_Z_EN: 0
; COMPUTE_PGM_RSRC2:TIDIG_COMP_CNT: 0
	.section	.text._ZN9rocsparseL19gebsrmvn_4xn_kernelILj128ELj3ELj16EdEEvi20rocsparse_direction_NS_24const_host_device_scalarIT2_EEPKiS6_PKS3_S8_S4_PS3_21rocsparse_index_base_b,"axG",@progbits,_ZN9rocsparseL19gebsrmvn_4xn_kernelILj128ELj3ELj16EdEEvi20rocsparse_direction_NS_24const_host_device_scalarIT2_EEPKiS6_PKS3_S8_S4_PS3_21rocsparse_index_base_b,comdat
	.globl	_ZN9rocsparseL19gebsrmvn_4xn_kernelILj128ELj3ELj16EdEEvi20rocsparse_direction_NS_24const_host_device_scalarIT2_EEPKiS6_PKS3_S8_S4_PS3_21rocsparse_index_base_b ; -- Begin function _ZN9rocsparseL19gebsrmvn_4xn_kernelILj128ELj3ELj16EdEEvi20rocsparse_direction_NS_24const_host_device_scalarIT2_EEPKiS6_PKS3_S8_S4_PS3_21rocsparse_index_base_b
	.p2align	8
	.type	_ZN9rocsparseL19gebsrmvn_4xn_kernelILj128ELj3ELj16EdEEvi20rocsparse_direction_NS_24const_host_device_scalarIT2_EEPKiS6_PKS3_S8_S4_PS3_21rocsparse_index_base_b,@function
_ZN9rocsparseL19gebsrmvn_4xn_kernelILj128ELj3ELj16EdEEvi20rocsparse_direction_NS_24const_host_device_scalarIT2_EEPKiS6_PKS3_S8_S4_PS3_21rocsparse_index_base_b: ; @_ZN9rocsparseL19gebsrmvn_4xn_kernelILj128ELj3ELj16EdEEvi20rocsparse_direction_NS_24const_host_device_scalarIT2_EEPKiS6_PKS3_S8_S4_PS3_21rocsparse_index_base_b
; %bb.0:
	s_clause 0x2
	s_load_b64 s[12:13], s[0:1], 0x40
	s_load_b64 s[4:5], s[0:1], 0x8
	;; [unrolled: 1-line block ×3, first 2 shown]
	s_wait_kmcnt 0x0
	s_bitcmp1_b32 s13, 0
	v_dual_mov_b32 v1, s4 :: v_dual_mov_b32 v2, s5
	s_cselect_b32 s6, -1, 0
	s_delay_alu instid0(SALU_CYCLE_1)
	s_and_b32 vcc_lo, exec_lo, s6
	s_xor_b32 s6, s6, -1
	s_cbranch_vccnz .LBB49_2
; %bb.1:
	v_dual_mov_b32 v1, s4 :: v_dual_mov_b32 v2, s5
	flat_load_b64 v[1:2], v[1:2]
.LBB49_2:
	v_dual_mov_b32 v4, s3 :: v_dual_mov_b32 v3, s2
	s_and_not1_b32 vcc_lo, exec_lo, s6
	s_cbranch_vccnz .LBB49_4
; %bb.3:
	v_dual_mov_b32 v4, s3 :: v_dual_mov_b32 v3, s2
	flat_load_b64 v[3:4], v[3:4]
.LBB49_4:
	s_wait_loadcnt_dscnt 0x0
	v_cmp_neq_f64_e32 vcc_lo, 0, v[1:2]
	v_cmp_neq_f64_e64 s2, 1.0, v[3:4]
	s_or_b32 s2, vcc_lo, s2
	s_wait_alu 0xfffe
	s_and_saveexec_b32 s3, s2
	s_cbranch_execz .LBB49_23
; %bb.5:
	s_load_b64 s[2:3], s[0:1], 0x0
	v_lshrrev_b32_e32 v5, 4, v0
	s_delay_alu instid0(VALU_DEP_1) | instskip(SKIP_1) | instid1(VALU_DEP_1)
	v_lshl_or_b32 v5, ttmp9, 3, v5
	s_wait_kmcnt 0x0
	v_cmp_gt_i32_e32 vcc_lo, s2, v5
	s_and_b32 exec_lo, exec_lo, vcc_lo
	s_cbranch_execz .LBB49_23
; %bb.6:
	s_load_b256 s[4:11], s[0:1], 0x10
	v_ashrrev_i32_e32 v6, 31, v5
	v_and_b32_e32 v0, 15, v0
	s_cmp_lg_u32 s3, 0
	s_delay_alu instid0(VALU_DEP_2) | instskip(SKIP_1) | instid1(VALU_DEP_1)
	v_lshlrev_b64_e32 v[6:7], 2, v[5:6]
	s_wait_kmcnt 0x0
	v_add_co_u32 v6, vcc_lo, s4, v6
	s_delay_alu instid0(VALU_DEP_1) | instskip(SKIP_4) | instid1(VALU_DEP_2)
	v_add_co_ci_u32_e64 v7, null, s5, v7, vcc_lo
	global_load_b64 v[6:7], v[6:7], off
	s_wait_loadcnt 0x0
	v_subrev_nc_u32_e32 v6, s12, v6
	v_subrev_nc_u32_e32 v20, s12, v7
	v_add_nc_u32_e32 v14, v6, v0
	s_delay_alu instid0(VALU_DEP_1)
	v_cmp_lt_i32_e64 s2, v14, v20
	s_cbranch_scc0 .LBB49_12
; %bb.7:
	v_mov_b32_e32 v6, 0
	v_dual_mov_b32 v10, 0 :: v_dual_mov_b32 v7, 0
	v_dual_mov_b32 v8, 0 :: v_dual_mov_b32 v11, 0
	;; [unrolled: 1-line block ×3, first 2 shown]
	v_mov_b32_e32 v13, 0
	s_and_saveexec_b32 s3, s2
	s_cbranch_execz .LBB49_11
; %bb.8:
	v_mul_lo_u32 v15, v14, 12
	v_mov_b32_e32 v6, 0
	v_mov_b32_e32 v8, 0
	;; [unrolled: 1-line block ×3, first 2 shown]
	v_dual_mov_b32 v12, 0 :: v_dual_mov_b32 v17, v14
	v_dual_mov_b32 v7, 0 :: v_dual_mov_b32 v16, 0
	v_mov_b32_e32 v9, 0
	v_mov_b32_e32 v11, 0
	;; [unrolled: 1-line block ×3, first 2 shown]
	s_mov_b32 s4, 0
.LBB49_9:                               ; =>This Inner Loop Header: Depth=1
	v_ashrrev_i32_e32 v18, 31, v17
	v_dual_mov_b32 v42, v16 :: v_dual_add_nc_u32 v29, 4, v15
	v_dual_mov_b32 v30, v16 :: v_dual_add_nc_u32 v37, 8, v15
	s_delay_alu instid0(VALU_DEP_3) | instskip(SKIP_1) | instid1(VALU_DEP_3)
	v_lshlrev_b64_e32 v[18:19], 2, v[17:18]
	v_add_nc_u32_e32 v17, 16, v17
	v_lshlrev_b64_e32 v[29:30], 3, v[29:30]
	s_delay_alu instid0(VALU_DEP_3) | instskip(SKIP_1) | instid1(VALU_DEP_4)
	v_add_co_u32 v18, vcc_lo, s6, v18
	s_wait_alu 0xfffd
	v_add_co_ci_u32_e64 v19, null, s7, v19, vcc_lo
	global_load_b32 v25, v[18:19], off
	v_lshlrev_b64_e32 v[18:19], 3, v[15:16]
	v_add_nc_u32_e32 v15, 0xc0, v15
	s_delay_alu instid0(VALU_DEP_2) | instskip(SKIP_1) | instid1(VALU_DEP_3)
	v_add_co_u32 v18, vcc_lo, s8, v18
	s_wait_alu 0xfffd
	v_add_co_ci_u32_e64 v19, null, s9, v19, vcc_lo
	global_load_b128 v[21:24], v[18:19], off offset:16
	s_wait_loadcnt 0x1
	v_subrev_nc_u32_e32 v25, s12, v25
	s_delay_alu instid0(VALU_DEP_1) | instskip(NEXT) | instid1(VALU_DEP_1)
	v_lshl_add_u32 v41, v25, 1, v25
	v_dual_mov_b32 v34, v16 :: v_dual_add_nc_u32 v33, 1, v41
	v_lshlrev_b64_e32 v[25:26], 3, v[41:42]
	v_add_nc_u32_e32 v41, 2, v41
	s_delay_alu instid0(VALU_DEP_3) | instskip(NEXT) | instid1(VALU_DEP_3)
	v_lshlrev_b64_e32 v[33:34], 3, v[33:34]
	v_add_co_u32 v31, vcc_lo, s10, v25
	s_wait_alu 0xfffd
	s_delay_alu instid0(VALU_DEP_4)
	v_add_co_ci_u32_e64 v32, null, s11, v26, vcc_lo
	global_load_b128 v[25:28], v[18:19], off
	global_load_b64 v[18:19], v[31:32], off
	v_add_co_u32 v35, vcc_lo, s8, v29
	s_wait_alu 0xfffd
	v_add_co_ci_u32_e64 v36, null, s9, v30, vcc_lo
	v_add_co_u32 v38, vcc_lo, s10, v33
	s_wait_alu 0xfffd
	v_add_co_ci_u32_e64 v39, null, s11, v34, vcc_lo
	s_clause 0x1
	global_load_b128 v[29:32], v[35:36], off offset:16
	global_load_b128 v[33:36], v[35:36], off
	global_load_b64 v[45:46], v[38:39], off
	v_mov_b32_e32 v38, v16
	v_lshlrev_b64_e32 v[41:42], 3, v[41:42]
	s_delay_alu instid0(VALU_DEP_2) | instskip(NEXT) | instid1(VALU_DEP_1)
	v_lshlrev_b64_e32 v[37:38], 3, v[37:38]
	v_add_co_u32 v43, vcc_lo, s8, v37
	s_wait_alu 0xfffd
	s_delay_alu instid0(VALU_DEP_2) | instskip(NEXT) | instid1(VALU_DEP_4)
	v_add_co_ci_u32_e64 v44, null, s9, v38, vcc_lo
	v_add_co_u32 v47, vcc_lo, s10, v41
	s_wait_alu 0xfffd
	v_add_co_ci_u32_e64 v48, null, s11, v42, vcc_lo
	s_clause 0x1
	global_load_b128 v[37:40], v[43:44], off offset:16
	global_load_b128 v[41:44], v[43:44], off
	global_load_b64 v[47:48], v[47:48], off
	v_cmp_ge_i32_e32 vcc_lo, v17, v20
	s_wait_alu 0xfffe
	s_or_b32 s4, vcc_lo, s4
	s_wait_loadcnt 0x6
	v_fma_f64 v[6:7], v[25:26], v[18:19], v[6:7]
	v_fma_f64 v[12:13], v[27:28], v[18:19], v[12:13]
	;; [unrolled: 1-line block ×4, first 2 shown]
	s_wait_loadcnt 0x3
	s_delay_alu instid0(VALU_DEP_4) | instskip(NEXT) | instid1(VALU_DEP_4)
	v_fma_f64 v[6:7], v[33:34], v[45:46], v[6:7]
	v_fma_f64 v[12:13], v[35:36], v[45:46], v[12:13]
	s_delay_alu instid0(VALU_DEP_4) | instskip(NEXT) | instid1(VALU_DEP_4)
	v_fma_f64 v[10:11], v[29:30], v[45:46], v[10:11]
	v_fma_f64 v[8:9], v[31:32], v[45:46], v[8:9]
	s_wait_loadcnt 0x0
	s_delay_alu instid0(VALU_DEP_4) | instskip(NEXT) | instid1(VALU_DEP_4)
	v_fma_f64 v[6:7], v[41:42], v[47:48], v[6:7]
	v_fma_f64 v[12:13], v[43:44], v[47:48], v[12:13]
	s_delay_alu instid0(VALU_DEP_4) | instskip(NEXT) | instid1(VALU_DEP_4)
	v_fma_f64 v[10:11], v[37:38], v[47:48], v[10:11]
	v_fma_f64 v[8:9], v[39:40], v[47:48], v[8:9]
	s_wait_alu 0xfffe
	s_and_not1_b32 exec_lo, exec_lo, s4
	s_cbranch_execnz .LBB49_9
; %bb.10:
	s_or_b32 exec_lo, exec_lo, s4
.LBB49_11:
	s_wait_alu 0xfffe
	s_or_b32 exec_lo, exec_lo, s3
	s_cbranch_execz .LBB49_13
	s_branch .LBB49_18
.LBB49_12:
                                        ; implicit-def: $vgpr6_vgpr7
                                        ; implicit-def: $vgpr8_vgpr9
                                        ; implicit-def: $vgpr10_vgpr11
                                        ; implicit-def: $vgpr12_vgpr13
.LBB49_13:
	v_mov_b32_e32 v6, 0
	v_dual_mov_b32 v10, 0 :: v_dual_mov_b32 v7, 0
	v_dual_mov_b32 v8, 0 :: v_dual_mov_b32 v11, 0
	;; [unrolled: 1-line block ×3, first 2 shown]
	v_mov_b32_e32 v13, 0
	s_and_saveexec_b32 s3, s2
	s_cbranch_execz .LBB49_17
; %bb.14:
	v_mad_co_u64_u32 v[16:17], null, v14, 12, 11
	v_mov_b32_e32 v6, 0
	v_dual_mov_b32 v10, 0 :: v_dual_mov_b32 v7, 0
	v_dual_mov_b32 v8, 0 :: v_dual_mov_b32 v11, 0
	;; [unrolled: 1-line block ×3, first 2 shown]
	v_mov_b32_e32 v13, 0
	v_mov_b32_e32 v19, 0
	s_mov_b32 s2, 0
.LBB49_15:                              ; =>This Inner Loop Header: Depth=1
	v_ashrrev_i32_e32 v15, 31, v14
	s_delay_alu instid0(VALU_DEP_2) | instskip(SKIP_1) | instid1(VALU_DEP_3)
	v_dual_mov_b32 v30, v19 :: v_dual_add_nc_u32 v21, -5, v16
	v_dual_mov_b32 v22, v19 :: v_dual_add_nc_u32 v23, -2, v16
	v_lshlrev_b64_e32 v[17:18], 2, v[14:15]
	v_mov_b32_e32 v24, v19
	v_add_nc_u32_e32 v14, 16, v14
	s_delay_alu instid0(VALU_DEP_4) | instskip(NEXT) | instid1(VALU_DEP_3)
	v_lshlrev_b64_e32 v[21:22], 3, v[21:22]
	v_lshlrev_b64_e32 v[23:24], 3, v[23:24]
	v_add_co_u32 v17, vcc_lo, s6, v17
	s_wait_alu 0xfffd
	v_add_co_ci_u32_e64 v18, null, s7, v18, vcc_lo
	global_load_b32 v15, v[17:18], off
	v_dual_mov_b32 v17, v19 :: v_dual_add_nc_u32 v18, -11, v16
	s_delay_alu instid0(VALU_DEP_1) | instskip(NEXT) | instid1(VALU_DEP_1)
	v_lshlrev_b64_e32 v[25:26], 3, v[18:19]
	v_add_co_u32 v25, vcc_lo, s8, v25
	s_wait_alu 0xfffd
	s_delay_alu instid0(VALU_DEP_2)
	v_add_co_ci_u32_e64 v26, null, s9, v26, vcc_lo
	v_add_co_u32 v31, vcc_lo, s8, v21
	s_wait_alu 0xfffd
	v_add_co_ci_u32_e64 v32, null, s9, v22, vcc_lo
	v_add_co_u32 v33, vcc_lo, s8, v23
	s_wait_alu 0xfffd
	v_add_co_ci_u32_e64 v34, null, s9, v24, vcc_lo
	s_clause 0x3
	global_load_b128 v[21:24], v[25:26], off offset:16
	global_load_b128 v[25:28], v[25:26], off
	global_load_b64 v[31:32], v[31:32], off
	global_load_b64 v[33:34], v[33:34], off
	s_wait_loadcnt 0x4
	v_subrev_nc_u32_e32 v15, s12, v15
	s_delay_alu instid0(VALU_DEP_1) | instskip(NEXT) | instid1(VALU_DEP_1)
	v_lshl_add_u32 v29, v15, 1, v15
	v_lshlrev_b64_e32 v[35:36], 3, v[29:30]
	v_add_nc_u32_e32 v18, 1, v29
	s_delay_alu instid0(VALU_DEP_1) | instskip(NEXT) | instid1(VALU_DEP_3)
	v_lshlrev_b64_e32 v[37:38], 3, v[18:19]
	v_add_co_u32 v35, vcc_lo, s10, v35
	s_wait_alu 0xfffd
	s_delay_alu instid0(VALU_DEP_4) | instskip(SKIP_1) | instid1(VALU_DEP_4)
	v_add_co_ci_u32_e64 v36, null, s11, v36, vcc_lo
	v_add_nc_u32_e32 v18, -7, v16
	v_add_co_u32 v37, vcc_lo, s10, v37
	global_load_b64 v[35:36], v[35:36], off
	s_wait_alu 0xfffd
	v_add_co_ci_u32_e64 v38, null, s11, v38, vcc_lo
	v_lshlrev_b64_e32 v[39:40], 3, v[18:19]
	v_add_nc_u32_e32 v18, -4, v16
	global_load_b64 v[37:38], v[37:38], off
	v_lshlrev_b64_e32 v[41:42], 3, v[18:19]
	v_add_nc_u32_e32 v18, -1, v16
	v_add_co_u32 v39, vcc_lo, s8, v39
	s_wait_alu 0xfffd
	v_add_co_ci_u32_e64 v40, null, s9, v40, vcc_lo
	s_delay_alu instid0(VALU_DEP_3)
	v_lshlrev_b64_e32 v[43:44], 3, v[18:19]
	v_add_co_u32 v41, vcc_lo, s8, v41
	s_wait_alu 0xfffd
	v_add_co_ci_u32_e64 v42, null, s9, v42, vcc_lo
	global_load_b64 v[39:40], v[39:40], off
	v_add_co_u32 v43, vcc_lo, s8, v43
	s_wait_alu 0xfffd
	v_add_co_ci_u32_e64 v44, null, s9, v44, vcc_lo
	s_clause 0x1
	global_load_b64 v[41:42], v[41:42], off
	global_load_b64 v[43:44], v[43:44], off
	v_lshlrev_b64_e32 v[17:18], 3, v[16:17]
	s_delay_alu instid0(VALU_DEP_1) | instskip(SKIP_1) | instid1(VALU_DEP_2)
	v_add_co_u32 v45, vcc_lo, s8, v17
	s_wait_alu 0xfffd
	v_add_co_ci_u32_e64 v46, null, s9, v18, vcc_lo
	v_add_nc_u32_e32 v18, 2, v29
	s_delay_alu instid0(VALU_DEP_1) | instskip(SKIP_1) | instid1(VALU_DEP_1)
	v_lshlrev_b64_e32 v[29:30], 3, v[18:19]
	v_add_nc_u32_e32 v18, -6, v16
	v_lshlrev_b64_e32 v[47:48], 3, v[18:19]
	v_add_nc_u32_e32 v18, -3, v16
	s_delay_alu instid0(VALU_DEP_4) | instskip(SKIP_2) | instid1(VALU_DEP_3)
	v_add_co_u32 v29, vcc_lo, s10, v29
	s_wait_alu 0xfffd
	v_add_co_ci_u32_e64 v30, null, s11, v30, vcc_lo
	v_lshlrev_b64_e32 v[17:18], 3, v[18:19]
	v_add_co_u32 v47, vcc_lo, s8, v47
	s_wait_alu 0xfffd
	v_add_co_ci_u32_e64 v48, null, s9, v48, vcc_lo
	v_add_nc_u32_e32 v16, 0xc0, v16
	s_delay_alu instid0(VALU_DEP_4)
	v_add_co_u32 v17, vcc_lo, s8, v17
	s_wait_alu 0xfffd
	v_add_co_ci_u32_e64 v18, null, s9, v18, vcc_lo
	global_load_b64 v[29:30], v[29:30], off
	s_clause 0x2
	global_load_b64 v[47:48], v[47:48], off
	global_load_b64 v[17:18], v[17:18], off
	;; [unrolled: 1-line block ×3, first 2 shown]
	v_cmp_ge_i32_e32 vcc_lo, v14, v20
	s_wait_alu 0xfffe
	s_or_b32 s2, vcc_lo, s2
	s_wait_loadcnt 0x8
	v_fma_f64 v[6:7], v[25:26], v[35:36], v[6:7]
	v_fma_f64 v[12:13], v[23:24], v[35:36], v[12:13]
	;; [unrolled: 1-line block ×4, first 2 shown]
	s_wait_loadcnt 0x7
	s_delay_alu instid0(VALU_DEP_4) | instskip(SKIP_1) | instid1(VALU_DEP_4)
	v_fma_f64 v[6:7], v[27:28], v[37:38], v[6:7]
	s_wait_loadcnt 0x6
	v_fma_f64 v[12:13], v[39:40], v[37:38], v[12:13]
	s_wait_loadcnt 0x5
	s_delay_alu instid0(VALU_DEP_4) | instskip(SKIP_1) | instid1(VALU_DEP_4)
	v_fma_f64 v[10:11], v[41:42], v[37:38], v[10:11]
	s_wait_loadcnt 0x4
	v_fma_f64 v[8:9], v[43:44], v[37:38], v[8:9]
	;; [unrolled: 5-line block ×4, first 2 shown]
	s_wait_alu 0xfffe
	s_and_not1_b32 exec_lo, exec_lo, s2
	s_cbranch_execnz .LBB49_15
; %bb.16:
	s_or_b32 exec_lo, exec_lo, s2
.LBB49_17:
	s_wait_alu 0xfffe
	s_or_b32 exec_lo, exec_lo, s3
.LBB49_18:
	v_mbcnt_lo_u32_b32 v24, -1, 0
	s_delay_alu instid0(VALU_DEP_1) | instskip(NEXT) | instid1(VALU_DEP_1)
	v_xor_b32_e32 v14, 8, v24
	v_cmp_gt_i32_e32 vcc_lo, 32, v14
	s_wait_alu 0xfffd
	v_cndmask_b32_e32 v14, v24, v14, vcc_lo
	s_delay_alu instid0(VALU_DEP_1)
	v_lshlrev_b32_e32 v21, 2, v14
	ds_bpermute_b32 v14, v21, v6
	ds_bpermute_b32 v15, v21, v7
	;; [unrolled: 1-line block ×8, first 2 shown]
	s_wait_dscnt 0x6
	v_add_f64_e32 v[6:7], v[6:7], v[14:15]
	v_xor_b32_e32 v14, 4, v24
	s_wait_dscnt 0x4
	v_add_f64_e32 v[12:13], v[12:13], v[16:17]
	s_wait_dscnt 0x2
	v_add_f64_e32 v[10:11], v[10:11], v[18:19]
	s_wait_dscnt 0x0
	v_add_f64_e32 v[8:9], v[8:9], v[20:21]
	v_cmp_gt_i32_e32 vcc_lo, 32, v14
	s_wait_alu 0xfffd
	v_cndmask_b32_e32 v14, v24, v14, vcc_lo
	s_delay_alu instid0(VALU_DEP_1)
	v_lshlrev_b32_e32 v21, 2, v14
	ds_bpermute_b32 v14, v21, v6
	ds_bpermute_b32 v15, v21, v7
	;; [unrolled: 1-line block ×8, first 2 shown]
	s_wait_dscnt 0x6
	v_add_f64_e32 v[6:7], v[6:7], v[14:15]
	s_wait_dscnt 0x4
	v_add_f64_e32 v[14:15], v[12:13], v[16:17]
	;; [unrolled: 2-line block ×3, first 2 shown]
	v_xor_b32_e32 v10, 2, v24
	s_wait_dscnt 0x0
	v_add_f64_e32 v[8:9], v[8:9], v[20:21]
	s_delay_alu instid0(VALU_DEP_2) | instskip(SKIP_2) | instid1(VALU_DEP_1)
	v_cmp_gt_i32_e32 vcc_lo, 32, v10
	s_wait_alu 0xfffd
	v_cndmask_b32_e32 v10, v24, v10, vcc_lo
	v_lshlrev_b32_e32 v12, 2, v10
	ds_bpermute_b32 v10, v12, v6
	ds_bpermute_b32 v11, v12, v7
	;; [unrolled: 1-line block ×8, first 2 shown]
	s_wait_dscnt 0x6
	v_add_f64_e32 v[12:13], v[6:7], v[10:11]
	s_wait_dscnt 0x4
	v_add_f64_e32 v[10:11], v[14:15], v[18:19]
	v_xor_b32_e32 v14, 1, v24
	s_wait_dscnt 0x2
	v_add_f64_e32 v[6:7], v[16:17], v[20:21]
	s_wait_dscnt 0x0
	v_add_f64_e32 v[8:9], v[8:9], v[22:23]
	v_cmp_gt_i32_e32 vcc_lo, 32, v14
	s_wait_alu 0xfffd
	v_cndmask_b32_e32 v14, v24, v14, vcc_lo
	v_cmp_eq_u32_e32 vcc_lo, 15, v0
	s_delay_alu instid0(VALU_DEP_2)
	v_lshlrev_b32_e32 v15, 2, v14
	ds_bpermute_b32 v20, v15, v12
	ds_bpermute_b32 v21, v15, v13
	;; [unrolled: 1-line block ×8, first 2 shown]
	s_and_b32 exec_lo, exec_lo, vcc_lo
	s_cbranch_execz .LBB49_23
; %bb.19:
	s_wait_dscnt 0x6
	v_add_f64_e32 v[12:13], v[12:13], v[20:21]
	s_wait_dscnt 0x4
	v_add_f64_e32 v[10:11], v[10:11], v[18:19]
	;; [unrolled: 2-line block ×4, first 2 shown]
	s_load_b64 s[0:1], s[0:1], 0x38
	s_mov_b32 s2, exec_lo
	v_cmpx_eq_f64_e32 0, v[3:4]
	s_wait_alu 0xfffe
	s_xor_b32 s2, exec_lo, s2
	s_cbranch_execz .LBB49_21
; %bb.20:
	v_mul_f64_e32 v[12:13], v[1:2], v[12:13]
	v_mul_f64_e32 v[14:15], v[1:2], v[10:11]
	v_mul_f64_e32 v[6:7], v[1:2], v[6:7]
	v_mul_f64_e32 v[8:9], v[1:2], v[8:9]
	v_lshlrev_b32_e32 v0, 2, v5
                                        ; implicit-def: $vgpr5
                                        ; implicit-def: $vgpr3_vgpr4
                                        ; implicit-def: $vgpr10_vgpr11
	s_delay_alu instid0(VALU_DEP_1) | instskip(NEXT) | instid1(VALU_DEP_1)
	v_ashrrev_i32_e32 v1, 31, v0
	v_lshlrev_b64_e32 v[0:1], 3, v[0:1]
	s_wait_kmcnt 0x0
	s_delay_alu instid0(VALU_DEP_1) | instskip(SKIP_1) | instid1(VALU_DEP_2)
	v_add_co_u32 v0, vcc_lo, s0, v0
	s_wait_alu 0xfffd
	v_add_co_ci_u32_e64 v1, null, s1, v1, vcc_lo
	s_clause 0x1
	global_store_b128 v[0:1], v[12:15], off
	global_store_b128 v[0:1], v[6:9], off offset:16
                                        ; implicit-def: $vgpr1_vgpr2
                                        ; implicit-def: $vgpr12_vgpr13
                                        ; implicit-def: $vgpr6_vgpr7
                                        ; implicit-def: $vgpr8_vgpr9
.LBB49_21:
	s_wait_alu 0xfffe
	s_and_not1_saveexec_b32 s2, s2
	s_cbranch_execz .LBB49_23
; %bb.22:
	v_lshlrev_b32_e32 v14, 2, v5
	v_mul_f64_e32 v[12:13], v[1:2], v[12:13]
	v_mul_f64_e32 v[10:11], v[1:2], v[10:11]
	;; [unrolled: 1-line block ×4, first 2 shown]
	v_ashrrev_i32_e32 v15, 31, v14
	s_delay_alu instid0(VALU_DEP_1) | instskip(SKIP_1) | instid1(VALU_DEP_1)
	v_lshlrev_b64_e32 v[14:15], 3, v[14:15]
	s_wait_kmcnt 0x0
	v_add_co_u32 v22, vcc_lo, s0, v14
	s_wait_alu 0xfffd
	s_delay_alu instid0(VALU_DEP_2)
	v_add_co_ci_u32_e64 v23, null, s1, v15, vcc_lo
	s_clause 0x1
	global_load_b128 v[14:17], v[22:23], off
	global_load_b128 v[18:21], v[22:23], off offset:16
	s_wait_loadcnt 0x1
	v_fma_f64 v[5:6], v[3:4], v[14:15], v[12:13]
	v_fma_f64 v[7:8], v[3:4], v[16:17], v[10:11]
	s_wait_loadcnt 0x0
	v_fma_f64 v[0:1], v[3:4], v[18:19], v[24:25]
	v_fma_f64 v[2:3], v[3:4], v[20:21], v[26:27]
	s_clause 0x1
	global_store_b128 v[22:23], v[5:8], off
	global_store_b128 v[22:23], v[0:3], off offset:16
.LBB49_23:
	s_endpgm
	.section	.rodata,"a",@progbits
	.p2align	6, 0x0
	.amdhsa_kernel _ZN9rocsparseL19gebsrmvn_4xn_kernelILj128ELj3ELj16EdEEvi20rocsparse_direction_NS_24const_host_device_scalarIT2_EEPKiS6_PKS3_S8_S4_PS3_21rocsparse_index_base_b
		.amdhsa_group_segment_fixed_size 0
		.amdhsa_private_segment_fixed_size 0
		.amdhsa_kernarg_size 72
		.amdhsa_user_sgpr_count 2
		.amdhsa_user_sgpr_dispatch_ptr 0
		.amdhsa_user_sgpr_queue_ptr 0
		.amdhsa_user_sgpr_kernarg_segment_ptr 1
		.amdhsa_user_sgpr_dispatch_id 0
		.amdhsa_user_sgpr_private_segment_size 0
		.amdhsa_wavefront_size32 1
		.amdhsa_uses_dynamic_stack 0
		.amdhsa_enable_private_segment 0
		.amdhsa_system_sgpr_workgroup_id_x 1
		.amdhsa_system_sgpr_workgroup_id_y 0
		.amdhsa_system_sgpr_workgroup_id_z 0
		.amdhsa_system_sgpr_workgroup_info 0
		.amdhsa_system_vgpr_workitem_id 0
		.amdhsa_next_free_vgpr 49
		.amdhsa_next_free_sgpr 14
		.amdhsa_reserve_vcc 1
		.amdhsa_float_round_mode_32 0
		.amdhsa_float_round_mode_16_64 0
		.amdhsa_float_denorm_mode_32 3
		.amdhsa_float_denorm_mode_16_64 3
		.amdhsa_fp16_overflow 0
		.amdhsa_workgroup_processor_mode 1
		.amdhsa_memory_ordered 1
		.amdhsa_forward_progress 1
		.amdhsa_inst_pref_size 21
		.amdhsa_round_robin_scheduling 0
		.amdhsa_exception_fp_ieee_invalid_op 0
		.amdhsa_exception_fp_denorm_src 0
		.amdhsa_exception_fp_ieee_div_zero 0
		.amdhsa_exception_fp_ieee_overflow 0
		.amdhsa_exception_fp_ieee_underflow 0
		.amdhsa_exception_fp_ieee_inexact 0
		.amdhsa_exception_int_div_zero 0
	.end_amdhsa_kernel
	.section	.text._ZN9rocsparseL19gebsrmvn_4xn_kernelILj128ELj3ELj16EdEEvi20rocsparse_direction_NS_24const_host_device_scalarIT2_EEPKiS6_PKS3_S8_S4_PS3_21rocsparse_index_base_b,"axG",@progbits,_ZN9rocsparseL19gebsrmvn_4xn_kernelILj128ELj3ELj16EdEEvi20rocsparse_direction_NS_24const_host_device_scalarIT2_EEPKiS6_PKS3_S8_S4_PS3_21rocsparse_index_base_b,comdat
.Lfunc_end49:
	.size	_ZN9rocsparseL19gebsrmvn_4xn_kernelILj128ELj3ELj16EdEEvi20rocsparse_direction_NS_24const_host_device_scalarIT2_EEPKiS6_PKS3_S8_S4_PS3_21rocsparse_index_base_b, .Lfunc_end49-_ZN9rocsparseL19gebsrmvn_4xn_kernelILj128ELj3ELj16EdEEvi20rocsparse_direction_NS_24const_host_device_scalarIT2_EEPKiS6_PKS3_S8_S4_PS3_21rocsparse_index_base_b
                                        ; -- End function
	.set _ZN9rocsparseL19gebsrmvn_4xn_kernelILj128ELj3ELj16EdEEvi20rocsparse_direction_NS_24const_host_device_scalarIT2_EEPKiS6_PKS3_S8_S4_PS3_21rocsparse_index_base_b.num_vgpr, 49
	.set _ZN9rocsparseL19gebsrmvn_4xn_kernelILj128ELj3ELj16EdEEvi20rocsparse_direction_NS_24const_host_device_scalarIT2_EEPKiS6_PKS3_S8_S4_PS3_21rocsparse_index_base_b.num_agpr, 0
	.set _ZN9rocsparseL19gebsrmvn_4xn_kernelILj128ELj3ELj16EdEEvi20rocsparse_direction_NS_24const_host_device_scalarIT2_EEPKiS6_PKS3_S8_S4_PS3_21rocsparse_index_base_b.numbered_sgpr, 14
	.set _ZN9rocsparseL19gebsrmvn_4xn_kernelILj128ELj3ELj16EdEEvi20rocsparse_direction_NS_24const_host_device_scalarIT2_EEPKiS6_PKS3_S8_S4_PS3_21rocsparse_index_base_b.num_named_barrier, 0
	.set _ZN9rocsparseL19gebsrmvn_4xn_kernelILj128ELj3ELj16EdEEvi20rocsparse_direction_NS_24const_host_device_scalarIT2_EEPKiS6_PKS3_S8_S4_PS3_21rocsparse_index_base_b.private_seg_size, 0
	.set _ZN9rocsparseL19gebsrmvn_4xn_kernelILj128ELj3ELj16EdEEvi20rocsparse_direction_NS_24const_host_device_scalarIT2_EEPKiS6_PKS3_S8_S4_PS3_21rocsparse_index_base_b.uses_vcc, 1
	.set _ZN9rocsparseL19gebsrmvn_4xn_kernelILj128ELj3ELj16EdEEvi20rocsparse_direction_NS_24const_host_device_scalarIT2_EEPKiS6_PKS3_S8_S4_PS3_21rocsparse_index_base_b.uses_flat_scratch, 0
	.set _ZN9rocsparseL19gebsrmvn_4xn_kernelILj128ELj3ELj16EdEEvi20rocsparse_direction_NS_24const_host_device_scalarIT2_EEPKiS6_PKS3_S8_S4_PS3_21rocsparse_index_base_b.has_dyn_sized_stack, 0
	.set _ZN9rocsparseL19gebsrmvn_4xn_kernelILj128ELj3ELj16EdEEvi20rocsparse_direction_NS_24const_host_device_scalarIT2_EEPKiS6_PKS3_S8_S4_PS3_21rocsparse_index_base_b.has_recursion, 0
	.set _ZN9rocsparseL19gebsrmvn_4xn_kernelILj128ELj3ELj16EdEEvi20rocsparse_direction_NS_24const_host_device_scalarIT2_EEPKiS6_PKS3_S8_S4_PS3_21rocsparse_index_base_b.has_indirect_call, 0
	.section	.AMDGPU.csdata,"",@progbits
; Kernel info:
; codeLenInByte = 2632
; TotalNumSgprs: 16
; NumVgprs: 49
; ScratchSize: 0
; MemoryBound: 0
; FloatMode: 240
; IeeeMode: 1
; LDSByteSize: 0 bytes/workgroup (compile time only)
; SGPRBlocks: 0
; VGPRBlocks: 6
; NumSGPRsForWavesPerEU: 16
; NumVGPRsForWavesPerEU: 49
; Occupancy: 16
; WaveLimiterHint : 1
; COMPUTE_PGM_RSRC2:SCRATCH_EN: 0
; COMPUTE_PGM_RSRC2:USER_SGPR: 2
; COMPUTE_PGM_RSRC2:TRAP_HANDLER: 0
; COMPUTE_PGM_RSRC2:TGID_X_EN: 1
; COMPUTE_PGM_RSRC2:TGID_Y_EN: 0
; COMPUTE_PGM_RSRC2:TGID_Z_EN: 0
; COMPUTE_PGM_RSRC2:TIDIG_COMP_CNT: 0
	.section	.text._ZN9rocsparseL19gebsrmvn_4xn_kernelILj128ELj3ELj32EdEEvi20rocsparse_direction_NS_24const_host_device_scalarIT2_EEPKiS6_PKS3_S8_S4_PS3_21rocsparse_index_base_b,"axG",@progbits,_ZN9rocsparseL19gebsrmvn_4xn_kernelILj128ELj3ELj32EdEEvi20rocsparse_direction_NS_24const_host_device_scalarIT2_EEPKiS6_PKS3_S8_S4_PS3_21rocsparse_index_base_b,comdat
	.globl	_ZN9rocsparseL19gebsrmvn_4xn_kernelILj128ELj3ELj32EdEEvi20rocsparse_direction_NS_24const_host_device_scalarIT2_EEPKiS6_PKS3_S8_S4_PS3_21rocsparse_index_base_b ; -- Begin function _ZN9rocsparseL19gebsrmvn_4xn_kernelILj128ELj3ELj32EdEEvi20rocsparse_direction_NS_24const_host_device_scalarIT2_EEPKiS6_PKS3_S8_S4_PS3_21rocsparse_index_base_b
	.p2align	8
	.type	_ZN9rocsparseL19gebsrmvn_4xn_kernelILj128ELj3ELj32EdEEvi20rocsparse_direction_NS_24const_host_device_scalarIT2_EEPKiS6_PKS3_S8_S4_PS3_21rocsparse_index_base_b,@function
_ZN9rocsparseL19gebsrmvn_4xn_kernelILj128ELj3ELj32EdEEvi20rocsparse_direction_NS_24const_host_device_scalarIT2_EEPKiS6_PKS3_S8_S4_PS3_21rocsparse_index_base_b: ; @_ZN9rocsparseL19gebsrmvn_4xn_kernelILj128ELj3ELj32EdEEvi20rocsparse_direction_NS_24const_host_device_scalarIT2_EEPKiS6_PKS3_S8_S4_PS3_21rocsparse_index_base_b
; %bb.0:
	s_clause 0x2
	s_load_b64 s[12:13], s[0:1], 0x40
	s_load_b64 s[4:5], s[0:1], 0x8
	s_load_b64 s[2:3], s[0:1], 0x30
	s_wait_kmcnt 0x0
	s_bitcmp1_b32 s13, 0
	v_dual_mov_b32 v1, s4 :: v_dual_mov_b32 v2, s5
	s_cselect_b32 s6, -1, 0
	s_delay_alu instid0(SALU_CYCLE_1)
	s_and_b32 vcc_lo, exec_lo, s6
	s_xor_b32 s6, s6, -1
	s_cbranch_vccnz .LBB50_2
; %bb.1:
	v_dual_mov_b32 v1, s4 :: v_dual_mov_b32 v2, s5
	flat_load_b64 v[1:2], v[1:2]
.LBB50_2:
	v_dual_mov_b32 v4, s3 :: v_dual_mov_b32 v3, s2
	s_and_not1_b32 vcc_lo, exec_lo, s6
	s_cbranch_vccnz .LBB50_4
; %bb.3:
	v_dual_mov_b32 v4, s3 :: v_dual_mov_b32 v3, s2
	flat_load_b64 v[3:4], v[3:4]
.LBB50_4:
	s_wait_loadcnt_dscnt 0x0
	v_cmp_neq_f64_e32 vcc_lo, 0, v[1:2]
	v_cmp_neq_f64_e64 s2, 1.0, v[3:4]
	s_or_b32 s2, vcc_lo, s2
	s_wait_alu 0xfffe
	s_and_saveexec_b32 s3, s2
	s_cbranch_execz .LBB50_23
; %bb.5:
	s_load_b64 s[2:3], s[0:1], 0x0
	v_lshrrev_b32_e32 v5, 5, v0
	s_delay_alu instid0(VALU_DEP_1) | instskip(SKIP_1) | instid1(VALU_DEP_1)
	v_lshl_or_b32 v5, ttmp9, 2, v5
	s_wait_kmcnt 0x0
	v_cmp_gt_i32_e32 vcc_lo, s2, v5
	s_and_b32 exec_lo, exec_lo, vcc_lo
	s_cbranch_execz .LBB50_23
; %bb.6:
	s_load_b256 s[4:11], s[0:1], 0x10
	v_ashrrev_i32_e32 v6, 31, v5
	v_and_b32_e32 v0, 31, v0
	s_cmp_lg_u32 s3, 0
	s_delay_alu instid0(VALU_DEP_2) | instskip(SKIP_1) | instid1(VALU_DEP_1)
	v_lshlrev_b64_e32 v[6:7], 2, v[5:6]
	s_wait_kmcnt 0x0
	v_add_co_u32 v6, vcc_lo, s4, v6
	s_delay_alu instid0(VALU_DEP_1) | instskip(SKIP_4) | instid1(VALU_DEP_2)
	v_add_co_ci_u32_e64 v7, null, s5, v7, vcc_lo
	global_load_b64 v[6:7], v[6:7], off
	s_wait_loadcnt 0x0
	v_subrev_nc_u32_e32 v6, s12, v6
	v_subrev_nc_u32_e32 v20, s12, v7
	v_add_nc_u32_e32 v14, v6, v0
	s_delay_alu instid0(VALU_DEP_1)
	v_cmp_lt_i32_e64 s2, v14, v20
	s_cbranch_scc0 .LBB50_12
; %bb.7:
	v_mov_b32_e32 v6, 0
	v_dual_mov_b32 v10, 0 :: v_dual_mov_b32 v7, 0
	v_dual_mov_b32 v8, 0 :: v_dual_mov_b32 v11, 0
	;; [unrolled: 1-line block ×3, first 2 shown]
	v_mov_b32_e32 v13, 0
	s_and_saveexec_b32 s3, s2
	s_cbranch_execz .LBB50_11
; %bb.8:
	v_mul_lo_u32 v15, v14, 12
	v_mov_b32_e32 v6, 0
	v_mov_b32_e32 v8, 0
	;; [unrolled: 1-line block ×3, first 2 shown]
	v_dual_mov_b32 v12, 0 :: v_dual_mov_b32 v17, v14
	v_dual_mov_b32 v7, 0 :: v_dual_mov_b32 v16, 0
	v_mov_b32_e32 v9, 0
	v_mov_b32_e32 v11, 0
	;; [unrolled: 1-line block ×3, first 2 shown]
	s_mov_b32 s4, 0
.LBB50_9:                               ; =>This Inner Loop Header: Depth=1
	v_ashrrev_i32_e32 v18, 31, v17
	v_dual_mov_b32 v42, v16 :: v_dual_add_nc_u32 v29, 4, v15
	v_dual_mov_b32 v30, v16 :: v_dual_add_nc_u32 v37, 8, v15
	s_delay_alu instid0(VALU_DEP_3) | instskip(SKIP_1) | instid1(VALU_DEP_3)
	v_lshlrev_b64_e32 v[18:19], 2, v[17:18]
	v_add_nc_u32_e32 v17, 32, v17
	v_lshlrev_b64_e32 v[29:30], 3, v[29:30]
	s_delay_alu instid0(VALU_DEP_3) | instskip(SKIP_1) | instid1(VALU_DEP_4)
	v_add_co_u32 v18, vcc_lo, s6, v18
	s_wait_alu 0xfffd
	v_add_co_ci_u32_e64 v19, null, s7, v19, vcc_lo
	global_load_b32 v25, v[18:19], off
	v_lshlrev_b64_e32 v[18:19], 3, v[15:16]
	v_add_nc_u32_e32 v15, 0x180, v15
	s_delay_alu instid0(VALU_DEP_2) | instskip(SKIP_1) | instid1(VALU_DEP_3)
	v_add_co_u32 v18, vcc_lo, s8, v18
	s_wait_alu 0xfffd
	v_add_co_ci_u32_e64 v19, null, s9, v19, vcc_lo
	global_load_b128 v[21:24], v[18:19], off offset:16
	s_wait_loadcnt 0x1
	v_subrev_nc_u32_e32 v25, s12, v25
	s_delay_alu instid0(VALU_DEP_1) | instskip(NEXT) | instid1(VALU_DEP_1)
	v_lshl_add_u32 v41, v25, 1, v25
	v_dual_mov_b32 v34, v16 :: v_dual_add_nc_u32 v33, 1, v41
	v_lshlrev_b64_e32 v[25:26], 3, v[41:42]
	v_add_nc_u32_e32 v41, 2, v41
	s_delay_alu instid0(VALU_DEP_3) | instskip(NEXT) | instid1(VALU_DEP_3)
	v_lshlrev_b64_e32 v[33:34], 3, v[33:34]
	v_add_co_u32 v31, vcc_lo, s10, v25
	s_wait_alu 0xfffd
	s_delay_alu instid0(VALU_DEP_4)
	v_add_co_ci_u32_e64 v32, null, s11, v26, vcc_lo
	global_load_b128 v[25:28], v[18:19], off
	global_load_b64 v[18:19], v[31:32], off
	v_add_co_u32 v35, vcc_lo, s8, v29
	s_wait_alu 0xfffd
	v_add_co_ci_u32_e64 v36, null, s9, v30, vcc_lo
	v_add_co_u32 v38, vcc_lo, s10, v33
	s_wait_alu 0xfffd
	v_add_co_ci_u32_e64 v39, null, s11, v34, vcc_lo
	s_clause 0x1
	global_load_b128 v[29:32], v[35:36], off offset:16
	global_load_b128 v[33:36], v[35:36], off
	global_load_b64 v[45:46], v[38:39], off
	v_mov_b32_e32 v38, v16
	v_lshlrev_b64_e32 v[41:42], 3, v[41:42]
	s_delay_alu instid0(VALU_DEP_2) | instskip(NEXT) | instid1(VALU_DEP_1)
	v_lshlrev_b64_e32 v[37:38], 3, v[37:38]
	v_add_co_u32 v43, vcc_lo, s8, v37
	s_wait_alu 0xfffd
	s_delay_alu instid0(VALU_DEP_2) | instskip(NEXT) | instid1(VALU_DEP_4)
	v_add_co_ci_u32_e64 v44, null, s9, v38, vcc_lo
	v_add_co_u32 v47, vcc_lo, s10, v41
	s_wait_alu 0xfffd
	v_add_co_ci_u32_e64 v48, null, s11, v42, vcc_lo
	s_clause 0x1
	global_load_b128 v[37:40], v[43:44], off offset:16
	global_load_b128 v[41:44], v[43:44], off
	global_load_b64 v[47:48], v[47:48], off
	v_cmp_ge_i32_e32 vcc_lo, v17, v20
	s_wait_alu 0xfffe
	s_or_b32 s4, vcc_lo, s4
	s_wait_loadcnt 0x6
	v_fma_f64 v[6:7], v[25:26], v[18:19], v[6:7]
	v_fma_f64 v[12:13], v[27:28], v[18:19], v[12:13]
	;; [unrolled: 1-line block ×4, first 2 shown]
	s_wait_loadcnt 0x3
	s_delay_alu instid0(VALU_DEP_4) | instskip(NEXT) | instid1(VALU_DEP_4)
	v_fma_f64 v[6:7], v[33:34], v[45:46], v[6:7]
	v_fma_f64 v[12:13], v[35:36], v[45:46], v[12:13]
	s_delay_alu instid0(VALU_DEP_4) | instskip(NEXT) | instid1(VALU_DEP_4)
	v_fma_f64 v[10:11], v[29:30], v[45:46], v[10:11]
	v_fma_f64 v[8:9], v[31:32], v[45:46], v[8:9]
	s_wait_loadcnt 0x0
	s_delay_alu instid0(VALU_DEP_4) | instskip(NEXT) | instid1(VALU_DEP_4)
	v_fma_f64 v[6:7], v[41:42], v[47:48], v[6:7]
	v_fma_f64 v[12:13], v[43:44], v[47:48], v[12:13]
	s_delay_alu instid0(VALU_DEP_4) | instskip(NEXT) | instid1(VALU_DEP_4)
	v_fma_f64 v[10:11], v[37:38], v[47:48], v[10:11]
	v_fma_f64 v[8:9], v[39:40], v[47:48], v[8:9]
	s_wait_alu 0xfffe
	s_and_not1_b32 exec_lo, exec_lo, s4
	s_cbranch_execnz .LBB50_9
; %bb.10:
	s_or_b32 exec_lo, exec_lo, s4
.LBB50_11:
	s_wait_alu 0xfffe
	s_or_b32 exec_lo, exec_lo, s3
	s_cbranch_execz .LBB50_13
	s_branch .LBB50_18
.LBB50_12:
                                        ; implicit-def: $vgpr6_vgpr7
                                        ; implicit-def: $vgpr8_vgpr9
                                        ; implicit-def: $vgpr10_vgpr11
                                        ; implicit-def: $vgpr12_vgpr13
.LBB50_13:
	v_mov_b32_e32 v6, 0
	v_dual_mov_b32 v10, 0 :: v_dual_mov_b32 v7, 0
	v_dual_mov_b32 v8, 0 :: v_dual_mov_b32 v11, 0
	;; [unrolled: 1-line block ×3, first 2 shown]
	v_mov_b32_e32 v13, 0
	s_and_saveexec_b32 s3, s2
	s_cbranch_execz .LBB50_17
; %bb.14:
	v_mad_co_u64_u32 v[16:17], null, v14, 12, 11
	v_mov_b32_e32 v6, 0
	v_dual_mov_b32 v10, 0 :: v_dual_mov_b32 v7, 0
	v_dual_mov_b32 v8, 0 :: v_dual_mov_b32 v11, 0
	;; [unrolled: 1-line block ×3, first 2 shown]
	v_mov_b32_e32 v13, 0
	v_mov_b32_e32 v19, 0
	s_mov_b32 s2, 0
.LBB50_15:                              ; =>This Inner Loop Header: Depth=1
	v_ashrrev_i32_e32 v15, 31, v14
	s_delay_alu instid0(VALU_DEP_2) | instskip(SKIP_1) | instid1(VALU_DEP_3)
	v_dual_mov_b32 v30, v19 :: v_dual_add_nc_u32 v21, -5, v16
	v_dual_mov_b32 v22, v19 :: v_dual_add_nc_u32 v23, -2, v16
	v_lshlrev_b64_e32 v[17:18], 2, v[14:15]
	v_mov_b32_e32 v24, v19
	v_add_nc_u32_e32 v14, 32, v14
	s_delay_alu instid0(VALU_DEP_4) | instskip(NEXT) | instid1(VALU_DEP_3)
	v_lshlrev_b64_e32 v[21:22], 3, v[21:22]
	v_lshlrev_b64_e32 v[23:24], 3, v[23:24]
	v_add_co_u32 v17, vcc_lo, s6, v17
	s_wait_alu 0xfffd
	v_add_co_ci_u32_e64 v18, null, s7, v18, vcc_lo
	global_load_b32 v15, v[17:18], off
	v_dual_mov_b32 v17, v19 :: v_dual_add_nc_u32 v18, -11, v16
	s_delay_alu instid0(VALU_DEP_1) | instskip(NEXT) | instid1(VALU_DEP_1)
	v_lshlrev_b64_e32 v[25:26], 3, v[18:19]
	v_add_co_u32 v25, vcc_lo, s8, v25
	s_wait_alu 0xfffd
	s_delay_alu instid0(VALU_DEP_2)
	v_add_co_ci_u32_e64 v26, null, s9, v26, vcc_lo
	v_add_co_u32 v31, vcc_lo, s8, v21
	s_wait_alu 0xfffd
	v_add_co_ci_u32_e64 v32, null, s9, v22, vcc_lo
	v_add_co_u32 v33, vcc_lo, s8, v23
	s_wait_alu 0xfffd
	v_add_co_ci_u32_e64 v34, null, s9, v24, vcc_lo
	s_clause 0x3
	global_load_b128 v[21:24], v[25:26], off offset:16
	global_load_b128 v[25:28], v[25:26], off
	global_load_b64 v[31:32], v[31:32], off
	global_load_b64 v[33:34], v[33:34], off
	s_wait_loadcnt 0x4
	v_subrev_nc_u32_e32 v15, s12, v15
	s_delay_alu instid0(VALU_DEP_1) | instskip(NEXT) | instid1(VALU_DEP_1)
	v_lshl_add_u32 v29, v15, 1, v15
	v_lshlrev_b64_e32 v[35:36], 3, v[29:30]
	v_add_nc_u32_e32 v18, 1, v29
	s_delay_alu instid0(VALU_DEP_1) | instskip(NEXT) | instid1(VALU_DEP_3)
	v_lshlrev_b64_e32 v[37:38], 3, v[18:19]
	v_add_co_u32 v35, vcc_lo, s10, v35
	s_wait_alu 0xfffd
	s_delay_alu instid0(VALU_DEP_4) | instskip(SKIP_1) | instid1(VALU_DEP_4)
	v_add_co_ci_u32_e64 v36, null, s11, v36, vcc_lo
	v_add_nc_u32_e32 v18, -7, v16
	v_add_co_u32 v37, vcc_lo, s10, v37
	global_load_b64 v[35:36], v[35:36], off
	s_wait_alu 0xfffd
	v_add_co_ci_u32_e64 v38, null, s11, v38, vcc_lo
	v_lshlrev_b64_e32 v[39:40], 3, v[18:19]
	v_add_nc_u32_e32 v18, -4, v16
	global_load_b64 v[37:38], v[37:38], off
	v_lshlrev_b64_e32 v[41:42], 3, v[18:19]
	v_add_nc_u32_e32 v18, -1, v16
	v_add_co_u32 v39, vcc_lo, s8, v39
	s_wait_alu 0xfffd
	v_add_co_ci_u32_e64 v40, null, s9, v40, vcc_lo
	s_delay_alu instid0(VALU_DEP_3)
	v_lshlrev_b64_e32 v[43:44], 3, v[18:19]
	v_add_co_u32 v41, vcc_lo, s8, v41
	s_wait_alu 0xfffd
	v_add_co_ci_u32_e64 v42, null, s9, v42, vcc_lo
	global_load_b64 v[39:40], v[39:40], off
	v_add_co_u32 v43, vcc_lo, s8, v43
	s_wait_alu 0xfffd
	v_add_co_ci_u32_e64 v44, null, s9, v44, vcc_lo
	s_clause 0x1
	global_load_b64 v[41:42], v[41:42], off
	global_load_b64 v[43:44], v[43:44], off
	v_lshlrev_b64_e32 v[17:18], 3, v[16:17]
	s_delay_alu instid0(VALU_DEP_1) | instskip(SKIP_1) | instid1(VALU_DEP_2)
	v_add_co_u32 v45, vcc_lo, s8, v17
	s_wait_alu 0xfffd
	v_add_co_ci_u32_e64 v46, null, s9, v18, vcc_lo
	v_add_nc_u32_e32 v18, 2, v29
	s_delay_alu instid0(VALU_DEP_1) | instskip(SKIP_1) | instid1(VALU_DEP_1)
	v_lshlrev_b64_e32 v[29:30], 3, v[18:19]
	v_add_nc_u32_e32 v18, -6, v16
	v_lshlrev_b64_e32 v[47:48], 3, v[18:19]
	v_add_nc_u32_e32 v18, -3, v16
	s_delay_alu instid0(VALU_DEP_4) | instskip(SKIP_2) | instid1(VALU_DEP_3)
	v_add_co_u32 v29, vcc_lo, s10, v29
	s_wait_alu 0xfffd
	v_add_co_ci_u32_e64 v30, null, s11, v30, vcc_lo
	v_lshlrev_b64_e32 v[17:18], 3, v[18:19]
	v_add_co_u32 v47, vcc_lo, s8, v47
	s_wait_alu 0xfffd
	v_add_co_ci_u32_e64 v48, null, s9, v48, vcc_lo
	v_add_nc_u32_e32 v16, 0x180, v16
	s_delay_alu instid0(VALU_DEP_4)
	v_add_co_u32 v17, vcc_lo, s8, v17
	s_wait_alu 0xfffd
	v_add_co_ci_u32_e64 v18, null, s9, v18, vcc_lo
	global_load_b64 v[29:30], v[29:30], off
	s_clause 0x2
	global_load_b64 v[47:48], v[47:48], off
	global_load_b64 v[17:18], v[17:18], off
	;; [unrolled: 1-line block ×3, first 2 shown]
	v_cmp_ge_i32_e32 vcc_lo, v14, v20
	s_wait_alu 0xfffe
	s_or_b32 s2, vcc_lo, s2
	s_wait_loadcnt 0x8
	v_fma_f64 v[6:7], v[25:26], v[35:36], v[6:7]
	v_fma_f64 v[12:13], v[23:24], v[35:36], v[12:13]
	;; [unrolled: 1-line block ×4, first 2 shown]
	s_wait_loadcnt 0x7
	s_delay_alu instid0(VALU_DEP_4) | instskip(SKIP_1) | instid1(VALU_DEP_4)
	v_fma_f64 v[6:7], v[27:28], v[37:38], v[6:7]
	s_wait_loadcnt 0x6
	v_fma_f64 v[12:13], v[39:40], v[37:38], v[12:13]
	s_wait_loadcnt 0x5
	s_delay_alu instid0(VALU_DEP_4) | instskip(SKIP_1) | instid1(VALU_DEP_4)
	v_fma_f64 v[10:11], v[41:42], v[37:38], v[10:11]
	s_wait_loadcnt 0x4
	v_fma_f64 v[8:9], v[43:44], v[37:38], v[8:9]
	;; [unrolled: 5-line block ×4, first 2 shown]
	s_wait_alu 0xfffe
	s_and_not1_b32 exec_lo, exec_lo, s2
	s_cbranch_execnz .LBB50_15
; %bb.16:
	s_or_b32 exec_lo, exec_lo, s2
.LBB50_17:
	s_wait_alu 0xfffe
	s_or_b32 exec_lo, exec_lo, s3
.LBB50_18:
	v_mbcnt_lo_u32_b32 v24, -1, 0
	s_delay_alu instid0(VALU_DEP_1) | instskip(NEXT) | instid1(VALU_DEP_1)
	v_xor_b32_e32 v14, 16, v24
	v_cmp_gt_i32_e32 vcc_lo, 32, v14
	s_wait_alu 0xfffd
	v_cndmask_b32_e32 v14, v24, v14, vcc_lo
	s_delay_alu instid0(VALU_DEP_1)
	v_lshlrev_b32_e32 v21, 2, v14
	ds_bpermute_b32 v14, v21, v6
	ds_bpermute_b32 v15, v21, v7
	;; [unrolled: 1-line block ×8, first 2 shown]
	s_wait_dscnt 0x6
	v_add_f64_e32 v[6:7], v[6:7], v[14:15]
	v_xor_b32_e32 v14, 8, v24
	s_wait_dscnt 0x4
	v_add_f64_e32 v[12:13], v[12:13], v[16:17]
	s_wait_dscnt 0x2
	v_add_f64_e32 v[10:11], v[10:11], v[18:19]
	;; [unrolled: 2-line block ×3, first 2 shown]
	v_cmp_gt_i32_e32 vcc_lo, 32, v14
	s_wait_alu 0xfffd
	v_cndmask_b32_e32 v14, v24, v14, vcc_lo
	s_delay_alu instid0(VALU_DEP_1)
	v_lshlrev_b32_e32 v21, 2, v14
	ds_bpermute_b32 v14, v21, v6
	ds_bpermute_b32 v15, v21, v7
	;; [unrolled: 1-line block ×8, first 2 shown]
	s_wait_dscnt 0x6
	v_add_f64_e32 v[6:7], v[6:7], v[14:15]
	v_xor_b32_e32 v14, 4, v24
	s_wait_dscnt 0x4
	v_add_f64_e32 v[12:13], v[12:13], v[16:17]
	s_wait_dscnt 0x2
	v_add_f64_e32 v[10:11], v[10:11], v[18:19]
	;; [unrolled: 2-line block ×3, first 2 shown]
	v_cmp_gt_i32_e32 vcc_lo, 32, v14
	s_wait_alu 0xfffd
	v_cndmask_b32_e32 v14, v24, v14, vcc_lo
	s_delay_alu instid0(VALU_DEP_1)
	v_lshlrev_b32_e32 v21, 2, v14
	ds_bpermute_b32 v14, v21, v6
	ds_bpermute_b32 v15, v21, v7
	;; [unrolled: 1-line block ×8, first 2 shown]
	s_wait_dscnt 0x6
	v_add_f64_e32 v[6:7], v[6:7], v[14:15]
	s_wait_dscnt 0x4
	v_add_f64_e32 v[14:15], v[12:13], v[16:17]
	;; [unrolled: 2-line block ×3, first 2 shown]
	v_xor_b32_e32 v10, 2, v24
	s_wait_dscnt 0x0
	v_add_f64_e32 v[8:9], v[8:9], v[20:21]
	s_delay_alu instid0(VALU_DEP_2) | instskip(SKIP_2) | instid1(VALU_DEP_1)
	v_cmp_gt_i32_e32 vcc_lo, 32, v10
	s_wait_alu 0xfffd
	v_cndmask_b32_e32 v10, v24, v10, vcc_lo
	v_lshlrev_b32_e32 v12, 2, v10
	ds_bpermute_b32 v10, v12, v6
	ds_bpermute_b32 v11, v12, v7
	;; [unrolled: 1-line block ×8, first 2 shown]
	s_wait_dscnt 0x6
	v_add_f64_e32 v[12:13], v[6:7], v[10:11]
	s_wait_dscnt 0x4
	v_add_f64_e32 v[10:11], v[14:15], v[18:19]
	v_xor_b32_e32 v14, 1, v24
	s_wait_dscnt 0x2
	v_add_f64_e32 v[6:7], v[16:17], v[20:21]
	s_wait_dscnt 0x0
	v_add_f64_e32 v[8:9], v[8:9], v[22:23]
	v_cmp_gt_i32_e32 vcc_lo, 32, v14
	s_wait_alu 0xfffd
	v_cndmask_b32_e32 v14, v24, v14, vcc_lo
	v_cmp_eq_u32_e32 vcc_lo, 31, v0
	s_delay_alu instid0(VALU_DEP_2)
	v_lshlrev_b32_e32 v15, 2, v14
	ds_bpermute_b32 v20, v15, v12
	ds_bpermute_b32 v21, v15, v13
	;; [unrolled: 1-line block ×8, first 2 shown]
	s_and_b32 exec_lo, exec_lo, vcc_lo
	s_cbranch_execz .LBB50_23
; %bb.19:
	s_wait_dscnt 0x6
	v_add_f64_e32 v[12:13], v[12:13], v[20:21]
	s_wait_dscnt 0x4
	v_add_f64_e32 v[10:11], v[10:11], v[18:19]
	;; [unrolled: 2-line block ×4, first 2 shown]
	s_load_b64 s[0:1], s[0:1], 0x38
	s_mov_b32 s2, exec_lo
	v_cmpx_eq_f64_e32 0, v[3:4]
	s_wait_alu 0xfffe
	s_xor_b32 s2, exec_lo, s2
	s_cbranch_execz .LBB50_21
; %bb.20:
	v_mul_f64_e32 v[12:13], v[1:2], v[12:13]
	v_mul_f64_e32 v[14:15], v[1:2], v[10:11]
	;; [unrolled: 1-line block ×4, first 2 shown]
	v_lshlrev_b32_e32 v0, 2, v5
                                        ; implicit-def: $vgpr5
                                        ; implicit-def: $vgpr3_vgpr4
                                        ; implicit-def: $vgpr10_vgpr11
	s_delay_alu instid0(VALU_DEP_1) | instskip(NEXT) | instid1(VALU_DEP_1)
	v_ashrrev_i32_e32 v1, 31, v0
	v_lshlrev_b64_e32 v[0:1], 3, v[0:1]
	s_wait_kmcnt 0x0
	s_delay_alu instid0(VALU_DEP_1) | instskip(SKIP_1) | instid1(VALU_DEP_2)
	v_add_co_u32 v0, vcc_lo, s0, v0
	s_wait_alu 0xfffd
	v_add_co_ci_u32_e64 v1, null, s1, v1, vcc_lo
	s_clause 0x1
	global_store_b128 v[0:1], v[12:15], off
	global_store_b128 v[0:1], v[6:9], off offset:16
                                        ; implicit-def: $vgpr1_vgpr2
                                        ; implicit-def: $vgpr12_vgpr13
                                        ; implicit-def: $vgpr6_vgpr7
                                        ; implicit-def: $vgpr8_vgpr9
.LBB50_21:
	s_wait_alu 0xfffe
	s_and_not1_saveexec_b32 s2, s2
	s_cbranch_execz .LBB50_23
; %bb.22:
	v_lshlrev_b32_e32 v14, 2, v5
	v_mul_f64_e32 v[12:13], v[1:2], v[12:13]
	v_mul_f64_e32 v[10:11], v[1:2], v[10:11]
	;; [unrolled: 1-line block ×4, first 2 shown]
	v_ashrrev_i32_e32 v15, 31, v14
	s_delay_alu instid0(VALU_DEP_1) | instskip(SKIP_1) | instid1(VALU_DEP_1)
	v_lshlrev_b64_e32 v[14:15], 3, v[14:15]
	s_wait_kmcnt 0x0
	v_add_co_u32 v22, vcc_lo, s0, v14
	s_wait_alu 0xfffd
	s_delay_alu instid0(VALU_DEP_2)
	v_add_co_ci_u32_e64 v23, null, s1, v15, vcc_lo
	s_clause 0x1
	global_load_b128 v[14:17], v[22:23], off
	global_load_b128 v[18:21], v[22:23], off offset:16
	s_wait_loadcnt 0x1
	v_fma_f64 v[5:6], v[3:4], v[14:15], v[12:13]
	v_fma_f64 v[7:8], v[3:4], v[16:17], v[10:11]
	s_wait_loadcnt 0x0
	v_fma_f64 v[0:1], v[3:4], v[18:19], v[24:25]
	v_fma_f64 v[2:3], v[3:4], v[20:21], v[26:27]
	s_clause 0x1
	global_store_b128 v[22:23], v[5:8], off
	global_store_b128 v[22:23], v[0:3], off offset:16
.LBB50_23:
	s_endpgm
	.section	.rodata,"a",@progbits
	.p2align	6, 0x0
	.amdhsa_kernel _ZN9rocsparseL19gebsrmvn_4xn_kernelILj128ELj3ELj32EdEEvi20rocsparse_direction_NS_24const_host_device_scalarIT2_EEPKiS6_PKS3_S8_S4_PS3_21rocsparse_index_base_b
		.amdhsa_group_segment_fixed_size 0
		.amdhsa_private_segment_fixed_size 0
		.amdhsa_kernarg_size 72
		.amdhsa_user_sgpr_count 2
		.amdhsa_user_sgpr_dispatch_ptr 0
		.amdhsa_user_sgpr_queue_ptr 0
		.amdhsa_user_sgpr_kernarg_segment_ptr 1
		.amdhsa_user_sgpr_dispatch_id 0
		.amdhsa_user_sgpr_private_segment_size 0
		.amdhsa_wavefront_size32 1
		.amdhsa_uses_dynamic_stack 0
		.amdhsa_enable_private_segment 0
		.amdhsa_system_sgpr_workgroup_id_x 1
		.amdhsa_system_sgpr_workgroup_id_y 0
		.amdhsa_system_sgpr_workgroup_id_z 0
		.amdhsa_system_sgpr_workgroup_info 0
		.amdhsa_system_vgpr_workitem_id 0
		.amdhsa_next_free_vgpr 49
		.amdhsa_next_free_sgpr 14
		.amdhsa_reserve_vcc 1
		.amdhsa_float_round_mode_32 0
		.amdhsa_float_round_mode_16_64 0
		.amdhsa_float_denorm_mode_32 3
		.amdhsa_float_denorm_mode_16_64 3
		.amdhsa_fp16_overflow 0
		.amdhsa_workgroup_processor_mode 1
		.amdhsa_memory_ordered 1
		.amdhsa_forward_progress 1
		.amdhsa_inst_pref_size 22
		.amdhsa_round_robin_scheduling 0
		.amdhsa_exception_fp_ieee_invalid_op 0
		.amdhsa_exception_fp_denorm_src 0
		.amdhsa_exception_fp_ieee_div_zero 0
		.amdhsa_exception_fp_ieee_overflow 0
		.amdhsa_exception_fp_ieee_underflow 0
		.amdhsa_exception_fp_ieee_inexact 0
		.amdhsa_exception_int_div_zero 0
	.end_amdhsa_kernel
	.section	.text._ZN9rocsparseL19gebsrmvn_4xn_kernelILj128ELj3ELj32EdEEvi20rocsparse_direction_NS_24const_host_device_scalarIT2_EEPKiS6_PKS3_S8_S4_PS3_21rocsparse_index_base_b,"axG",@progbits,_ZN9rocsparseL19gebsrmvn_4xn_kernelILj128ELj3ELj32EdEEvi20rocsparse_direction_NS_24const_host_device_scalarIT2_EEPKiS6_PKS3_S8_S4_PS3_21rocsparse_index_base_b,comdat
.Lfunc_end50:
	.size	_ZN9rocsparseL19gebsrmvn_4xn_kernelILj128ELj3ELj32EdEEvi20rocsparse_direction_NS_24const_host_device_scalarIT2_EEPKiS6_PKS3_S8_S4_PS3_21rocsparse_index_base_b, .Lfunc_end50-_ZN9rocsparseL19gebsrmvn_4xn_kernelILj128ELj3ELj32EdEEvi20rocsparse_direction_NS_24const_host_device_scalarIT2_EEPKiS6_PKS3_S8_S4_PS3_21rocsparse_index_base_b
                                        ; -- End function
	.set _ZN9rocsparseL19gebsrmvn_4xn_kernelILj128ELj3ELj32EdEEvi20rocsparse_direction_NS_24const_host_device_scalarIT2_EEPKiS6_PKS3_S8_S4_PS3_21rocsparse_index_base_b.num_vgpr, 49
	.set _ZN9rocsparseL19gebsrmvn_4xn_kernelILj128ELj3ELj32EdEEvi20rocsparse_direction_NS_24const_host_device_scalarIT2_EEPKiS6_PKS3_S8_S4_PS3_21rocsparse_index_base_b.num_agpr, 0
	.set _ZN9rocsparseL19gebsrmvn_4xn_kernelILj128ELj3ELj32EdEEvi20rocsparse_direction_NS_24const_host_device_scalarIT2_EEPKiS6_PKS3_S8_S4_PS3_21rocsparse_index_base_b.numbered_sgpr, 14
	.set _ZN9rocsparseL19gebsrmvn_4xn_kernelILj128ELj3ELj32EdEEvi20rocsparse_direction_NS_24const_host_device_scalarIT2_EEPKiS6_PKS3_S8_S4_PS3_21rocsparse_index_base_b.num_named_barrier, 0
	.set _ZN9rocsparseL19gebsrmvn_4xn_kernelILj128ELj3ELj32EdEEvi20rocsparse_direction_NS_24const_host_device_scalarIT2_EEPKiS6_PKS3_S8_S4_PS3_21rocsparse_index_base_b.private_seg_size, 0
	.set _ZN9rocsparseL19gebsrmvn_4xn_kernelILj128ELj3ELj32EdEEvi20rocsparse_direction_NS_24const_host_device_scalarIT2_EEPKiS6_PKS3_S8_S4_PS3_21rocsparse_index_base_b.uses_vcc, 1
	.set _ZN9rocsparseL19gebsrmvn_4xn_kernelILj128ELj3ELj32EdEEvi20rocsparse_direction_NS_24const_host_device_scalarIT2_EEPKiS6_PKS3_S8_S4_PS3_21rocsparse_index_base_b.uses_flat_scratch, 0
	.set _ZN9rocsparseL19gebsrmvn_4xn_kernelILj128ELj3ELj32EdEEvi20rocsparse_direction_NS_24const_host_device_scalarIT2_EEPKiS6_PKS3_S8_S4_PS3_21rocsparse_index_base_b.has_dyn_sized_stack, 0
	.set _ZN9rocsparseL19gebsrmvn_4xn_kernelILj128ELj3ELj32EdEEvi20rocsparse_direction_NS_24const_host_device_scalarIT2_EEPKiS6_PKS3_S8_S4_PS3_21rocsparse_index_base_b.has_recursion, 0
	.set _ZN9rocsparseL19gebsrmvn_4xn_kernelILj128ELj3ELj32EdEEvi20rocsparse_direction_NS_24const_host_device_scalarIT2_EEPKiS6_PKS3_S8_S4_PS3_21rocsparse_index_base_b.has_indirect_call, 0
	.section	.AMDGPU.csdata,"",@progbits
; Kernel info:
; codeLenInByte = 2752
; TotalNumSgprs: 16
; NumVgprs: 49
; ScratchSize: 0
; MemoryBound: 0
; FloatMode: 240
; IeeeMode: 1
; LDSByteSize: 0 bytes/workgroup (compile time only)
; SGPRBlocks: 0
; VGPRBlocks: 6
; NumSGPRsForWavesPerEU: 16
; NumVGPRsForWavesPerEU: 49
; Occupancy: 16
; WaveLimiterHint : 1
; COMPUTE_PGM_RSRC2:SCRATCH_EN: 0
; COMPUTE_PGM_RSRC2:USER_SGPR: 2
; COMPUTE_PGM_RSRC2:TRAP_HANDLER: 0
; COMPUTE_PGM_RSRC2:TGID_X_EN: 1
; COMPUTE_PGM_RSRC2:TGID_Y_EN: 0
; COMPUTE_PGM_RSRC2:TGID_Z_EN: 0
; COMPUTE_PGM_RSRC2:TIDIG_COMP_CNT: 0
	.section	.text._ZN9rocsparseL19gebsrmvn_4xn_kernelILj128ELj3ELj64EdEEvi20rocsparse_direction_NS_24const_host_device_scalarIT2_EEPKiS6_PKS3_S8_S4_PS3_21rocsparse_index_base_b,"axG",@progbits,_ZN9rocsparseL19gebsrmvn_4xn_kernelILj128ELj3ELj64EdEEvi20rocsparse_direction_NS_24const_host_device_scalarIT2_EEPKiS6_PKS3_S8_S4_PS3_21rocsparse_index_base_b,comdat
	.globl	_ZN9rocsparseL19gebsrmvn_4xn_kernelILj128ELj3ELj64EdEEvi20rocsparse_direction_NS_24const_host_device_scalarIT2_EEPKiS6_PKS3_S8_S4_PS3_21rocsparse_index_base_b ; -- Begin function _ZN9rocsparseL19gebsrmvn_4xn_kernelILj128ELj3ELj64EdEEvi20rocsparse_direction_NS_24const_host_device_scalarIT2_EEPKiS6_PKS3_S8_S4_PS3_21rocsparse_index_base_b
	.p2align	8
	.type	_ZN9rocsparseL19gebsrmvn_4xn_kernelILj128ELj3ELj64EdEEvi20rocsparse_direction_NS_24const_host_device_scalarIT2_EEPKiS6_PKS3_S8_S4_PS3_21rocsparse_index_base_b,@function
_ZN9rocsparseL19gebsrmvn_4xn_kernelILj128ELj3ELj64EdEEvi20rocsparse_direction_NS_24const_host_device_scalarIT2_EEPKiS6_PKS3_S8_S4_PS3_21rocsparse_index_base_b: ; @_ZN9rocsparseL19gebsrmvn_4xn_kernelILj128ELj3ELj64EdEEvi20rocsparse_direction_NS_24const_host_device_scalarIT2_EEPKiS6_PKS3_S8_S4_PS3_21rocsparse_index_base_b
; %bb.0:
	s_clause 0x2
	s_load_b64 s[12:13], s[0:1], 0x40
	s_load_b64 s[4:5], s[0:1], 0x8
	;; [unrolled: 1-line block ×3, first 2 shown]
	s_wait_kmcnt 0x0
	s_bitcmp1_b32 s13, 0
	v_dual_mov_b32 v1, s4 :: v_dual_mov_b32 v2, s5
	s_cselect_b32 s6, -1, 0
	s_delay_alu instid0(SALU_CYCLE_1)
	s_and_b32 vcc_lo, exec_lo, s6
	s_xor_b32 s6, s6, -1
	s_cbranch_vccnz .LBB51_2
; %bb.1:
	v_dual_mov_b32 v1, s4 :: v_dual_mov_b32 v2, s5
	flat_load_b64 v[1:2], v[1:2]
.LBB51_2:
	v_dual_mov_b32 v4, s3 :: v_dual_mov_b32 v3, s2
	s_and_not1_b32 vcc_lo, exec_lo, s6
	s_cbranch_vccnz .LBB51_4
; %bb.3:
	v_dual_mov_b32 v4, s3 :: v_dual_mov_b32 v3, s2
	flat_load_b64 v[3:4], v[3:4]
.LBB51_4:
	s_wait_loadcnt_dscnt 0x0
	v_cmp_neq_f64_e32 vcc_lo, 0, v[1:2]
	v_cmp_neq_f64_e64 s2, 1.0, v[3:4]
	s_or_b32 s2, vcc_lo, s2
	s_wait_alu 0xfffe
	s_and_saveexec_b32 s3, s2
	s_cbranch_execz .LBB51_23
; %bb.5:
	s_load_b64 s[2:3], s[0:1], 0x0
	v_lshrrev_b32_e32 v5, 6, v0
	s_delay_alu instid0(VALU_DEP_1) | instskip(SKIP_1) | instid1(VALU_DEP_1)
	v_lshl_or_b32 v5, ttmp9, 1, v5
	s_wait_kmcnt 0x0
	v_cmp_gt_i32_e32 vcc_lo, s2, v5
	s_and_b32 exec_lo, exec_lo, vcc_lo
	s_cbranch_execz .LBB51_23
; %bb.6:
	s_load_b256 s[4:11], s[0:1], 0x10
	v_ashrrev_i32_e32 v6, 31, v5
	v_and_b32_e32 v0, 63, v0
	s_cmp_lg_u32 s3, 0
	s_delay_alu instid0(VALU_DEP_2) | instskip(SKIP_1) | instid1(VALU_DEP_1)
	v_lshlrev_b64_e32 v[6:7], 2, v[5:6]
	s_wait_kmcnt 0x0
	v_add_co_u32 v6, vcc_lo, s4, v6
	s_delay_alu instid0(VALU_DEP_1) | instskip(SKIP_4) | instid1(VALU_DEP_2)
	v_add_co_ci_u32_e64 v7, null, s5, v7, vcc_lo
	global_load_b64 v[6:7], v[6:7], off
	s_wait_loadcnt 0x0
	v_subrev_nc_u32_e32 v6, s12, v6
	v_subrev_nc_u32_e32 v20, s12, v7
	v_add_nc_u32_e32 v14, v6, v0
	s_delay_alu instid0(VALU_DEP_1)
	v_cmp_lt_i32_e64 s2, v14, v20
	s_cbranch_scc0 .LBB51_12
; %bb.7:
	v_mov_b32_e32 v6, 0
	v_dual_mov_b32 v10, 0 :: v_dual_mov_b32 v7, 0
	v_dual_mov_b32 v8, 0 :: v_dual_mov_b32 v11, 0
	;; [unrolled: 1-line block ×3, first 2 shown]
	v_mov_b32_e32 v13, 0
	s_and_saveexec_b32 s3, s2
	s_cbranch_execz .LBB51_11
; %bb.8:
	v_mul_lo_u32 v15, v14, 12
	v_mov_b32_e32 v6, 0
	v_mov_b32_e32 v8, 0
	;; [unrolled: 1-line block ×3, first 2 shown]
	v_dual_mov_b32 v12, 0 :: v_dual_mov_b32 v17, v14
	v_dual_mov_b32 v7, 0 :: v_dual_mov_b32 v16, 0
	v_mov_b32_e32 v9, 0
	v_mov_b32_e32 v11, 0
	;; [unrolled: 1-line block ×3, first 2 shown]
	s_mov_b32 s4, 0
.LBB51_9:                               ; =>This Inner Loop Header: Depth=1
	v_ashrrev_i32_e32 v18, 31, v17
	v_dual_mov_b32 v42, v16 :: v_dual_add_nc_u32 v29, 4, v15
	v_dual_mov_b32 v30, v16 :: v_dual_add_nc_u32 v37, 8, v15
	s_delay_alu instid0(VALU_DEP_3) | instskip(SKIP_1) | instid1(VALU_DEP_3)
	v_lshlrev_b64_e32 v[18:19], 2, v[17:18]
	v_add_nc_u32_e32 v17, 64, v17
	v_lshlrev_b64_e32 v[29:30], 3, v[29:30]
	s_delay_alu instid0(VALU_DEP_3) | instskip(SKIP_1) | instid1(VALU_DEP_4)
	v_add_co_u32 v18, vcc_lo, s6, v18
	s_wait_alu 0xfffd
	v_add_co_ci_u32_e64 v19, null, s7, v19, vcc_lo
	global_load_b32 v25, v[18:19], off
	v_lshlrev_b64_e32 v[18:19], 3, v[15:16]
	v_add_nc_u32_e32 v15, 0x300, v15
	s_delay_alu instid0(VALU_DEP_2) | instskip(SKIP_1) | instid1(VALU_DEP_3)
	v_add_co_u32 v18, vcc_lo, s8, v18
	s_wait_alu 0xfffd
	v_add_co_ci_u32_e64 v19, null, s9, v19, vcc_lo
	global_load_b128 v[21:24], v[18:19], off offset:16
	s_wait_loadcnt 0x1
	v_subrev_nc_u32_e32 v25, s12, v25
	s_delay_alu instid0(VALU_DEP_1) | instskip(NEXT) | instid1(VALU_DEP_1)
	v_lshl_add_u32 v41, v25, 1, v25
	v_dual_mov_b32 v34, v16 :: v_dual_add_nc_u32 v33, 1, v41
	v_lshlrev_b64_e32 v[25:26], 3, v[41:42]
	v_add_nc_u32_e32 v41, 2, v41
	s_delay_alu instid0(VALU_DEP_3) | instskip(NEXT) | instid1(VALU_DEP_3)
	v_lshlrev_b64_e32 v[33:34], 3, v[33:34]
	v_add_co_u32 v31, vcc_lo, s10, v25
	s_wait_alu 0xfffd
	s_delay_alu instid0(VALU_DEP_4)
	v_add_co_ci_u32_e64 v32, null, s11, v26, vcc_lo
	global_load_b128 v[25:28], v[18:19], off
	global_load_b64 v[18:19], v[31:32], off
	v_add_co_u32 v35, vcc_lo, s8, v29
	s_wait_alu 0xfffd
	v_add_co_ci_u32_e64 v36, null, s9, v30, vcc_lo
	v_add_co_u32 v38, vcc_lo, s10, v33
	s_wait_alu 0xfffd
	v_add_co_ci_u32_e64 v39, null, s11, v34, vcc_lo
	s_clause 0x1
	global_load_b128 v[29:32], v[35:36], off offset:16
	global_load_b128 v[33:36], v[35:36], off
	global_load_b64 v[45:46], v[38:39], off
	v_mov_b32_e32 v38, v16
	v_lshlrev_b64_e32 v[41:42], 3, v[41:42]
	s_delay_alu instid0(VALU_DEP_2) | instskip(NEXT) | instid1(VALU_DEP_1)
	v_lshlrev_b64_e32 v[37:38], 3, v[37:38]
	v_add_co_u32 v43, vcc_lo, s8, v37
	s_wait_alu 0xfffd
	s_delay_alu instid0(VALU_DEP_2) | instskip(NEXT) | instid1(VALU_DEP_4)
	v_add_co_ci_u32_e64 v44, null, s9, v38, vcc_lo
	v_add_co_u32 v47, vcc_lo, s10, v41
	s_wait_alu 0xfffd
	v_add_co_ci_u32_e64 v48, null, s11, v42, vcc_lo
	s_clause 0x1
	global_load_b128 v[37:40], v[43:44], off offset:16
	global_load_b128 v[41:44], v[43:44], off
	global_load_b64 v[47:48], v[47:48], off
	v_cmp_ge_i32_e32 vcc_lo, v17, v20
	s_wait_alu 0xfffe
	s_or_b32 s4, vcc_lo, s4
	s_wait_loadcnt 0x6
	v_fma_f64 v[6:7], v[25:26], v[18:19], v[6:7]
	v_fma_f64 v[12:13], v[27:28], v[18:19], v[12:13]
	;; [unrolled: 1-line block ×4, first 2 shown]
	s_wait_loadcnt 0x3
	s_delay_alu instid0(VALU_DEP_4) | instskip(NEXT) | instid1(VALU_DEP_4)
	v_fma_f64 v[6:7], v[33:34], v[45:46], v[6:7]
	v_fma_f64 v[12:13], v[35:36], v[45:46], v[12:13]
	s_delay_alu instid0(VALU_DEP_4) | instskip(NEXT) | instid1(VALU_DEP_4)
	v_fma_f64 v[10:11], v[29:30], v[45:46], v[10:11]
	v_fma_f64 v[8:9], v[31:32], v[45:46], v[8:9]
	s_wait_loadcnt 0x0
	s_delay_alu instid0(VALU_DEP_4) | instskip(NEXT) | instid1(VALU_DEP_4)
	v_fma_f64 v[6:7], v[41:42], v[47:48], v[6:7]
	v_fma_f64 v[12:13], v[43:44], v[47:48], v[12:13]
	s_delay_alu instid0(VALU_DEP_4) | instskip(NEXT) | instid1(VALU_DEP_4)
	v_fma_f64 v[10:11], v[37:38], v[47:48], v[10:11]
	v_fma_f64 v[8:9], v[39:40], v[47:48], v[8:9]
	s_wait_alu 0xfffe
	s_and_not1_b32 exec_lo, exec_lo, s4
	s_cbranch_execnz .LBB51_9
; %bb.10:
	s_or_b32 exec_lo, exec_lo, s4
.LBB51_11:
	s_wait_alu 0xfffe
	s_or_b32 exec_lo, exec_lo, s3
	s_cbranch_execz .LBB51_13
	s_branch .LBB51_18
.LBB51_12:
                                        ; implicit-def: $vgpr6_vgpr7
                                        ; implicit-def: $vgpr8_vgpr9
                                        ; implicit-def: $vgpr10_vgpr11
                                        ; implicit-def: $vgpr12_vgpr13
.LBB51_13:
	v_mov_b32_e32 v6, 0
	v_dual_mov_b32 v10, 0 :: v_dual_mov_b32 v7, 0
	v_dual_mov_b32 v8, 0 :: v_dual_mov_b32 v11, 0
	;; [unrolled: 1-line block ×3, first 2 shown]
	v_mov_b32_e32 v13, 0
	s_and_saveexec_b32 s3, s2
	s_cbranch_execz .LBB51_17
; %bb.14:
	v_mad_co_u64_u32 v[16:17], null, v14, 12, 11
	v_mov_b32_e32 v6, 0
	v_dual_mov_b32 v10, 0 :: v_dual_mov_b32 v7, 0
	v_dual_mov_b32 v8, 0 :: v_dual_mov_b32 v11, 0
	;; [unrolled: 1-line block ×3, first 2 shown]
	v_mov_b32_e32 v13, 0
	v_mov_b32_e32 v19, 0
	s_mov_b32 s2, 0
.LBB51_15:                              ; =>This Inner Loop Header: Depth=1
	v_ashrrev_i32_e32 v15, 31, v14
	s_delay_alu instid0(VALU_DEP_2) | instskip(SKIP_1) | instid1(VALU_DEP_3)
	v_dual_mov_b32 v30, v19 :: v_dual_add_nc_u32 v21, -5, v16
	v_dual_mov_b32 v22, v19 :: v_dual_add_nc_u32 v23, -2, v16
	v_lshlrev_b64_e32 v[17:18], 2, v[14:15]
	v_mov_b32_e32 v24, v19
	v_add_nc_u32_e32 v14, 64, v14
	s_delay_alu instid0(VALU_DEP_4) | instskip(NEXT) | instid1(VALU_DEP_3)
	v_lshlrev_b64_e32 v[21:22], 3, v[21:22]
	v_lshlrev_b64_e32 v[23:24], 3, v[23:24]
	v_add_co_u32 v17, vcc_lo, s6, v17
	s_wait_alu 0xfffd
	v_add_co_ci_u32_e64 v18, null, s7, v18, vcc_lo
	global_load_b32 v15, v[17:18], off
	v_dual_mov_b32 v17, v19 :: v_dual_add_nc_u32 v18, -11, v16
	s_delay_alu instid0(VALU_DEP_1) | instskip(NEXT) | instid1(VALU_DEP_1)
	v_lshlrev_b64_e32 v[25:26], 3, v[18:19]
	v_add_co_u32 v25, vcc_lo, s8, v25
	s_wait_alu 0xfffd
	s_delay_alu instid0(VALU_DEP_2)
	v_add_co_ci_u32_e64 v26, null, s9, v26, vcc_lo
	v_add_co_u32 v31, vcc_lo, s8, v21
	s_wait_alu 0xfffd
	v_add_co_ci_u32_e64 v32, null, s9, v22, vcc_lo
	v_add_co_u32 v33, vcc_lo, s8, v23
	s_wait_alu 0xfffd
	v_add_co_ci_u32_e64 v34, null, s9, v24, vcc_lo
	s_clause 0x3
	global_load_b128 v[21:24], v[25:26], off offset:16
	global_load_b128 v[25:28], v[25:26], off
	global_load_b64 v[31:32], v[31:32], off
	global_load_b64 v[33:34], v[33:34], off
	s_wait_loadcnt 0x4
	v_subrev_nc_u32_e32 v15, s12, v15
	s_delay_alu instid0(VALU_DEP_1) | instskip(NEXT) | instid1(VALU_DEP_1)
	v_lshl_add_u32 v29, v15, 1, v15
	v_lshlrev_b64_e32 v[35:36], 3, v[29:30]
	v_add_nc_u32_e32 v18, 1, v29
	s_delay_alu instid0(VALU_DEP_1) | instskip(NEXT) | instid1(VALU_DEP_3)
	v_lshlrev_b64_e32 v[37:38], 3, v[18:19]
	v_add_co_u32 v35, vcc_lo, s10, v35
	s_wait_alu 0xfffd
	s_delay_alu instid0(VALU_DEP_4) | instskip(SKIP_1) | instid1(VALU_DEP_4)
	v_add_co_ci_u32_e64 v36, null, s11, v36, vcc_lo
	v_add_nc_u32_e32 v18, -7, v16
	v_add_co_u32 v37, vcc_lo, s10, v37
	global_load_b64 v[35:36], v[35:36], off
	s_wait_alu 0xfffd
	v_add_co_ci_u32_e64 v38, null, s11, v38, vcc_lo
	v_lshlrev_b64_e32 v[39:40], 3, v[18:19]
	v_add_nc_u32_e32 v18, -4, v16
	global_load_b64 v[37:38], v[37:38], off
	v_lshlrev_b64_e32 v[41:42], 3, v[18:19]
	v_add_nc_u32_e32 v18, -1, v16
	v_add_co_u32 v39, vcc_lo, s8, v39
	s_wait_alu 0xfffd
	v_add_co_ci_u32_e64 v40, null, s9, v40, vcc_lo
	s_delay_alu instid0(VALU_DEP_3)
	v_lshlrev_b64_e32 v[43:44], 3, v[18:19]
	v_add_co_u32 v41, vcc_lo, s8, v41
	s_wait_alu 0xfffd
	v_add_co_ci_u32_e64 v42, null, s9, v42, vcc_lo
	global_load_b64 v[39:40], v[39:40], off
	v_add_co_u32 v43, vcc_lo, s8, v43
	s_wait_alu 0xfffd
	v_add_co_ci_u32_e64 v44, null, s9, v44, vcc_lo
	s_clause 0x1
	global_load_b64 v[41:42], v[41:42], off
	global_load_b64 v[43:44], v[43:44], off
	v_lshlrev_b64_e32 v[17:18], 3, v[16:17]
	s_delay_alu instid0(VALU_DEP_1) | instskip(SKIP_1) | instid1(VALU_DEP_2)
	v_add_co_u32 v45, vcc_lo, s8, v17
	s_wait_alu 0xfffd
	v_add_co_ci_u32_e64 v46, null, s9, v18, vcc_lo
	v_add_nc_u32_e32 v18, 2, v29
	s_delay_alu instid0(VALU_DEP_1) | instskip(SKIP_1) | instid1(VALU_DEP_1)
	v_lshlrev_b64_e32 v[29:30], 3, v[18:19]
	v_add_nc_u32_e32 v18, -6, v16
	v_lshlrev_b64_e32 v[47:48], 3, v[18:19]
	v_add_nc_u32_e32 v18, -3, v16
	s_delay_alu instid0(VALU_DEP_4) | instskip(SKIP_2) | instid1(VALU_DEP_3)
	v_add_co_u32 v29, vcc_lo, s10, v29
	s_wait_alu 0xfffd
	v_add_co_ci_u32_e64 v30, null, s11, v30, vcc_lo
	v_lshlrev_b64_e32 v[17:18], 3, v[18:19]
	v_add_co_u32 v47, vcc_lo, s8, v47
	s_wait_alu 0xfffd
	v_add_co_ci_u32_e64 v48, null, s9, v48, vcc_lo
	v_add_nc_u32_e32 v16, 0x300, v16
	s_delay_alu instid0(VALU_DEP_4)
	v_add_co_u32 v17, vcc_lo, s8, v17
	s_wait_alu 0xfffd
	v_add_co_ci_u32_e64 v18, null, s9, v18, vcc_lo
	global_load_b64 v[29:30], v[29:30], off
	s_clause 0x2
	global_load_b64 v[47:48], v[47:48], off
	global_load_b64 v[17:18], v[17:18], off
	;; [unrolled: 1-line block ×3, first 2 shown]
	v_cmp_ge_i32_e32 vcc_lo, v14, v20
	s_wait_alu 0xfffe
	s_or_b32 s2, vcc_lo, s2
	s_wait_loadcnt 0x8
	v_fma_f64 v[6:7], v[25:26], v[35:36], v[6:7]
	v_fma_f64 v[12:13], v[23:24], v[35:36], v[12:13]
	;; [unrolled: 1-line block ×4, first 2 shown]
	s_wait_loadcnt 0x7
	s_delay_alu instid0(VALU_DEP_4) | instskip(SKIP_1) | instid1(VALU_DEP_4)
	v_fma_f64 v[6:7], v[27:28], v[37:38], v[6:7]
	s_wait_loadcnt 0x6
	v_fma_f64 v[12:13], v[39:40], v[37:38], v[12:13]
	s_wait_loadcnt 0x5
	s_delay_alu instid0(VALU_DEP_4) | instskip(SKIP_1) | instid1(VALU_DEP_4)
	v_fma_f64 v[10:11], v[41:42], v[37:38], v[10:11]
	s_wait_loadcnt 0x4
	v_fma_f64 v[8:9], v[43:44], v[37:38], v[8:9]
	;; [unrolled: 5-line block ×4, first 2 shown]
	s_wait_alu 0xfffe
	s_and_not1_b32 exec_lo, exec_lo, s2
	s_cbranch_execnz .LBB51_15
; %bb.16:
	s_or_b32 exec_lo, exec_lo, s2
.LBB51_17:
	s_wait_alu 0xfffe
	s_or_b32 exec_lo, exec_lo, s3
.LBB51_18:
	v_mbcnt_lo_u32_b32 v24, -1, 0
	s_delay_alu instid0(VALU_DEP_1) | instskip(NEXT) | instid1(VALU_DEP_1)
	v_or_b32_e32 v14, 32, v24
	v_cmp_gt_i32_e32 vcc_lo, 32, v14
	s_wait_alu 0xfffd
	v_cndmask_b32_e32 v14, v24, v14, vcc_lo
	s_delay_alu instid0(VALU_DEP_1)
	v_lshlrev_b32_e32 v21, 2, v14
	ds_bpermute_b32 v14, v21, v6
	ds_bpermute_b32 v15, v21, v7
	ds_bpermute_b32 v16, v21, v12
	ds_bpermute_b32 v17, v21, v13
	ds_bpermute_b32 v18, v21, v10
	ds_bpermute_b32 v19, v21, v11
	ds_bpermute_b32 v20, v21, v8
	ds_bpermute_b32 v21, v21, v9
	s_wait_dscnt 0x6
	v_add_f64_e32 v[6:7], v[6:7], v[14:15]
	v_xor_b32_e32 v14, 16, v24
	s_wait_dscnt 0x4
	v_add_f64_e32 v[12:13], v[12:13], v[16:17]
	s_wait_dscnt 0x2
	v_add_f64_e32 v[10:11], v[10:11], v[18:19]
	s_wait_dscnt 0x0
	v_add_f64_e32 v[8:9], v[8:9], v[20:21]
	v_cmp_gt_i32_e32 vcc_lo, 32, v14
	s_wait_alu 0xfffd
	v_cndmask_b32_e32 v14, v24, v14, vcc_lo
	s_delay_alu instid0(VALU_DEP_1)
	v_lshlrev_b32_e32 v21, 2, v14
	ds_bpermute_b32 v14, v21, v6
	ds_bpermute_b32 v15, v21, v7
	ds_bpermute_b32 v16, v21, v12
	ds_bpermute_b32 v17, v21, v13
	ds_bpermute_b32 v18, v21, v10
	ds_bpermute_b32 v19, v21, v11
	ds_bpermute_b32 v20, v21, v8
	ds_bpermute_b32 v21, v21, v9
	s_wait_dscnt 0x6
	v_add_f64_e32 v[6:7], v[6:7], v[14:15]
	v_xor_b32_e32 v14, 8, v24
	s_wait_dscnt 0x4
	v_add_f64_e32 v[12:13], v[12:13], v[16:17]
	s_wait_dscnt 0x2
	v_add_f64_e32 v[10:11], v[10:11], v[18:19]
	s_wait_dscnt 0x0
	v_add_f64_e32 v[8:9], v[8:9], v[20:21]
	v_cmp_gt_i32_e32 vcc_lo, 32, v14
	s_wait_alu 0xfffd
	v_cndmask_b32_e32 v14, v24, v14, vcc_lo
	s_delay_alu instid0(VALU_DEP_1)
	v_lshlrev_b32_e32 v21, 2, v14
	ds_bpermute_b32 v14, v21, v6
	ds_bpermute_b32 v15, v21, v7
	ds_bpermute_b32 v16, v21, v12
	ds_bpermute_b32 v17, v21, v13
	ds_bpermute_b32 v18, v21, v10
	ds_bpermute_b32 v19, v21, v11
	ds_bpermute_b32 v20, v21, v8
	ds_bpermute_b32 v21, v21, v9
	s_wait_dscnt 0x6
	v_add_f64_e32 v[6:7], v[6:7], v[14:15]
	v_xor_b32_e32 v14, 4, v24
	s_wait_dscnt 0x4
	v_add_f64_e32 v[12:13], v[12:13], v[16:17]
	s_wait_dscnt 0x2
	v_add_f64_e32 v[10:11], v[10:11], v[18:19]
	s_wait_dscnt 0x0
	v_add_f64_e32 v[8:9], v[8:9], v[20:21]
	v_cmp_gt_i32_e32 vcc_lo, 32, v14
	s_wait_alu 0xfffd
	v_cndmask_b32_e32 v14, v24, v14, vcc_lo
	s_delay_alu instid0(VALU_DEP_1)
	v_lshlrev_b32_e32 v21, 2, v14
	ds_bpermute_b32 v14, v21, v6
	ds_bpermute_b32 v15, v21, v7
	;; [unrolled: 1-line block ×8, first 2 shown]
	s_wait_dscnt 0x6
	v_add_f64_e32 v[6:7], v[6:7], v[14:15]
	s_wait_dscnt 0x4
	v_add_f64_e32 v[14:15], v[12:13], v[16:17]
	;; [unrolled: 2-line block ×3, first 2 shown]
	v_xor_b32_e32 v10, 2, v24
	s_wait_dscnt 0x0
	v_add_f64_e32 v[8:9], v[8:9], v[20:21]
	s_delay_alu instid0(VALU_DEP_2) | instskip(SKIP_2) | instid1(VALU_DEP_1)
	v_cmp_gt_i32_e32 vcc_lo, 32, v10
	s_wait_alu 0xfffd
	v_cndmask_b32_e32 v10, v24, v10, vcc_lo
	v_lshlrev_b32_e32 v12, 2, v10
	ds_bpermute_b32 v10, v12, v6
	ds_bpermute_b32 v11, v12, v7
	;; [unrolled: 1-line block ×8, first 2 shown]
	s_wait_dscnt 0x6
	v_add_f64_e32 v[12:13], v[6:7], v[10:11]
	s_wait_dscnt 0x4
	v_add_f64_e32 v[10:11], v[14:15], v[18:19]
	v_xor_b32_e32 v14, 1, v24
	s_wait_dscnt 0x2
	v_add_f64_e32 v[6:7], v[16:17], v[20:21]
	s_wait_dscnt 0x0
	v_add_f64_e32 v[8:9], v[8:9], v[22:23]
	v_cmp_gt_i32_e32 vcc_lo, 32, v14
	s_wait_alu 0xfffd
	v_cndmask_b32_e32 v14, v24, v14, vcc_lo
	v_cmp_eq_u32_e32 vcc_lo, 63, v0
	s_delay_alu instid0(VALU_DEP_2)
	v_lshlrev_b32_e32 v15, 2, v14
	ds_bpermute_b32 v20, v15, v12
	ds_bpermute_b32 v21, v15, v13
	;; [unrolled: 1-line block ×8, first 2 shown]
	s_and_b32 exec_lo, exec_lo, vcc_lo
	s_cbranch_execz .LBB51_23
; %bb.19:
	s_wait_dscnt 0x6
	v_add_f64_e32 v[12:13], v[12:13], v[20:21]
	s_wait_dscnt 0x4
	v_add_f64_e32 v[10:11], v[10:11], v[18:19]
	;; [unrolled: 2-line block ×4, first 2 shown]
	s_load_b64 s[0:1], s[0:1], 0x38
	s_mov_b32 s2, exec_lo
	v_cmpx_eq_f64_e32 0, v[3:4]
	s_wait_alu 0xfffe
	s_xor_b32 s2, exec_lo, s2
	s_cbranch_execz .LBB51_21
; %bb.20:
	v_mul_f64_e32 v[12:13], v[1:2], v[12:13]
	v_mul_f64_e32 v[14:15], v[1:2], v[10:11]
	;; [unrolled: 1-line block ×4, first 2 shown]
	v_lshlrev_b32_e32 v0, 2, v5
                                        ; implicit-def: $vgpr5
                                        ; implicit-def: $vgpr3_vgpr4
                                        ; implicit-def: $vgpr10_vgpr11
	s_delay_alu instid0(VALU_DEP_1) | instskip(NEXT) | instid1(VALU_DEP_1)
	v_ashrrev_i32_e32 v1, 31, v0
	v_lshlrev_b64_e32 v[0:1], 3, v[0:1]
	s_wait_kmcnt 0x0
	s_delay_alu instid0(VALU_DEP_1) | instskip(SKIP_1) | instid1(VALU_DEP_2)
	v_add_co_u32 v0, vcc_lo, s0, v0
	s_wait_alu 0xfffd
	v_add_co_ci_u32_e64 v1, null, s1, v1, vcc_lo
	s_clause 0x1
	global_store_b128 v[0:1], v[12:15], off
	global_store_b128 v[0:1], v[6:9], off offset:16
                                        ; implicit-def: $vgpr1_vgpr2
                                        ; implicit-def: $vgpr12_vgpr13
                                        ; implicit-def: $vgpr6_vgpr7
                                        ; implicit-def: $vgpr8_vgpr9
.LBB51_21:
	s_wait_alu 0xfffe
	s_and_not1_saveexec_b32 s2, s2
	s_cbranch_execz .LBB51_23
; %bb.22:
	v_lshlrev_b32_e32 v14, 2, v5
	v_mul_f64_e32 v[12:13], v[1:2], v[12:13]
	v_mul_f64_e32 v[10:11], v[1:2], v[10:11]
	;; [unrolled: 1-line block ×4, first 2 shown]
	v_ashrrev_i32_e32 v15, 31, v14
	s_delay_alu instid0(VALU_DEP_1) | instskip(SKIP_1) | instid1(VALU_DEP_1)
	v_lshlrev_b64_e32 v[14:15], 3, v[14:15]
	s_wait_kmcnt 0x0
	v_add_co_u32 v22, vcc_lo, s0, v14
	s_wait_alu 0xfffd
	s_delay_alu instid0(VALU_DEP_2)
	v_add_co_ci_u32_e64 v23, null, s1, v15, vcc_lo
	s_clause 0x1
	global_load_b128 v[14:17], v[22:23], off
	global_load_b128 v[18:21], v[22:23], off offset:16
	s_wait_loadcnt 0x1
	v_fma_f64 v[5:6], v[3:4], v[14:15], v[12:13]
	v_fma_f64 v[7:8], v[3:4], v[16:17], v[10:11]
	s_wait_loadcnt 0x0
	v_fma_f64 v[0:1], v[3:4], v[18:19], v[24:25]
	v_fma_f64 v[2:3], v[3:4], v[20:21], v[26:27]
	s_clause 0x1
	global_store_b128 v[22:23], v[5:8], off
	global_store_b128 v[22:23], v[0:3], off offset:16
.LBB51_23:
	s_endpgm
	.section	.rodata,"a",@progbits
	.p2align	6, 0x0
	.amdhsa_kernel _ZN9rocsparseL19gebsrmvn_4xn_kernelILj128ELj3ELj64EdEEvi20rocsparse_direction_NS_24const_host_device_scalarIT2_EEPKiS6_PKS3_S8_S4_PS3_21rocsparse_index_base_b
		.amdhsa_group_segment_fixed_size 0
		.amdhsa_private_segment_fixed_size 0
		.amdhsa_kernarg_size 72
		.amdhsa_user_sgpr_count 2
		.amdhsa_user_sgpr_dispatch_ptr 0
		.amdhsa_user_sgpr_queue_ptr 0
		.amdhsa_user_sgpr_kernarg_segment_ptr 1
		.amdhsa_user_sgpr_dispatch_id 0
		.amdhsa_user_sgpr_private_segment_size 0
		.amdhsa_wavefront_size32 1
		.amdhsa_uses_dynamic_stack 0
		.amdhsa_enable_private_segment 0
		.amdhsa_system_sgpr_workgroup_id_x 1
		.amdhsa_system_sgpr_workgroup_id_y 0
		.amdhsa_system_sgpr_workgroup_id_z 0
		.amdhsa_system_sgpr_workgroup_info 0
		.amdhsa_system_vgpr_workitem_id 0
		.amdhsa_next_free_vgpr 49
		.amdhsa_next_free_sgpr 14
		.amdhsa_reserve_vcc 1
		.amdhsa_float_round_mode_32 0
		.amdhsa_float_round_mode_16_64 0
		.amdhsa_float_denorm_mode_32 3
		.amdhsa_float_denorm_mode_16_64 3
		.amdhsa_fp16_overflow 0
		.amdhsa_workgroup_processor_mode 1
		.amdhsa_memory_ordered 1
		.amdhsa_forward_progress 1
		.amdhsa_inst_pref_size 23
		.amdhsa_round_robin_scheduling 0
		.amdhsa_exception_fp_ieee_invalid_op 0
		.amdhsa_exception_fp_denorm_src 0
		.amdhsa_exception_fp_ieee_div_zero 0
		.amdhsa_exception_fp_ieee_overflow 0
		.amdhsa_exception_fp_ieee_underflow 0
		.amdhsa_exception_fp_ieee_inexact 0
		.amdhsa_exception_int_div_zero 0
	.end_amdhsa_kernel
	.section	.text._ZN9rocsparseL19gebsrmvn_4xn_kernelILj128ELj3ELj64EdEEvi20rocsparse_direction_NS_24const_host_device_scalarIT2_EEPKiS6_PKS3_S8_S4_PS3_21rocsparse_index_base_b,"axG",@progbits,_ZN9rocsparseL19gebsrmvn_4xn_kernelILj128ELj3ELj64EdEEvi20rocsparse_direction_NS_24const_host_device_scalarIT2_EEPKiS6_PKS3_S8_S4_PS3_21rocsparse_index_base_b,comdat
.Lfunc_end51:
	.size	_ZN9rocsparseL19gebsrmvn_4xn_kernelILj128ELj3ELj64EdEEvi20rocsparse_direction_NS_24const_host_device_scalarIT2_EEPKiS6_PKS3_S8_S4_PS3_21rocsparse_index_base_b, .Lfunc_end51-_ZN9rocsparseL19gebsrmvn_4xn_kernelILj128ELj3ELj64EdEEvi20rocsparse_direction_NS_24const_host_device_scalarIT2_EEPKiS6_PKS3_S8_S4_PS3_21rocsparse_index_base_b
                                        ; -- End function
	.set _ZN9rocsparseL19gebsrmvn_4xn_kernelILj128ELj3ELj64EdEEvi20rocsparse_direction_NS_24const_host_device_scalarIT2_EEPKiS6_PKS3_S8_S4_PS3_21rocsparse_index_base_b.num_vgpr, 49
	.set _ZN9rocsparseL19gebsrmvn_4xn_kernelILj128ELj3ELj64EdEEvi20rocsparse_direction_NS_24const_host_device_scalarIT2_EEPKiS6_PKS3_S8_S4_PS3_21rocsparse_index_base_b.num_agpr, 0
	.set _ZN9rocsparseL19gebsrmvn_4xn_kernelILj128ELj3ELj64EdEEvi20rocsparse_direction_NS_24const_host_device_scalarIT2_EEPKiS6_PKS3_S8_S4_PS3_21rocsparse_index_base_b.numbered_sgpr, 14
	.set _ZN9rocsparseL19gebsrmvn_4xn_kernelILj128ELj3ELj64EdEEvi20rocsparse_direction_NS_24const_host_device_scalarIT2_EEPKiS6_PKS3_S8_S4_PS3_21rocsparse_index_base_b.num_named_barrier, 0
	.set _ZN9rocsparseL19gebsrmvn_4xn_kernelILj128ELj3ELj64EdEEvi20rocsparse_direction_NS_24const_host_device_scalarIT2_EEPKiS6_PKS3_S8_S4_PS3_21rocsparse_index_base_b.private_seg_size, 0
	.set _ZN9rocsparseL19gebsrmvn_4xn_kernelILj128ELj3ELj64EdEEvi20rocsparse_direction_NS_24const_host_device_scalarIT2_EEPKiS6_PKS3_S8_S4_PS3_21rocsparse_index_base_b.uses_vcc, 1
	.set _ZN9rocsparseL19gebsrmvn_4xn_kernelILj128ELj3ELj64EdEEvi20rocsparse_direction_NS_24const_host_device_scalarIT2_EEPKiS6_PKS3_S8_S4_PS3_21rocsparse_index_base_b.uses_flat_scratch, 0
	.set _ZN9rocsparseL19gebsrmvn_4xn_kernelILj128ELj3ELj64EdEEvi20rocsparse_direction_NS_24const_host_device_scalarIT2_EEPKiS6_PKS3_S8_S4_PS3_21rocsparse_index_base_b.has_dyn_sized_stack, 0
	.set _ZN9rocsparseL19gebsrmvn_4xn_kernelILj128ELj3ELj64EdEEvi20rocsparse_direction_NS_24const_host_device_scalarIT2_EEPKiS6_PKS3_S8_S4_PS3_21rocsparse_index_base_b.has_recursion, 0
	.set _ZN9rocsparseL19gebsrmvn_4xn_kernelILj128ELj3ELj64EdEEvi20rocsparse_direction_NS_24const_host_device_scalarIT2_EEPKiS6_PKS3_S8_S4_PS3_21rocsparse_index_base_b.has_indirect_call, 0
	.section	.AMDGPU.csdata,"",@progbits
; Kernel info:
; codeLenInByte = 2872
; TotalNumSgprs: 16
; NumVgprs: 49
; ScratchSize: 0
; MemoryBound: 0
; FloatMode: 240
; IeeeMode: 1
; LDSByteSize: 0 bytes/workgroup (compile time only)
; SGPRBlocks: 0
; VGPRBlocks: 6
; NumSGPRsForWavesPerEU: 16
; NumVGPRsForWavesPerEU: 49
; Occupancy: 16
; WaveLimiterHint : 1
; COMPUTE_PGM_RSRC2:SCRATCH_EN: 0
; COMPUTE_PGM_RSRC2:USER_SGPR: 2
; COMPUTE_PGM_RSRC2:TRAP_HANDLER: 0
; COMPUTE_PGM_RSRC2:TGID_X_EN: 1
; COMPUTE_PGM_RSRC2:TGID_Y_EN: 0
; COMPUTE_PGM_RSRC2:TGID_Z_EN: 0
; COMPUTE_PGM_RSRC2:TIDIG_COMP_CNT: 0
	.section	.text._ZN9rocsparseL19gebsrmvn_4xn_kernelILj128ELj5ELj4EdEEvi20rocsparse_direction_NS_24const_host_device_scalarIT2_EEPKiS6_PKS3_S8_S4_PS3_21rocsparse_index_base_b,"axG",@progbits,_ZN9rocsparseL19gebsrmvn_4xn_kernelILj128ELj5ELj4EdEEvi20rocsparse_direction_NS_24const_host_device_scalarIT2_EEPKiS6_PKS3_S8_S4_PS3_21rocsparse_index_base_b,comdat
	.globl	_ZN9rocsparseL19gebsrmvn_4xn_kernelILj128ELj5ELj4EdEEvi20rocsparse_direction_NS_24const_host_device_scalarIT2_EEPKiS6_PKS3_S8_S4_PS3_21rocsparse_index_base_b ; -- Begin function _ZN9rocsparseL19gebsrmvn_4xn_kernelILj128ELj5ELj4EdEEvi20rocsparse_direction_NS_24const_host_device_scalarIT2_EEPKiS6_PKS3_S8_S4_PS3_21rocsparse_index_base_b
	.p2align	8
	.type	_ZN9rocsparseL19gebsrmvn_4xn_kernelILj128ELj5ELj4EdEEvi20rocsparse_direction_NS_24const_host_device_scalarIT2_EEPKiS6_PKS3_S8_S4_PS3_21rocsparse_index_base_b,@function
_ZN9rocsparseL19gebsrmvn_4xn_kernelILj128ELj5ELj4EdEEvi20rocsparse_direction_NS_24const_host_device_scalarIT2_EEPKiS6_PKS3_S8_S4_PS3_21rocsparse_index_base_b: ; @_ZN9rocsparseL19gebsrmvn_4xn_kernelILj128ELj5ELj4EdEEvi20rocsparse_direction_NS_24const_host_device_scalarIT2_EEPKiS6_PKS3_S8_S4_PS3_21rocsparse_index_base_b
; %bb.0:
	s_clause 0x2
	s_load_b64 s[12:13], s[0:1], 0x40
	s_load_b64 s[4:5], s[0:1], 0x8
	;; [unrolled: 1-line block ×3, first 2 shown]
	s_wait_kmcnt 0x0
	s_bitcmp1_b32 s13, 0
	v_dual_mov_b32 v1, s4 :: v_dual_mov_b32 v2, s5
	s_cselect_b32 s6, -1, 0
	s_delay_alu instid0(SALU_CYCLE_1)
	s_and_b32 vcc_lo, exec_lo, s6
	s_xor_b32 s6, s6, -1
	s_cbranch_vccnz .LBB52_2
; %bb.1:
	v_dual_mov_b32 v1, s4 :: v_dual_mov_b32 v2, s5
	flat_load_b64 v[1:2], v[1:2]
.LBB52_2:
	v_dual_mov_b32 v4, s3 :: v_dual_mov_b32 v3, s2
	s_and_not1_b32 vcc_lo, exec_lo, s6
	s_cbranch_vccnz .LBB52_4
; %bb.3:
	v_dual_mov_b32 v4, s3 :: v_dual_mov_b32 v3, s2
	flat_load_b64 v[3:4], v[3:4]
.LBB52_4:
	s_wait_loadcnt_dscnt 0x0
	v_cmp_neq_f64_e32 vcc_lo, 0, v[1:2]
	v_cmp_neq_f64_e64 s2, 1.0, v[3:4]
	s_or_b32 s2, vcc_lo, s2
	s_wait_alu 0xfffe
	s_and_saveexec_b32 s3, s2
	s_cbranch_execz .LBB52_23
; %bb.5:
	s_load_b64 s[2:3], s[0:1], 0x0
	v_lshrrev_b32_e32 v5, 2, v0
	s_delay_alu instid0(VALU_DEP_1) | instskip(SKIP_1) | instid1(VALU_DEP_1)
	v_lshl_or_b32 v5, ttmp9, 5, v5
	s_wait_kmcnt 0x0
	v_cmp_gt_i32_e32 vcc_lo, s2, v5
	s_and_b32 exec_lo, exec_lo, vcc_lo
	s_cbranch_execz .LBB52_23
; %bb.6:
	s_load_b256 s[4:11], s[0:1], 0x10
	v_ashrrev_i32_e32 v6, 31, v5
	v_and_b32_e32 v0, 3, v0
	s_cmp_lg_u32 s3, 0
	s_delay_alu instid0(VALU_DEP_2) | instskip(SKIP_1) | instid1(VALU_DEP_1)
	v_lshlrev_b64_e32 v[6:7], 2, v[5:6]
	s_wait_kmcnt 0x0
	v_add_co_u32 v6, vcc_lo, s4, v6
	s_delay_alu instid0(VALU_DEP_1) | instskip(SKIP_4) | instid1(VALU_DEP_2)
	v_add_co_ci_u32_e64 v7, null, s5, v7, vcc_lo
	global_load_b64 v[6:7], v[6:7], off
	s_wait_loadcnt 0x0
	v_subrev_nc_u32_e32 v6, s12, v6
	v_subrev_nc_u32_e32 v21, s12, v7
	v_add_nc_u32_e32 v8, v6, v0
	s_delay_alu instid0(VALU_DEP_1)
	v_cmp_lt_i32_e64 s2, v8, v21
	s_cbranch_scc0 .LBB52_12
; %bb.7:
	v_mov_b32_e32 v6, 0
	v_dual_mov_b32 v12, 0 :: v_dual_mov_b32 v7, 0
	v_dual_mov_b32 v10, 0 :: v_dual_mov_b32 v13, 0
	v_dual_mov_b32 v14, 0 :: v_dual_mov_b32 v11, 0
	v_mov_b32_e32 v15, 0
	s_and_saveexec_b32 s3, s2
	s_cbranch_execz .LBB52_11
; %bb.8:
	v_mad_co_u64_u32 v[16:17], null, v8, 20, 16
	v_mov_b32_e32 v6, 0
	v_mov_b32_e32 v10, 0
	;; [unrolled: 1-line block ×3, first 2 shown]
	v_dual_mov_b32 v14, 0 :: v_dual_mov_b32 v19, v8
	v_dual_mov_b32 v7, 0 :: v_dual_mov_b32 v18, 0
	v_mov_b32_e32 v11, 0
	v_mov_b32_e32 v13, 0
	;; [unrolled: 1-line block ×3, first 2 shown]
	s_mov_b32 s4, 0
.LBB52_9:                               ; =>This Inner Loop Header: Depth=1
	v_ashrrev_i32_e32 v20, 31, v19
	v_add_nc_u32_e32 v17, -16, v16
	v_mov_b32_e32 v59, v18
	s_delay_alu instid0(VALU_DEP_3) | instskip(SKIP_1) | instid1(VALU_DEP_2)
	v_lshlrev_b64_e32 v[22:23], 2, v[19:20]
	v_add_nc_u32_e32 v19, 4, v19
	v_add_co_u32 v22, vcc_lo, s6, v22
	s_wait_alu 0xfffd
	s_delay_alu instid0(VALU_DEP_3) | instskip(SKIP_3) | instid1(VALU_DEP_2)
	v_add_co_ci_u32_e64 v23, null, s7, v23, vcc_lo
	global_load_b32 v9, v[22:23], off
	v_lshlrev_b64_e32 v[22:23], 3, v[17:18]
	v_add_nc_u32_e32 v17, -12, v16
	v_add_co_u32 v26, vcc_lo, s8, v22
	s_wait_alu 0xfffd
	s_delay_alu instid0(VALU_DEP_3) | instskip(SKIP_3) | instid1(VALU_DEP_1)
	v_add_co_ci_u32_e64 v27, null, s9, v23, vcc_lo
	global_load_b128 v[22:25], v[26:27], off offset:16
	s_wait_loadcnt 0x1
	v_subrev_nc_u32_e32 v9, s12, v9
	v_lshl_add_u32 v58, v9, 2, v9
	s_delay_alu instid0(VALU_DEP_1) | instskip(NEXT) | instid1(VALU_DEP_1)
	v_lshlrev_b64_e32 v[28:29], 3, v[58:59]
	v_add_co_u32 v30, vcc_lo, s10, v28
	s_wait_alu 0xfffd
	s_delay_alu instid0(VALU_DEP_2) | instskip(SKIP_4) | instid1(VALU_DEP_1)
	v_add_co_ci_u32_e64 v31, null, s11, v29, vcc_lo
	global_load_b128 v[26:29], v[26:27], off
	global_load_b64 v[62:63], v[30:31], off
	v_lshlrev_b64_e32 v[30:31], 3, v[17:18]
	v_add_nc_u32_e32 v17, 1, v58
	v_lshlrev_b64_e32 v[36:37], 3, v[17:18]
	s_delay_alu instid0(VALU_DEP_3) | instskip(SKIP_1) | instid1(VALU_DEP_4)
	v_add_co_u32 v34, vcc_lo, s8, v30
	s_wait_alu 0xfffd
	v_add_co_ci_u32_e64 v35, null, s9, v31, vcc_lo
	v_add_nc_u32_e32 v17, -8, v16
	s_delay_alu instid0(VALU_DEP_4)
	v_add_co_u32 v38, vcc_lo, s10, v36
	s_wait_alu 0xfffd
	v_add_co_ci_u32_e64 v39, null, s11, v37, vcc_lo
	s_clause 0x1
	global_load_b128 v[30:33], v[34:35], off offset:16
	global_load_b128 v[34:37], v[34:35], off
	global_load_b64 v[64:65], v[38:39], off
	v_lshlrev_b64_e32 v[38:39], 3, v[17:18]
	v_add_nc_u32_e32 v17, 2, v58
	s_delay_alu instid0(VALU_DEP_1) | instskip(NEXT) | instid1(VALU_DEP_3)
	v_lshlrev_b64_e32 v[40:41], 3, v[17:18]
	v_add_co_u32 v42, vcc_lo, s8, v38
	s_wait_alu 0xfffd
	s_delay_alu instid0(VALU_DEP_4) | instskip(SKIP_1) | instid1(VALU_DEP_4)
	v_add_co_ci_u32_e64 v43, null, s9, v39, vcc_lo
	v_add_nc_u32_e32 v17, -4, v16
	v_add_co_u32 v46, vcc_lo, s10, v40
	s_wait_alu 0xfffd
	v_add_co_ci_u32_e64 v47, null, s11, v41, vcc_lo
	s_clause 0x1
	global_load_b128 v[38:41], v[42:43], off offset:16
	global_load_b128 v[42:45], v[42:43], off
	global_load_b64 v[66:67], v[46:47], off
	v_lshlrev_b64_e32 v[46:47], 3, v[17:18]
	v_add_nc_u32_e32 v17, 3, v58
	s_delay_alu instid0(VALU_DEP_1) | instskip(NEXT) | instid1(VALU_DEP_3)
	v_lshlrev_b64_e32 v[48:49], 3, v[17:18]
	v_add_co_u32 v50, vcc_lo, s8, v46
	s_wait_alu 0xfffd
	s_delay_alu instid0(VALU_DEP_4) | instskip(SKIP_1) | instid1(VALU_DEP_4)
	v_add_co_ci_u32_e64 v51, null, s9, v47, vcc_lo
	v_mov_b32_e32 v17, v18
	v_add_co_u32 v54, vcc_lo, s10, v48
	s_wait_alu 0xfffd
	v_add_co_ci_u32_e64 v55, null, s11, v49, vcc_lo
	s_clause 0x1
	global_load_b128 v[46:49], v[50:51], off offset:16
	global_load_b128 v[50:53], v[50:51], off
	global_load_b64 v[68:69], v[54:55], off
	v_lshlrev_b64_e32 v[54:55], 3, v[16:17]
	v_add_nc_u32_e32 v17, 4, v58
	v_add_nc_u32_e32 v16, 0x50, v16
	s_delay_alu instid0(VALU_DEP_2) | instskip(NEXT) | instid1(VALU_DEP_4)
	v_lshlrev_b64_e32 v[70:71], 3, v[17:18]
	v_add_co_u32 v59, vcc_lo, s8, v54
	s_wait_alu 0xfffd
	v_add_co_ci_u32_e64 v60, null, s9, v55, vcc_lo
	s_delay_alu instid0(VALU_DEP_3)
	v_add_co_u32 v70, vcc_lo, s10, v70
	s_wait_alu 0xfffd
	v_add_co_ci_u32_e64 v71, null, s11, v71, vcc_lo
	s_clause 0x1
	global_load_b128 v[54:57], v[59:60], off offset:16
	global_load_b128 v[58:61], v[59:60], off
	global_load_b64 v[70:71], v[70:71], off
	v_cmp_ge_i32_e32 vcc_lo, v19, v21
	s_wait_alu 0xfffe
	s_or_b32 s4, vcc_lo, s4
	s_wait_loadcnt 0xc
	v_fma_f64 v[6:7], v[26:27], v[62:63], v[6:7]
	v_fma_f64 v[14:15], v[28:29], v[62:63], v[14:15]
	;; [unrolled: 1-line block ×4, first 2 shown]
	s_wait_loadcnt 0x9
	s_delay_alu instid0(VALU_DEP_4) | instskip(NEXT) | instid1(VALU_DEP_4)
	v_fma_f64 v[6:7], v[34:35], v[64:65], v[6:7]
	v_fma_f64 v[14:15], v[36:37], v[64:65], v[14:15]
	s_delay_alu instid0(VALU_DEP_4) | instskip(NEXT) | instid1(VALU_DEP_4)
	v_fma_f64 v[11:12], v[30:31], v[64:65], v[12:13]
	v_fma_f64 v[9:10], v[32:33], v[64:65], v[9:10]
	s_wait_loadcnt 0x6
	s_delay_alu instid0(VALU_DEP_4) | instskip(NEXT) | instid1(VALU_DEP_4)
	v_fma_f64 v[6:7], v[42:43], v[66:67], v[6:7]
	v_fma_f64 v[13:14], v[44:45], v[66:67], v[14:15]
	s_delay_alu instid0(VALU_DEP_4) | instskip(NEXT) | instid1(VALU_DEP_4)
	v_fma_f64 v[11:12], v[38:39], v[66:67], v[11:12]
	v_fma_f64 v[9:10], v[40:41], v[66:67], v[9:10]
	;; [unrolled: 7-line block ×4, first 2 shown]
	s_wait_alu 0xfffe
	s_and_not1_b32 exec_lo, exec_lo, s4
	s_cbranch_execnz .LBB52_9
; %bb.10:
	s_or_b32 exec_lo, exec_lo, s4
.LBB52_11:
	s_wait_alu 0xfffe
	s_or_b32 exec_lo, exec_lo, s3
	s_cbranch_execz .LBB52_13
	s_branch .LBB52_18
.LBB52_12:
                                        ; implicit-def: $vgpr6_vgpr7
                                        ; implicit-def: $vgpr10_vgpr11
                                        ; implicit-def: $vgpr12_vgpr13
                                        ; implicit-def: $vgpr14_vgpr15
.LBB52_13:
	v_mov_b32_e32 v6, 0
	v_dual_mov_b32 v12, 0 :: v_dual_mov_b32 v7, 0
	v_dual_mov_b32 v10, 0 :: v_dual_mov_b32 v13, 0
	v_dual_mov_b32 v14, 0 :: v_dual_mov_b32 v11, 0
	v_mov_b32_e32 v15, 0
	s_and_saveexec_b32 s3, s2
	s_cbranch_execz .LBB52_17
; %bb.14:
	v_mad_co_u64_u32 v[16:17], null, v8, 20, 19
	v_mov_b32_e32 v6, 0
	v_dual_mov_b32 v12, 0 :: v_dual_mov_b32 v7, 0
	v_dual_mov_b32 v10, 0 :: v_dual_mov_b32 v13, 0
	;; [unrolled: 1-line block ×3, first 2 shown]
	v_mov_b32_e32 v15, 0
	v_mov_b32_e32 v19, 0
	s_mov_b32 s4, 0
.LBB52_15:                              ; =>This Inner Loop Header: Depth=1
	v_ashrrev_i32_e32 v9, 31, v8
	s_delay_alu instid0(VALU_DEP_2) | instskip(SKIP_1) | instid1(VALU_DEP_3)
	v_dual_mov_b32 v31, v19 :: v_dual_add_nc_u32 v22, -14, v16
	v_dual_mov_b32 v23, v19 :: v_dual_add_nc_u32 v24, -9, v16
	v_lshlrev_b64_e32 v[17:18], 2, v[8:9]
	v_dual_mov_b32 v25, v19 :: v_dual_add_nc_u32 v26, -4, v16
	v_add_nc_u32_e32 v8, 4, v8
	s_delay_alu instid0(VALU_DEP_4) | instskip(NEXT) | instid1(VALU_DEP_4)
	v_lshlrev_b64_e32 v[22:23], 3, v[22:23]
	v_add_co_u32 v17, vcc_lo, s6, v17
	s_wait_alu 0xfffd
	v_add_co_ci_u32_e64 v18, null, s7, v18, vcc_lo
	v_lshlrev_b64_e32 v[24:25], 3, v[24:25]
	global_load_b32 v9, v[17:18], off
	v_subrev_nc_u32_e32 v18, 19, v16
	s_delay_alu instid0(VALU_DEP_1) | instskip(NEXT) | instid1(VALU_DEP_1)
	v_lshlrev_b64_e32 v[17:18], 3, v[18:19]
	v_add_co_u32 v17, vcc_lo, s8, v17
	s_wait_alu 0xfffd
	s_delay_alu instid0(VALU_DEP_2)
	v_add_co_ci_u32_e64 v18, null, s9, v18, vcc_lo
	v_add_co_u32 v32, vcc_lo, s8, v22
	s_wait_alu 0xfffd
	v_add_co_ci_u32_e64 v33, null, s9, v23, vcc_lo
	v_add_co_u32 v34, vcc_lo, s8, v24
	s_wait_alu 0xfffd
	v_add_co_ci_u32_e64 v35, null, s9, v25, vcc_lo
	s_wait_loadcnt 0x0
	v_subrev_nc_u32_e32 v9, s12, v9
	s_delay_alu instid0(VALU_DEP_1) | instskip(SKIP_1) | instid1(VALU_DEP_1)
	v_lshl_add_u32 v30, v9, 2, v9
	v_mov_b32_e32 v27, v19
	v_lshlrev_b64_e32 v[26:27], 3, v[26:27]
	s_delay_alu instid0(VALU_DEP_1) | instskip(SKIP_1) | instid1(VALU_DEP_2)
	v_add_co_u32 v36, vcc_lo, s8, v26
	s_wait_alu 0xfffd
	v_add_co_ci_u32_e64 v37, null, s9, v27, vcc_lo
	s_clause 0x3
	global_load_b128 v[22:25], v[17:18], off offset:16
	global_load_b128 v[26:29], v[17:18], off
	global_load_b64 v[32:33], v[32:33], off
	global_load_b64 v[34:35], v[34:35], off
	v_lshlrev_b64_e32 v[17:18], 3, v[30:31]
	s_delay_alu instid0(VALU_DEP_1) | instskip(SKIP_1) | instid1(VALU_DEP_2)
	v_add_co_u32 v17, vcc_lo, s10, v17
	s_wait_alu 0xfffd
	v_add_co_ci_u32_e64 v18, null, s11, v18, vcc_lo
	global_load_b64 v[36:37], v[36:37], off
	global_load_b64 v[38:39], v[17:18], off
	v_dual_mov_b32 v17, v19 :: v_dual_add_nc_u32 v18, 1, v30
	s_delay_alu instid0(VALU_DEP_1) | instskip(SKIP_1) | instid1(VALU_DEP_3)
	v_lshlrev_b64_e32 v[40:41], 3, v[18:19]
	v_add_nc_u32_e32 v18, -13, v16
	v_lshlrev_b64_e32 v[48:49], 3, v[16:17]
	s_delay_alu instid0(VALU_DEP_2) | instskip(SKIP_4) | instid1(VALU_DEP_3)
	v_lshlrev_b64_e32 v[42:43], 3, v[18:19]
	v_add_nc_u32_e32 v18, -8, v16
	v_add_co_u32 v40, vcc_lo, s10, v40
	s_wait_alu 0xfffd
	v_add_co_ci_u32_e64 v41, null, s11, v41, vcc_lo
	v_lshlrev_b64_e32 v[44:45], 3, v[18:19]
	v_add_nc_u32_e32 v18, -3, v16
	v_add_co_u32 v42, vcc_lo, s8, v42
	s_wait_alu 0xfffd
	v_add_co_ci_u32_e64 v43, null, s9, v43, vcc_lo
	s_delay_alu instid0(VALU_DEP_3) | instskip(SKIP_4) | instid1(VALU_DEP_4)
	v_lshlrev_b64_e32 v[46:47], 3, v[18:19]
	v_add_co_u32 v44, vcc_lo, s8, v44
	s_wait_alu 0xfffd
	v_add_co_ci_u32_e64 v45, null, s9, v45, vcc_lo
	v_add_nc_u32_e32 v18, 2, v30
	v_add_co_u32 v46, vcc_lo, s8, v46
	s_wait_alu 0xfffd
	v_add_co_ci_u32_e64 v47, null, s9, v47, vcc_lo
	global_load_b64 v[40:41], v[40:41], off
	s_clause 0x2
	global_load_b64 v[42:43], v[42:43], off
	global_load_b64 v[44:45], v[44:45], off
	;; [unrolled: 1-line block ×3, first 2 shown]
	v_lshlrev_b64_e32 v[50:51], 3, v[18:19]
	v_add_nc_u32_e32 v18, -12, v16
	s_delay_alu instid0(VALU_DEP_1) | instskip(SKIP_1) | instid1(VALU_DEP_4)
	v_lshlrev_b64_e32 v[52:53], 3, v[18:19]
	v_add_nc_u32_e32 v18, -7, v16
	v_add_co_u32 v50, vcc_lo, s10, v50
	s_wait_alu 0xfffd
	v_add_co_ci_u32_e64 v51, null, s11, v51, vcc_lo
	s_delay_alu instid0(VALU_DEP_3) | instskip(SKIP_4) | instid1(VALU_DEP_3)
	v_lshlrev_b64_e32 v[54:55], 3, v[18:19]
	v_add_nc_u32_e32 v18, -2, v16
	v_add_co_u32 v52, vcc_lo, s8, v52
	s_wait_alu 0xfffd
	v_add_co_ci_u32_e64 v53, null, s9, v53, vcc_lo
	v_lshlrev_b64_e32 v[17:18], 3, v[18:19]
	v_add_co_u32 v54, vcc_lo, s8, v54
	s_wait_alu 0xfffd
	v_add_co_ci_u32_e64 v55, null, s9, v55, vcc_lo
	s_delay_alu instid0(VALU_DEP_3)
	v_add_co_u32 v17, vcc_lo, s8, v17
	s_wait_alu 0xfffd
	v_add_co_ci_u32_e64 v18, null, s9, v18, vcc_lo
	global_load_b64 v[50:51], v[50:51], off
	s_clause 0x2
	global_load_b64 v[52:53], v[52:53], off
	global_load_b64 v[54:55], v[54:55], off
	;; [unrolled: 1-line block ×3, first 2 shown]
	v_add_nc_u32_e32 v18, 3, v30
	v_add_co_u32 v48, vcc_lo, s8, v48
	s_wait_alu 0xfffd
	v_add_co_ci_u32_e64 v49, null, s9, v49, vcc_lo
	s_delay_alu instid0(VALU_DEP_3) | instskip(SKIP_1) | instid1(VALU_DEP_1)
	v_lshlrev_b64_e32 v[58:59], 3, v[18:19]
	v_add_nc_u32_e32 v18, -11, v16
	v_lshlrev_b64_e32 v[60:61], 3, v[18:19]
	v_add_nc_u32_e32 v18, -6, v16
	s_delay_alu instid0(VALU_DEP_4) | instskip(SKIP_2) | instid1(VALU_DEP_3)
	v_add_co_u32 v58, s2, s10, v58
	s_wait_alu 0xf1ff
	v_add_co_ci_u32_e64 v59, null, s11, v59, s2
	v_lshlrev_b64_e32 v[62:63], 3, v[18:19]
	v_add_nc_u32_e32 v18, -1, v16
	v_add_co_u32 v60, s2, s8, v60
	s_wait_alu 0xf1ff
	v_add_co_ci_u32_e64 v61, null, s9, v61, s2
	s_delay_alu instid0(VALU_DEP_3) | instskip(SKIP_3) | instid1(VALU_DEP_3)
	v_lshlrev_b64_e32 v[17:18], 3, v[18:19]
	v_add_co_u32 v62, s2, s8, v62
	s_wait_alu 0xf1ff
	v_add_co_ci_u32_e64 v63, null, s9, v63, s2
	v_add_co_u32 v17, s2, s8, v17
	s_wait_alu 0xf1ff
	v_add_co_ci_u32_e64 v18, null, s9, v18, s2
	global_load_b64 v[58:59], v[58:59], off
	s_clause 0x2
	global_load_b64 v[60:61], v[60:61], off
	global_load_b64 v[62:63], v[62:63], off
	;; [unrolled: 1-line block ×3, first 2 shown]
	v_add_nc_u32_e32 v18, -15, v16
	s_delay_alu instid0(VALU_DEP_1) | instskip(SKIP_1) | instid1(VALU_DEP_1)
	v_lshlrev_b64_e32 v[66:67], 3, v[18:19]
	v_add_nc_u32_e32 v18, 4, v30
	v_lshlrev_b64_e32 v[30:31], 3, v[18:19]
	v_add_nc_u32_e32 v18, -10, v16
	s_delay_alu instid0(VALU_DEP_4) | instskip(SKIP_2) | instid1(VALU_DEP_3)
	v_add_co_u32 v66, vcc_lo, s8, v66
	s_wait_alu 0xfffd
	v_add_co_ci_u32_e64 v67, null, s9, v67, vcc_lo
	v_lshlrev_b64_e32 v[68:69], 3, v[18:19]
	v_add_nc_u32_e32 v18, -5, v16
	v_add_co_u32 v30, vcc_lo, s10, v30
	s_wait_alu 0xfffd
	v_add_co_ci_u32_e64 v31, null, s11, v31, vcc_lo
	s_delay_alu instid0(VALU_DEP_3) | instskip(SKIP_4) | instid1(VALU_DEP_4)
	v_lshlrev_b64_e32 v[17:18], 3, v[18:19]
	v_add_co_u32 v68, vcc_lo, s8, v68
	s_wait_alu 0xfffd
	v_add_co_ci_u32_e64 v69, null, s9, v69, vcc_lo
	v_add_nc_u32_e32 v16, 0x50, v16
	v_add_co_u32 v17, vcc_lo, s8, v17
	s_wait_alu 0xfffd
	v_add_co_ci_u32_e64 v18, null, s9, v18, vcc_lo
	global_load_b64 v[66:67], v[66:67], off
	global_load_b64 v[30:31], v[30:31], off
	s_clause 0x2
	global_load_b64 v[68:69], v[68:69], off
	global_load_b64 v[17:18], v[17:18], off
	;; [unrolled: 1-line block ×3, first 2 shown]
	v_cmp_ge_i32_e32 vcc_lo, v8, v21
	s_wait_alu 0xfffe
	s_or_b32 s4, vcc_lo, s4
	s_wait_loadcnt 0x11
	v_fma_f64 v[6:7], v[26:27], v[38:39], v[6:7]
	v_fma_f64 v[14:15], v[32:33], v[38:39], v[14:15]
	;; [unrolled: 1-line block ×4, first 2 shown]
	s_wait_loadcnt 0x10
	s_delay_alu instid0(VALU_DEP_4) | instskip(SKIP_1) | instid1(VALU_DEP_4)
	v_fma_f64 v[6:7], v[28:29], v[40:41], v[6:7]
	s_wait_loadcnt 0xf
	v_fma_f64 v[14:15], v[42:43], v[40:41], v[14:15]
	s_wait_loadcnt 0xe
	s_delay_alu instid0(VALU_DEP_4) | instskip(SKIP_1) | instid1(VALU_DEP_4)
	v_fma_f64 v[11:12], v[44:45], v[40:41], v[12:13]
	s_wait_loadcnt 0xd
	v_fma_f64 v[9:10], v[46:47], v[40:41], v[9:10]
	;; [unrolled: 5-line block ×8, first 2 shown]
	s_wait_alu 0xfffe
	s_and_not1_b32 exec_lo, exec_lo, s4
	s_cbranch_execnz .LBB52_15
; %bb.16:
	s_or_b32 exec_lo, exec_lo, s4
.LBB52_17:
	s_wait_alu 0xfffe
	s_or_b32 exec_lo, exec_lo, s3
.LBB52_18:
	v_mbcnt_lo_u32_b32 v24, -1, 0
	s_delay_alu instid0(VALU_DEP_1) | instskip(NEXT) | instid1(VALU_DEP_1)
	v_xor_b32_e32 v8, 2, v24
	v_cmp_gt_i32_e32 vcc_lo, 32, v8
	s_wait_alu 0xfffd
	v_cndmask_b32_e32 v8, v24, v8, vcc_lo
	s_delay_alu instid0(VALU_DEP_1)
	v_lshlrev_b32_e32 v16, 2, v8
	ds_bpermute_b32 v8, v16, v6
	ds_bpermute_b32 v9, v16, v7
	;; [unrolled: 1-line block ×8, first 2 shown]
	s_wait_dscnt 0x6
	v_add_f64_e32 v[16:17], v[6:7], v[8:9]
	s_wait_dscnt 0x4
	v_add_f64_e32 v[14:15], v[14:15], v[18:19]
	;; [unrolled: 2-line block ×4, first 2 shown]
	v_xor_b32_e32 v10, 1, v24
	s_delay_alu instid0(VALU_DEP_1) | instskip(SKIP_3) | instid1(VALU_DEP_2)
	v_cmp_gt_i32_e32 vcc_lo, 32, v10
	s_wait_alu 0xfffd
	v_cndmask_b32_e32 v10, v24, v10, vcc_lo
	v_cmp_eq_u32_e32 vcc_lo, 3, v0
	v_lshlrev_b32_e32 v19, 2, v10
	ds_bpermute_b32 v12, v19, v16
	ds_bpermute_b32 v13, v19, v17
	;; [unrolled: 1-line block ×8, first 2 shown]
	s_and_b32 exec_lo, exec_lo, vcc_lo
	s_cbranch_execz .LBB52_23
; %bb.19:
	s_wait_dscnt 0x6
	v_add_f64_e32 v[12:13], v[16:17], v[12:13]
	s_wait_dscnt 0x4
	v_add_f64_e32 v[10:11], v[14:15], v[10:11]
	;; [unrolled: 2-line block ×4, first 2 shown]
	s_load_b64 s[0:1], s[0:1], 0x38
	s_mov_b32 s2, exec_lo
	v_cmpx_eq_f64_e32 0, v[3:4]
	s_wait_alu 0xfffe
	s_xor_b32 s2, exec_lo, s2
	s_cbranch_execz .LBB52_21
; %bb.20:
	v_mul_f64_e32 v[12:13], v[1:2], v[12:13]
	v_mul_f64_e32 v[14:15], v[1:2], v[10:11]
	;; [unrolled: 1-line block ×4, first 2 shown]
	v_lshlrev_b32_e32 v0, 2, v5
                                        ; implicit-def: $vgpr5
                                        ; implicit-def: $vgpr3_vgpr4
                                        ; implicit-def: $vgpr10_vgpr11
	s_delay_alu instid0(VALU_DEP_1) | instskip(NEXT) | instid1(VALU_DEP_1)
	v_ashrrev_i32_e32 v1, 31, v0
	v_lshlrev_b64_e32 v[0:1], 3, v[0:1]
	s_wait_kmcnt 0x0
	s_delay_alu instid0(VALU_DEP_1) | instskip(SKIP_1) | instid1(VALU_DEP_2)
	v_add_co_u32 v0, vcc_lo, s0, v0
	s_wait_alu 0xfffd
	v_add_co_ci_u32_e64 v1, null, s1, v1, vcc_lo
	s_clause 0x1
	global_store_b128 v[0:1], v[12:15], off
	global_store_b128 v[0:1], v[6:9], off offset:16
                                        ; implicit-def: $vgpr1_vgpr2
                                        ; implicit-def: $vgpr12_vgpr13
                                        ; implicit-def: $vgpr6_vgpr7
                                        ; implicit-def: $vgpr8_vgpr9
.LBB52_21:
	s_wait_alu 0xfffe
	s_and_not1_saveexec_b32 s2, s2
	s_cbranch_execz .LBB52_23
; %bb.22:
	v_lshlrev_b32_e32 v14, 2, v5
	v_mul_f64_e32 v[12:13], v[1:2], v[12:13]
	v_mul_f64_e32 v[10:11], v[1:2], v[10:11]
	;; [unrolled: 1-line block ×4, first 2 shown]
	v_ashrrev_i32_e32 v15, 31, v14
	s_delay_alu instid0(VALU_DEP_1) | instskip(SKIP_1) | instid1(VALU_DEP_1)
	v_lshlrev_b64_e32 v[14:15], 3, v[14:15]
	s_wait_kmcnt 0x0
	v_add_co_u32 v22, vcc_lo, s0, v14
	s_wait_alu 0xfffd
	s_delay_alu instid0(VALU_DEP_2)
	v_add_co_ci_u32_e64 v23, null, s1, v15, vcc_lo
	s_clause 0x1
	global_load_b128 v[14:17], v[22:23], off
	global_load_b128 v[18:21], v[22:23], off offset:16
	s_wait_loadcnt 0x1
	v_fma_f64 v[5:6], v[3:4], v[14:15], v[12:13]
	v_fma_f64 v[7:8], v[3:4], v[16:17], v[10:11]
	s_wait_loadcnt 0x0
	v_fma_f64 v[0:1], v[3:4], v[18:19], v[24:25]
	v_fma_f64 v[2:3], v[3:4], v[20:21], v[26:27]
	s_clause 0x1
	global_store_b128 v[22:23], v[5:8], off
	global_store_b128 v[22:23], v[0:3], off offset:16
.LBB52_23:
	s_endpgm
	.section	.rodata,"a",@progbits
	.p2align	6, 0x0
	.amdhsa_kernel _ZN9rocsparseL19gebsrmvn_4xn_kernelILj128ELj5ELj4EdEEvi20rocsparse_direction_NS_24const_host_device_scalarIT2_EEPKiS6_PKS3_S8_S4_PS3_21rocsparse_index_base_b
		.amdhsa_group_segment_fixed_size 0
		.amdhsa_private_segment_fixed_size 0
		.amdhsa_kernarg_size 72
		.amdhsa_user_sgpr_count 2
		.amdhsa_user_sgpr_dispatch_ptr 0
		.amdhsa_user_sgpr_queue_ptr 0
		.amdhsa_user_sgpr_kernarg_segment_ptr 1
		.amdhsa_user_sgpr_dispatch_id 0
		.amdhsa_user_sgpr_private_segment_size 0
		.amdhsa_wavefront_size32 1
		.amdhsa_uses_dynamic_stack 0
		.amdhsa_enable_private_segment 0
		.amdhsa_system_sgpr_workgroup_id_x 1
		.amdhsa_system_sgpr_workgroup_id_y 0
		.amdhsa_system_sgpr_workgroup_id_z 0
		.amdhsa_system_sgpr_workgroup_info 0
		.amdhsa_system_vgpr_workitem_id 0
		.amdhsa_next_free_vgpr 72
		.amdhsa_next_free_sgpr 14
		.amdhsa_reserve_vcc 1
		.amdhsa_float_round_mode_32 0
		.amdhsa_float_round_mode_16_64 0
		.amdhsa_float_denorm_mode_32 3
		.amdhsa_float_denorm_mode_16_64 3
		.amdhsa_fp16_overflow 0
		.amdhsa_workgroup_processor_mode 1
		.amdhsa_memory_ordered 1
		.amdhsa_forward_progress 1
		.amdhsa_inst_pref_size 26
		.amdhsa_round_robin_scheduling 0
		.amdhsa_exception_fp_ieee_invalid_op 0
		.amdhsa_exception_fp_denorm_src 0
		.amdhsa_exception_fp_ieee_div_zero 0
		.amdhsa_exception_fp_ieee_overflow 0
		.amdhsa_exception_fp_ieee_underflow 0
		.amdhsa_exception_fp_ieee_inexact 0
		.amdhsa_exception_int_div_zero 0
	.end_amdhsa_kernel
	.section	.text._ZN9rocsparseL19gebsrmvn_4xn_kernelILj128ELj5ELj4EdEEvi20rocsparse_direction_NS_24const_host_device_scalarIT2_EEPKiS6_PKS3_S8_S4_PS3_21rocsparse_index_base_b,"axG",@progbits,_ZN9rocsparseL19gebsrmvn_4xn_kernelILj128ELj5ELj4EdEEvi20rocsparse_direction_NS_24const_host_device_scalarIT2_EEPKiS6_PKS3_S8_S4_PS3_21rocsparse_index_base_b,comdat
.Lfunc_end52:
	.size	_ZN9rocsparseL19gebsrmvn_4xn_kernelILj128ELj5ELj4EdEEvi20rocsparse_direction_NS_24const_host_device_scalarIT2_EEPKiS6_PKS3_S8_S4_PS3_21rocsparse_index_base_b, .Lfunc_end52-_ZN9rocsparseL19gebsrmvn_4xn_kernelILj128ELj5ELj4EdEEvi20rocsparse_direction_NS_24const_host_device_scalarIT2_EEPKiS6_PKS3_S8_S4_PS3_21rocsparse_index_base_b
                                        ; -- End function
	.set _ZN9rocsparseL19gebsrmvn_4xn_kernelILj128ELj5ELj4EdEEvi20rocsparse_direction_NS_24const_host_device_scalarIT2_EEPKiS6_PKS3_S8_S4_PS3_21rocsparse_index_base_b.num_vgpr, 72
	.set _ZN9rocsparseL19gebsrmvn_4xn_kernelILj128ELj5ELj4EdEEvi20rocsparse_direction_NS_24const_host_device_scalarIT2_EEPKiS6_PKS3_S8_S4_PS3_21rocsparse_index_base_b.num_agpr, 0
	.set _ZN9rocsparseL19gebsrmvn_4xn_kernelILj128ELj5ELj4EdEEvi20rocsparse_direction_NS_24const_host_device_scalarIT2_EEPKiS6_PKS3_S8_S4_PS3_21rocsparse_index_base_b.numbered_sgpr, 14
	.set _ZN9rocsparseL19gebsrmvn_4xn_kernelILj128ELj5ELj4EdEEvi20rocsparse_direction_NS_24const_host_device_scalarIT2_EEPKiS6_PKS3_S8_S4_PS3_21rocsparse_index_base_b.num_named_barrier, 0
	.set _ZN9rocsparseL19gebsrmvn_4xn_kernelILj128ELj5ELj4EdEEvi20rocsparse_direction_NS_24const_host_device_scalarIT2_EEPKiS6_PKS3_S8_S4_PS3_21rocsparse_index_base_b.private_seg_size, 0
	.set _ZN9rocsparseL19gebsrmvn_4xn_kernelILj128ELj5ELj4EdEEvi20rocsparse_direction_NS_24const_host_device_scalarIT2_EEPKiS6_PKS3_S8_S4_PS3_21rocsparse_index_base_b.uses_vcc, 1
	.set _ZN9rocsparseL19gebsrmvn_4xn_kernelILj128ELj5ELj4EdEEvi20rocsparse_direction_NS_24const_host_device_scalarIT2_EEPKiS6_PKS3_S8_S4_PS3_21rocsparse_index_base_b.uses_flat_scratch, 0
	.set _ZN9rocsparseL19gebsrmvn_4xn_kernelILj128ELj5ELj4EdEEvi20rocsparse_direction_NS_24const_host_device_scalarIT2_EEPKiS6_PKS3_S8_S4_PS3_21rocsparse_index_base_b.has_dyn_sized_stack, 0
	.set _ZN9rocsparseL19gebsrmvn_4xn_kernelILj128ELj5ELj4EdEEvi20rocsparse_direction_NS_24const_host_device_scalarIT2_EEPKiS6_PKS3_S8_S4_PS3_21rocsparse_index_base_b.has_recursion, 0
	.set _ZN9rocsparseL19gebsrmvn_4xn_kernelILj128ELj5ELj4EdEEvi20rocsparse_direction_NS_24const_host_device_scalarIT2_EEPKiS6_PKS3_S8_S4_PS3_21rocsparse_index_base_b.has_indirect_call, 0
	.section	.AMDGPU.csdata,"",@progbits
; Kernel info:
; codeLenInByte = 3236
; TotalNumSgprs: 16
; NumVgprs: 72
; ScratchSize: 0
; MemoryBound: 1
; FloatMode: 240
; IeeeMode: 1
; LDSByteSize: 0 bytes/workgroup (compile time only)
; SGPRBlocks: 0
; VGPRBlocks: 8
; NumSGPRsForWavesPerEU: 16
; NumVGPRsForWavesPerEU: 72
; Occupancy: 16
; WaveLimiterHint : 1
; COMPUTE_PGM_RSRC2:SCRATCH_EN: 0
; COMPUTE_PGM_RSRC2:USER_SGPR: 2
; COMPUTE_PGM_RSRC2:TRAP_HANDLER: 0
; COMPUTE_PGM_RSRC2:TGID_X_EN: 1
; COMPUTE_PGM_RSRC2:TGID_Y_EN: 0
; COMPUTE_PGM_RSRC2:TGID_Z_EN: 0
; COMPUTE_PGM_RSRC2:TIDIG_COMP_CNT: 0
	.section	.text._ZN9rocsparseL19gebsrmvn_4xn_kernelILj128ELj5ELj8EdEEvi20rocsparse_direction_NS_24const_host_device_scalarIT2_EEPKiS6_PKS3_S8_S4_PS3_21rocsparse_index_base_b,"axG",@progbits,_ZN9rocsparseL19gebsrmvn_4xn_kernelILj128ELj5ELj8EdEEvi20rocsparse_direction_NS_24const_host_device_scalarIT2_EEPKiS6_PKS3_S8_S4_PS3_21rocsparse_index_base_b,comdat
	.globl	_ZN9rocsparseL19gebsrmvn_4xn_kernelILj128ELj5ELj8EdEEvi20rocsparse_direction_NS_24const_host_device_scalarIT2_EEPKiS6_PKS3_S8_S4_PS3_21rocsparse_index_base_b ; -- Begin function _ZN9rocsparseL19gebsrmvn_4xn_kernelILj128ELj5ELj8EdEEvi20rocsparse_direction_NS_24const_host_device_scalarIT2_EEPKiS6_PKS3_S8_S4_PS3_21rocsparse_index_base_b
	.p2align	8
	.type	_ZN9rocsparseL19gebsrmvn_4xn_kernelILj128ELj5ELj8EdEEvi20rocsparse_direction_NS_24const_host_device_scalarIT2_EEPKiS6_PKS3_S8_S4_PS3_21rocsparse_index_base_b,@function
_ZN9rocsparseL19gebsrmvn_4xn_kernelILj128ELj5ELj8EdEEvi20rocsparse_direction_NS_24const_host_device_scalarIT2_EEPKiS6_PKS3_S8_S4_PS3_21rocsparse_index_base_b: ; @_ZN9rocsparseL19gebsrmvn_4xn_kernelILj128ELj5ELj8EdEEvi20rocsparse_direction_NS_24const_host_device_scalarIT2_EEPKiS6_PKS3_S8_S4_PS3_21rocsparse_index_base_b
; %bb.0:
	s_clause 0x2
	s_load_b64 s[12:13], s[0:1], 0x40
	s_load_b64 s[4:5], s[0:1], 0x8
	;; [unrolled: 1-line block ×3, first 2 shown]
	s_wait_kmcnt 0x0
	s_bitcmp1_b32 s13, 0
	v_dual_mov_b32 v1, s4 :: v_dual_mov_b32 v2, s5
	s_cselect_b32 s6, -1, 0
	s_delay_alu instid0(SALU_CYCLE_1)
	s_and_b32 vcc_lo, exec_lo, s6
	s_xor_b32 s6, s6, -1
	s_cbranch_vccnz .LBB53_2
; %bb.1:
	v_dual_mov_b32 v1, s4 :: v_dual_mov_b32 v2, s5
	flat_load_b64 v[1:2], v[1:2]
.LBB53_2:
	v_dual_mov_b32 v4, s3 :: v_dual_mov_b32 v3, s2
	s_and_not1_b32 vcc_lo, exec_lo, s6
	s_cbranch_vccnz .LBB53_4
; %bb.3:
	v_dual_mov_b32 v4, s3 :: v_dual_mov_b32 v3, s2
	flat_load_b64 v[3:4], v[3:4]
.LBB53_4:
	s_wait_loadcnt_dscnt 0x0
	v_cmp_neq_f64_e32 vcc_lo, 0, v[1:2]
	v_cmp_neq_f64_e64 s2, 1.0, v[3:4]
	s_or_b32 s2, vcc_lo, s2
	s_wait_alu 0xfffe
	s_and_saveexec_b32 s3, s2
	s_cbranch_execz .LBB53_23
; %bb.5:
	s_load_b64 s[2:3], s[0:1], 0x0
	v_lshrrev_b32_e32 v5, 3, v0
	s_delay_alu instid0(VALU_DEP_1) | instskip(SKIP_1) | instid1(VALU_DEP_1)
	v_lshl_or_b32 v5, ttmp9, 4, v5
	s_wait_kmcnt 0x0
	v_cmp_gt_i32_e32 vcc_lo, s2, v5
	s_and_b32 exec_lo, exec_lo, vcc_lo
	s_cbranch_execz .LBB53_23
; %bb.6:
	s_load_b256 s[4:11], s[0:1], 0x10
	v_ashrrev_i32_e32 v6, 31, v5
	v_and_b32_e32 v0, 7, v0
	s_cmp_lg_u32 s3, 0
	s_delay_alu instid0(VALU_DEP_2) | instskip(SKIP_1) | instid1(VALU_DEP_1)
	v_lshlrev_b64_e32 v[6:7], 2, v[5:6]
	s_wait_kmcnt 0x0
	v_add_co_u32 v6, vcc_lo, s4, v6
	s_delay_alu instid0(VALU_DEP_1) | instskip(SKIP_4) | instid1(VALU_DEP_2)
	v_add_co_ci_u32_e64 v7, null, s5, v7, vcc_lo
	global_load_b64 v[6:7], v[6:7], off
	s_wait_loadcnt 0x0
	v_subrev_nc_u32_e32 v6, s12, v6
	v_subrev_nc_u32_e32 v21, s12, v7
	v_add_nc_u32_e32 v12, v6, v0
	s_delay_alu instid0(VALU_DEP_1)
	v_cmp_lt_i32_e64 s2, v12, v21
	s_cbranch_scc0 .LBB53_12
; %bb.7:
	v_mov_b32_e32 v6, 0
	v_dual_mov_b32 v10, 0 :: v_dual_mov_b32 v7, 0
	v_dual_mov_b32 v8, 0 :: v_dual_mov_b32 v11, 0
	;; [unrolled: 1-line block ×3, first 2 shown]
	v_mov_b32_e32 v15, 0
	s_and_saveexec_b32 s3, s2
	s_cbranch_execz .LBB53_11
; %bb.8:
	v_mad_co_u64_u32 v[16:17], null, v12, 20, 16
	v_mov_b32_e32 v6, 0
	v_mov_b32_e32 v8, 0
	;; [unrolled: 1-line block ×3, first 2 shown]
	v_dual_mov_b32 v14, 0 :: v_dual_mov_b32 v19, v12
	v_dual_mov_b32 v7, 0 :: v_dual_mov_b32 v18, 0
	v_mov_b32_e32 v9, 0
	v_mov_b32_e32 v11, 0
	;; [unrolled: 1-line block ×3, first 2 shown]
	s_mov_b32 s4, 0
.LBB53_9:                               ; =>This Inner Loop Header: Depth=1
	v_ashrrev_i32_e32 v20, 31, v19
	v_add_nc_u32_e32 v17, -16, v16
	v_mov_b32_e32 v59, v18
	s_delay_alu instid0(VALU_DEP_3) | instskip(SKIP_1) | instid1(VALU_DEP_2)
	v_lshlrev_b64_e32 v[22:23], 2, v[19:20]
	v_add_nc_u32_e32 v19, 8, v19
	v_add_co_u32 v22, vcc_lo, s6, v22
	s_wait_alu 0xfffd
	s_delay_alu instid0(VALU_DEP_3) | instskip(SKIP_3) | instid1(VALU_DEP_2)
	v_add_co_ci_u32_e64 v23, null, s7, v23, vcc_lo
	global_load_b32 v13, v[22:23], off
	v_lshlrev_b64_e32 v[22:23], 3, v[17:18]
	v_add_nc_u32_e32 v17, -12, v16
	v_add_co_u32 v26, vcc_lo, s8, v22
	s_wait_alu 0xfffd
	s_delay_alu instid0(VALU_DEP_3) | instskip(SKIP_3) | instid1(VALU_DEP_1)
	v_add_co_ci_u32_e64 v27, null, s9, v23, vcc_lo
	global_load_b128 v[22:25], v[26:27], off offset:16
	s_wait_loadcnt 0x1
	v_subrev_nc_u32_e32 v13, s12, v13
	v_lshl_add_u32 v58, v13, 2, v13
	s_delay_alu instid0(VALU_DEP_1) | instskip(NEXT) | instid1(VALU_DEP_1)
	v_lshlrev_b64_e32 v[28:29], 3, v[58:59]
	v_add_co_u32 v30, vcc_lo, s10, v28
	s_wait_alu 0xfffd
	s_delay_alu instid0(VALU_DEP_2) | instskip(SKIP_4) | instid1(VALU_DEP_1)
	v_add_co_ci_u32_e64 v31, null, s11, v29, vcc_lo
	global_load_b128 v[26:29], v[26:27], off
	global_load_b64 v[62:63], v[30:31], off
	v_lshlrev_b64_e32 v[30:31], 3, v[17:18]
	v_add_nc_u32_e32 v17, 1, v58
	v_lshlrev_b64_e32 v[36:37], 3, v[17:18]
	s_delay_alu instid0(VALU_DEP_3) | instskip(SKIP_1) | instid1(VALU_DEP_4)
	v_add_co_u32 v34, vcc_lo, s8, v30
	s_wait_alu 0xfffd
	v_add_co_ci_u32_e64 v35, null, s9, v31, vcc_lo
	v_add_nc_u32_e32 v17, -8, v16
	s_delay_alu instid0(VALU_DEP_4)
	v_add_co_u32 v38, vcc_lo, s10, v36
	s_wait_alu 0xfffd
	v_add_co_ci_u32_e64 v39, null, s11, v37, vcc_lo
	s_clause 0x1
	global_load_b128 v[30:33], v[34:35], off offset:16
	global_load_b128 v[34:37], v[34:35], off
	global_load_b64 v[64:65], v[38:39], off
	v_lshlrev_b64_e32 v[38:39], 3, v[17:18]
	v_add_nc_u32_e32 v17, 2, v58
	s_delay_alu instid0(VALU_DEP_1) | instskip(NEXT) | instid1(VALU_DEP_3)
	v_lshlrev_b64_e32 v[40:41], 3, v[17:18]
	v_add_co_u32 v42, vcc_lo, s8, v38
	s_wait_alu 0xfffd
	s_delay_alu instid0(VALU_DEP_4) | instskip(SKIP_1) | instid1(VALU_DEP_4)
	v_add_co_ci_u32_e64 v43, null, s9, v39, vcc_lo
	v_add_nc_u32_e32 v17, -4, v16
	v_add_co_u32 v46, vcc_lo, s10, v40
	s_wait_alu 0xfffd
	v_add_co_ci_u32_e64 v47, null, s11, v41, vcc_lo
	s_clause 0x1
	global_load_b128 v[38:41], v[42:43], off offset:16
	global_load_b128 v[42:45], v[42:43], off
	global_load_b64 v[66:67], v[46:47], off
	v_lshlrev_b64_e32 v[46:47], 3, v[17:18]
	v_add_nc_u32_e32 v17, 3, v58
	s_delay_alu instid0(VALU_DEP_1) | instskip(NEXT) | instid1(VALU_DEP_3)
	v_lshlrev_b64_e32 v[48:49], 3, v[17:18]
	v_add_co_u32 v50, vcc_lo, s8, v46
	s_wait_alu 0xfffd
	s_delay_alu instid0(VALU_DEP_4) | instskip(SKIP_1) | instid1(VALU_DEP_4)
	v_add_co_ci_u32_e64 v51, null, s9, v47, vcc_lo
	v_mov_b32_e32 v17, v18
	v_add_co_u32 v54, vcc_lo, s10, v48
	s_wait_alu 0xfffd
	v_add_co_ci_u32_e64 v55, null, s11, v49, vcc_lo
	s_clause 0x1
	global_load_b128 v[46:49], v[50:51], off offset:16
	global_load_b128 v[50:53], v[50:51], off
	global_load_b64 v[68:69], v[54:55], off
	v_lshlrev_b64_e32 v[54:55], 3, v[16:17]
	v_add_nc_u32_e32 v17, 4, v58
	v_add_nc_u32_e32 v16, 0xa0, v16
	s_delay_alu instid0(VALU_DEP_2) | instskip(NEXT) | instid1(VALU_DEP_4)
	v_lshlrev_b64_e32 v[70:71], 3, v[17:18]
	v_add_co_u32 v59, vcc_lo, s8, v54
	s_wait_alu 0xfffd
	v_add_co_ci_u32_e64 v60, null, s9, v55, vcc_lo
	s_delay_alu instid0(VALU_DEP_3)
	v_add_co_u32 v70, vcc_lo, s10, v70
	s_wait_alu 0xfffd
	v_add_co_ci_u32_e64 v71, null, s11, v71, vcc_lo
	s_clause 0x1
	global_load_b128 v[54:57], v[59:60], off offset:16
	global_load_b128 v[58:61], v[59:60], off
	global_load_b64 v[70:71], v[70:71], off
	v_cmp_ge_i32_e32 vcc_lo, v19, v21
	s_wait_alu 0xfffe
	s_or_b32 s4, vcc_lo, s4
	s_wait_loadcnt 0xc
	v_fma_f64 v[6:7], v[26:27], v[62:63], v[6:7]
	v_fma_f64 v[13:14], v[28:29], v[62:63], v[14:15]
	v_fma_f64 v[10:11], v[22:23], v[62:63], v[10:11]
	v_fma_f64 v[8:9], v[24:25], v[62:63], v[8:9]
	s_wait_loadcnt 0x9
	s_delay_alu instid0(VALU_DEP_4) | instskip(NEXT) | instid1(VALU_DEP_4)
	v_fma_f64 v[6:7], v[34:35], v[64:65], v[6:7]
	v_fma_f64 v[13:14], v[36:37], v[64:65], v[13:14]
	s_delay_alu instid0(VALU_DEP_4) | instskip(NEXT) | instid1(VALU_DEP_4)
	v_fma_f64 v[10:11], v[30:31], v[64:65], v[10:11]
	v_fma_f64 v[8:9], v[32:33], v[64:65], v[8:9]
	s_wait_loadcnt 0x6
	s_delay_alu instid0(VALU_DEP_4) | instskip(NEXT) | instid1(VALU_DEP_4)
	v_fma_f64 v[6:7], v[42:43], v[66:67], v[6:7]
	v_fma_f64 v[13:14], v[44:45], v[66:67], v[13:14]
	s_delay_alu instid0(VALU_DEP_4) | instskip(NEXT) | instid1(VALU_DEP_4)
	v_fma_f64 v[10:11], v[38:39], v[66:67], v[10:11]
	v_fma_f64 v[8:9], v[40:41], v[66:67], v[8:9]
	;; [unrolled: 7-line block ×4, first 2 shown]
	s_wait_alu 0xfffe
	s_and_not1_b32 exec_lo, exec_lo, s4
	s_cbranch_execnz .LBB53_9
; %bb.10:
	s_or_b32 exec_lo, exec_lo, s4
.LBB53_11:
	s_wait_alu 0xfffe
	s_or_b32 exec_lo, exec_lo, s3
	s_cbranch_execz .LBB53_13
	s_branch .LBB53_18
.LBB53_12:
                                        ; implicit-def: $vgpr6_vgpr7
                                        ; implicit-def: $vgpr8_vgpr9
                                        ; implicit-def: $vgpr10_vgpr11
                                        ; implicit-def: $vgpr14_vgpr15
.LBB53_13:
	v_mov_b32_e32 v6, 0
	v_dual_mov_b32 v10, 0 :: v_dual_mov_b32 v7, 0
	v_dual_mov_b32 v8, 0 :: v_dual_mov_b32 v11, 0
	;; [unrolled: 1-line block ×3, first 2 shown]
	v_mov_b32_e32 v15, 0
	s_and_saveexec_b32 s3, s2
	s_cbranch_execz .LBB53_17
; %bb.14:
	v_mad_co_u64_u32 v[16:17], null, v12, 20, 19
	v_mov_b32_e32 v6, 0
	v_dual_mov_b32 v10, 0 :: v_dual_mov_b32 v7, 0
	v_dual_mov_b32 v8, 0 :: v_dual_mov_b32 v11, 0
	;; [unrolled: 1-line block ×3, first 2 shown]
	v_mov_b32_e32 v15, 0
	v_mov_b32_e32 v19, 0
	s_mov_b32 s4, 0
.LBB53_15:                              ; =>This Inner Loop Header: Depth=1
	v_ashrrev_i32_e32 v13, 31, v12
	s_delay_alu instid0(VALU_DEP_2) | instskip(SKIP_1) | instid1(VALU_DEP_3)
	v_dual_mov_b32 v31, v19 :: v_dual_add_nc_u32 v22, -14, v16
	v_dual_mov_b32 v23, v19 :: v_dual_add_nc_u32 v24, -9, v16
	v_lshlrev_b64_e32 v[17:18], 2, v[12:13]
	v_dual_mov_b32 v25, v19 :: v_dual_add_nc_u32 v26, -4, v16
	v_add_nc_u32_e32 v12, 8, v12
	s_delay_alu instid0(VALU_DEP_4) | instskip(NEXT) | instid1(VALU_DEP_4)
	v_lshlrev_b64_e32 v[22:23], 3, v[22:23]
	v_add_co_u32 v17, vcc_lo, s6, v17
	s_wait_alu 0xfffd
	v_add_co_ci_u32_e64 v18, null, s7, v18, vcc_lo
	v_lshlrev_b64_e32 v[24:25], 3, v[24:25]
	global_load_b32 v13, v[17:18], off
	v_subrev_nc_u32_e32 v18, 19, v16
	s_delay_alu instid0(VALU_DEP_1) | instskip(NEXT) | instid1(VALU_DEP_1)
	v_lshlrev_b64_e32 v[17:18], 3, v[18:19]
	v_add_co_u32 v17, vcc_lo, s8, v17
	s_wait_alu 0xfffd
	s_delay_alu instid0(VALU_DEP_2)
	v_add_co_ci_u32_e64 v18, null, s9, v18, vcc_lo
	v_add_co_u32 v32, vcc_lo, s8, v22
	s_wait_alu 0xfffd
	v_add_co_ci_u32_e64 v33, null, s9, v23, vcc_lo
	v_add_co_u32 v34, vcc_lo, s8, v24
	s_wait_alu 0xfffd
	v_add_co_ci_u32_e64 v35, null, s9, v25, vcc_lo
	s_wait_loadcnt 0x0
	v_subrev_nc_u32_e32 v13, s12, v13
	s_delay_alu instid0(VALU_DEP_1) | instskip(SKIP_1) | instid1(VALU_DEP_1)
	v_lshl_add_u32 v30, v13, 2, v13
	v_mov_b32_e32 v27, v19
	v_lshlrev_b64_e32 v[26:27], 3, v[26:27]
	s_delay_alu instid0(VALU_DEP_1) | instskip(SKIP_1) | instid1(VALU_DEP_2)
	v_add_co_u32 v36, vcc_lo, s8, v26
	s_wait_alu 0xfffd
	v_add_co_ci_u32_e64 v37, null, s9, v27, vcc_lo
	s_clause 0x3
	global_load_b128 v[22:25], v[17:18], off offset:16
	global_load_b128 v[26:29], v[17:18], off
	global_load_b64 v[32:33], v[32:33], off
	global_load_b64 v[34:35], v[34:35], off
	v_lshlrev_b64_e32 v[17:18], 3, v[30:31]
	s_delay_alu instid0(VALU_DEP_1) | instskip(SKIP_1) | instid1(VALU_DEP_2)
	v_add_co_u32 v17, vcc_lo, s10, v17
	s_wait_alu 0xfffd
	v_add_co_ci_u32_e64 v18, null, s11, v18, vcc_lo
	global_load_b64 v[36:37], v[36:37], off
	global_load_b64 v[38:39], v[17:18], off
	v_dual_mov_b32 v17, v19 :: v_dual_add_nc_u32 v18, 1, v30
	s_delay_alu instid0(VALU_DEP_1) | instskip(SKIP_1) | instid1(VALU_DEP_3)
	v_lshlrev_b64_e32 v[40:41], 3, v[18:19]
	v_add_nc_u32_e32 v18, -13, v16
	v_lshlrev_b64_e32 v[48:49], 3, v[16:17]
	s_delay_alu instid0(VALU_DEP_2) | instskip(SKIP_4) | instid1(VALU_DEP_3)
	v_lshlrev_b64_e32 v[42:43], 3, v[18:19]
	v_add_nc_u32_e32 v18, -8, v16
	v_add_co_u32 v40, vcc_lo, s10, v40
	s_wait_alu 0xfffd
	v_add_co_ci_u32_e64 v41, null, s11, v41, vcc_lo
	v_lshlrev_b64_e32 v[44:45], 3, v[18:19]
	v_add_nc_u32_e32 v18, -3, v16
	v_add_co_u32 v42, vcc_lo, s8, v42
	s_wait_alu 0xfffd
	v_add_co_ci_u32_e64 v43, null, s9, v43, vcc_lo
	s_delay_alu instid0(VALU_DEP_3) | instskip(SKIP_4) | instid1(VALU_DEP_4)
	v_lshlrev_b64_e32 v[46:47], 3, v[18:19]
	v_add_co_u32 v44, vcc_lo, s8, v44
	s_wait_alu 0xfffd
	v_add_co_ci_u32_e64 v45, null, s9, v45, vcc_lo
	v_add_nc_u32_e32 v18, 2, v30
	v_add_co_u32 v46, vcc_lo, s8, v46
	s_wait_alu 0xfffd
	v_add_co_ci_u32_e64 v47, null, s9, v47, vcc_lo
	global_load_b64 v[40:41], v[40:41], off
	s_clause 0x2
	global_load_b64 v[42:43], v[42:43], off
	global_load_b64 v[44:45], v[44:45], off
	;; [unrolled: 1-line block ×3, first 2 shown]
	v_lshlrev_b64_e32 v[50:51], 3, v[18:19]
	v_add_nc_u32_e32 v18, -12, v16
	s_delay_alu instid0(VALU_DEP_1) | instskip(SKIP_1) | instid1(VALU_DEP_4)
	v_lshlrev_b64_e32 v[52:53], 3, v[18:19]
	v_add_nc_u32_e32 v18, -7, v16
	v_add_co_u32 v50, vcc_lo, s10, v50
	s_wait_alu 0xfffd
	v_add_co_ci_u32_e64 v51, null, s11, v51, vcc_lo
	s_delay_alu instid0(VALU_DEP_3) | instskip(SKIP_4) | instid1(VALU_DEP_3)
	v_lshlrev_b64_e32 v[54:55], 3, v[18:19]
	v_add_nc_u32_e32 v18, -2, v16
	v_add_co_u32 v52, vcc_lo, s8, v52
	s_wait_alu 0xfffd
	v_add_co_ci_u32_e64 v53, null, s9, v53, vcc_lo
	v_lshlrev_b64_e32 v[17:18], 3, v[18:19]
	v_add_co_u32 v54, vcc_lo, s8, v54
	s_wait_alu 0xfffd
	v_add_co_ci_u32_e64 v55, null, s9, v55, vcc_lo
	s_delay_alu instid0(VALU_DEP_3)
	v_add_co_u32 v17, vcc_lo, s8, v17
	s_wait_alu 0xfffd
	v_add_co_ci_u32_e64 v18, null, s9, v18, vcc_lo
	global_load_b64 v[50:51], v[50:51], off
	s_clause 0x2
	global_load_b64 v[52:53], v[52:53], off
	global_load_b64 v[54:55], v[54:55], off
	;; [unrolled: 1-line block ×3, first 2 shown]
	v_add_nc_u32_e32 v18, 3, v30
	v_add_co_u32 v48, vcc_lo, s8, v48
	s_wait_alu 0xfffd
	v_add_co_ci_u32_e64 v49, null, s9, v49, vcc_lo
	s_delay_alu instid0(VALU_DEP_3) | instskip(SKIP_1) | instid1(VALU_DEP_1)
	v_lshlrev_b64_e32 v[58:59], 3, v[18:19]
	v_add_nc_u32_e32 v18, -11, v16
	v_lshlrev_b64_e32 v[60:61], 3, v[18:19]
	v_add_nc_u32_e32 v18, -6, v16
	s_delay_alu instid0(VALU_DEP_4) | instskip(SKIP_2) | instid1(VALU_DEP_3)
	v_add_co_u32 v58, s2, s10, v58
	s_wait_alu 0xf1ff
	v_add_co_ci_u32_e64 v59, null, s11, v59, s2
	v_lshlrev_b64_e32 v[62:63], 3, v[18:19]
	v_add_nc_u32_e32 v18, -1, v16
	v_add_co_u32 v60, s2, s8, v60
	s_wait_alu 0xf1ff
	v_add_co_ci_u32_e64 v61, null, s9, v61, s2
	s_delay_alu instid0(VALU_DEP_3) | instskip(SKIP_3) | instid1(VALU_DEP_3)
	v_lshlrev_b64_e32 v[17:18], 3, v[18:19]
	v_add_co_u32 v62, s2, s8, v62
	s_wait_alu 0xf1ff
	v_add_co_ci_u32_e64 v63, null, s9, v63, s2
	v_add_co_u32 v17, s2, s8, v17
	s_wait_alu 0xf1ff
	v_add_co_ci_u32_e64 v18, null, s9, v18, s2
	global_load_b64 v[58:59], v[58:59], off
	s_clause 0x2
	global_load_b64 v[60:61], v[60:61], off
	global_load_b64 v[62:63], v[62:63], off
	;; [unrolled: 1-line block ×3, first 2 shown]
	v_add_nc_u32_e32 v18, -15, v16
	s_delay_alu instid0(VALU_DEP_1) | instskip(SKIP_1) | instid1(VALU_DEP_1)
	v_lshlrev_b64_e32 v[66:67], 3, v[18:19]
	v_add_nc_u32_e32 v18, 4, v30
	v_lshlrev_b64_e32 v[30:31], 3, v[18:19]
	v_add_nc_u32_e32 v18, -10, v16
	s_delay_alu instid0(VALU_DEP_4) | instskip(SKIP_2) | instid1(VALU_DEP_3)
	v_add_co_u32 v66, vcc_lo, s8, v66
	s_wait_alu 0xfffd
	v_add_co_ci_u32_e64 v67, null, s9, v67, vcc_lo
	v_lshlrev_b64_e32 v[68:69], 3, v[18:19]
	v_add_nc_u32_e32 v18, -5, v16
	v_add_co_u32 v30, vcc_lo, s10, v30
	s_wait_alu 0xfffd
	v_add_co_ci_u32_e64 v31, null, s11, v31, vcc_lo
	s_delay_alu instid0(VALU_DEP_3) | instskip(SKIP_4) | instid1(VALU_DEP_4)
	v_lshlrev_b64_e32 v[17:18], 3, v[18:19]
	v_add_co_u32 v68, vcc_lo, s8, v68
	s_wait_alu 0xfffd
	v_add_co_ci_u32_e64 v69, null, s9, v69, vcc_lo
	v_add_nc_u32_e32 v16, 0xa0, v16
	v_add_co_u32 v17, vcc_lo, s8, v17
	s_wait_alu 0xfffd
	v_add_co_ci_u32_e64 v18, null, s9, v18, vcc_lo
	global_load_b64 v[66:67], v[66:67], off
	global_load_b64 v[30:31], v[30:31], off
	s_clause 0x2
	global_load_b64 v[68:69], v[68:69], off
	global_load_b64 v[17:18], v[17:18], off
	;; [unrolled: 1-line block ×3, first 2 shown]
	v_cmp_ge_i32_e32 vcc_lo, v12, v21
	s_wait_alu 0xfffe
	s_or_b32 s4, vcc_lo, s4
	s_wait_loadcnt 0x11
	v_fma_f64 v[6:7], v[26:27], v[38:39], v[6:7]
	v_fma_f64 v[13:14], v[32:33], v[38:39], v[14:15]
	;; [unrolled: 1-line block ×4, first 2 shown]
	s_wait_loadcnt 0x10
	s_delay_alu instid0(VALU_DEP_4) | instskip(SKIP_1) | instid1(VALU_DEP_4)
	v_fma_f64 v[6:7], v[28:29], v[40:41], v[6:7]
	s_wait_loadcnt 0xf
	v_fma_f64 v[13:14], v[42:43], v[40:41], v[13:14]
	s_wait_loadcnt 0xe
	s_delay_alu instid0(VALU_DEP_4) | instskip(SKIP_1) | instid1(VALU_DEP_4)
	v_fma_f64 v[10:11], v[44:45], v[40:41], v[10:11]
	s_wait_loadcnt 0xd
	v_fma_f64 v[8:9], v[46:47], v[40:41], v[8:9]
	;; [unrolled: 5-line block ×8, first 2 shown]
	s_wait_alu 0xfffe
	s_and_not1_b32 exec_lo, exec_lo, s4
	s_cbranch_execnz .LBB53_15
; %bb.16:
	s_or_b32 exec_lo, exec_lo, s4
.LBB53_17:
	s_wait_alu 0xfffe
	s_or_b32 exec_lo, exec_lo, s3
.LBB53_18:
	v_mbcnt_lo_u32_b32 v24, -1, 0
	s_delay_alu instid0(VALU_DEP_1) | instskip(NEXT) | instid1(VALU_DEP_1)
	v_xor_b32_e32 v12, 4, v24
	v_cmp_gt_i32_e32 vcc_lo, 32, v12
	s_wait_alu 0xfffd
	v_cndmask_b32_e32 v12, v24, v12, vcc_lo
	s_delay_alu instid0(VALU_DEP_1)
	v_lshlrev_b32_e32 v21, 2, v12
	ds_bpermute_b32 v16, v21, v14
	ds_bpermute_b32 v17, v21, v15
	;; [unrolled: 1-line block ×4, first 2 shown]
	s_wait_dscnt 0x2
	v_add_f64_e32 v[14:15], v[14:15], v[16:17]
	s_wait_dscnt 0x0
	v_add_f64_e32 v[16:17], v[10:11], v[18:19]
	v_xor_b32_e32 v10, 2, v24
	s_delay_alu instid0(VALU_DEP_1)
	v_cmp_gt_i32_e32 vcc_lo, 32, v10
	s_wait_alu 0xfffd
	v_cndmask_b32_e32 v10, v24, v10, vcc_lo
	ds_bpermute_b32 v12, v21, v6
	ds_bpermute_b32 v13, v21, v7
	;; [unrolled: 1-line block ×4, first 2 shown]
	s_wait_dscnt 0x2
	v_add_f64_e32 v[6:7], v[6:7], v[12:13]
	v_lshlrev_b32_e32 v12, 2, v10
	s_wait_dscnt 0x0
	v_add_f64_e32 v[8:9], v[8:9], v[20:21]
	ds_bpermute_b32 v18, v12, v14
	ds_bpermute_b32 v19, v12, v15
	;; [unrolled: 1-line block ×8, first 2 shown]
	s_wait_dscnt 0x2
	v_add_f64_e32 v[12:13], v[6:7], v[10:11]
	v_add_f64_e32 v[10:11], v[14:15], v[18:19]
	;; [unrolled: 1-line block ×3, first 2 shown]
	s_wait_dscnt 0x0
	v_add_f64_e32 v[8:9], v[8:9], v[22:23]
	v_xor_b32_e32 v14, 1, v24
	s_delay_alu instid0(VALU_DEP_1) | instskip(SKIP_3) | instid1(VALU_DEP_2)
	v_cmp_gt_i32_e32 vcc_lo, 32, v14
	s_wait_alu 0xfffd
	v_cndmask_b32_e32 v14, v24, v14, vcc_lo
	v_cmp_eq_u32_e32 vcc_lo, 7, v0
	v_lshlrev_b32_e32 v15, 2, v14
	ds_bpermute_b32 v20, v15, v12
	ds_bpermute_b32 v21, v15, v13
	;; [unrolled: 1-line block ×8, first 2 shown]
	s_and_b32 exec_lo, exec_lo, vcc_lo
	s_cbranch_execz .LBB53_23
; %bb.19:
	s_wait_dscnt 0x6
	v_add_f64_e32 v[12:13], v[12:13], v[20:21]
	s_wait_dscnt 0x4
	v_add_f64_e32 v[10:11], v[10:11], v[18:19]
	s_wait_dscnt 0x2
	v_add_f64_e32 v[6:7], v[6:7], v[16:17]
	s_wait_dscnt 0x0
	v_add_f64_e32 v[8:9], v[8:9], v[14:15]
	s_load_b64 s[0:1], s[0:1], 0x38
	s_mov_b32 s2, exec_lo
	v_cmpx_eq_f64_e32 0, v[3:4]
	s_wait_alu 0xfffe
	s_xor_b32 s2, exec_lo, s2
	s_cbranch_execz .LBB53_21
; %bb.20:
	v_mul_f64_e32 v[12:13], v[1:2], v[12:13]
	v_mul_f64_e32 v[14:15], v[1:2], v[10:11]
	;; [unrolled: 1-line block ×4, first 2 shown]
	v_lshlrev_b32_e32 v0, 2, v5
                                        ; implicit-def: $vgpr5
                                        ; implicit-def: $vgpr3_vgpr4
                                        ; implicit-def: $vgpr10_vgpr11
	s_delay_alu instid0(VALU_DEP_1) | instskip(NEXT) | instid1(VALU_DEP_1)
	v_ashrrev_i32_e32 v1, 31, v0
	v_lshlrev_b64_e32 v[0:1], 3, v[0:1]
	s_wait_kmcnt 0x0
	s_delay_alu instid0(VALU_DEP_1) | instskip(SKIP_1) | instid1(VALU_DEP_2)
	v_add_co_u32 v0, vcc_lo, s0, v0
	s_wait_alu 0xfffd
	v_add_co_ci_u32_e64 v1, null, s1, v1, vcc_lo
	s_clause 0x1
	global_store_b128 v[0:1], v[12:15], off
	global_store_b128 v[0:1], v[6:9], off offset:16
                                        ; implicit-def: $vgpr1_vgpr2
                                        ; implicit-def: $vgpr12_vgpr13
                                        ; implicit-def: $vgpr6_vgpr7
                                        ; implicit-def: $vgpr8_vgpr9
.LBB53_21:
	s_wait_alu 0xfffe
	s_and_not1_saveexec_b32 s2, s2
	s_cbranch_execz .LBB53_23
; %bb.22:
	v_lshlrev_b32_e32 v14, 2, v5
	v_mul_f64_e32 v[12:13], v[1:2], v[12:13]
	v_mul_f64_e32 v[10:11], v[1:2], v[10:11]
	;; [unrolled: 1-line block ×4, first 2 shown]
	v_ashrrev_i32_e32 v15, 31, v14
	s_delay_alu instid0(VALU_DEP_1) | instskip(SKIP_1) | instid1(VALU_DEP_1)
	v_lshlrev_b64_e32 v[14:15], 3, v[14:15]
	s_wait_kmcnt 0x0
	v_add_co_u32 v22, vcc_lo, s0, v14
	s_wait_alu 0xfffd
	s_delay_alu instid0(VALU_DEP_2)
	v_add_co_ci_u32_e64 v23, null, s1, v15, vcc_lo
	s_clause 0x1
	global_load_b128 v[14:17], v[22:23], off
	global_load_b128 v[18:21], v[22:23], off offset:16
	s_wait_loadcnt 0x1
	v_fma_f64 v[5:6], v[3:4], v[14:15], v[12:13]
	v_fma_f64 v[7:8], v[3:4], v[16:17], v[10:11]
	s_wait_loadcnt 0x0
	v_fma_f64 v[0:1], v[3:4], v[18:19], v[24:25]
	v_fma_f64 v[2:3], v[3:4], v[20:21], v[26:27]
	s_clause 0x1
	global_store_b128 v[22:23], v[5:8], off
	global_store_b128 v[22:23], v[0:3], off offset:16
.LBB53_23:
	s_endpgm
	.section	.rodata,"a",@progbits
	.p2align	6, 0x0
	.amdhsa_kernel _ZN9rocsparseL19gebsrmvn_4xn_kernelILj128ELj5ELj8EdEEvi20rocsparse_direction_NS_24const_host_device_scalarIT2_EEPKiS6_PKS3_S8_S4_PS3_21rocsparse_index_base_b
		.amdhsa_group_segment_fixed_size 0
		.amdhsa_private_segment_fixed_size 0
		.amdhsa_kernarg_size 72
		.amdhsa_user_sgpr_count 2
		.amdhsa_user_sgpr_dispatch_ptr 0
		.amdhsa_user_sgpr_queue_ptr 0
		.amdhsa_user_sgpr_kernarg_segment_ptr 1
		.amdhsa_user_sgpr_dispatch_id 0
		.amdhsa_user_sgpr_private_segment_size 0
		.amdhsa_wavefront_size32 1
		.amdhsa_uses_dynamic_stack 0
		.amdhsa_enable_private_segment 0
		.amdhsa_system_sgpr_workgroup_id_x 1
		.amdhsa_system_sgpr_workgroup_id_y 0
		.amdhsa_system_sgpr_workgroup_id_z 0
		.amdhsa_system_sgpr_workgroup_info 0
		.amdhsa_system_vgpr_workitem_id 0
		.amdhsa_next_free_vgpr 72
		.amdhsa_next_free_sgpr 14
		.amdhsa_reserve_vcc 1
		.amdhsa_float_round_mode_32 0
		.amdhsa_float_round_mode_16_64 0
		.amdhsa_float_denorm_mode_32 3
		.amdhsa_float_denorm_mode_16_64 3
		.amdhsa_fp16_overflow 0
		.amdhsa_workgroup_processor_mode 1
		.amdhsa_memory_ordered 1
		.amdhsa_forward_progress 1
		.amdhsa_inst_pref_size 27
		.amdhsa_round_robin_scheduling 0
		.amdhsa_exception_fp_ieee_invalid_op 0
		.amdhsa_exception_fp_denorm_src 0
		.amdhsa_exception_fp_ieee_div_zero 0
		.amdhsa_exception_fp_ieee_overflow 0
		.amdhsa_exception_fp_ieee_underflow 0
		.amdhsa_exception_fp_ieee_inexact 0
		.amdhsa_exception_int_div_zero 0
	.end_amdhsa_kernel
	.section	.text._ZN9rocsparseL19gebsrmvn_4xn_kernelILj128ELj5ELj8EdEEvi20rocsparse_direction_NS_24const_host_device_scalarIT2_EEPKiS6_PKS3_S8_S4_PS3_21rocsparse_index_base_b,"axG",@progbits,_ZN9rocsparseL19gebsrmvn_4xn_kernelILj128ELj5ELj8EdEEvi20rocsparse_direction_NS_24const_host_device_scalarIT2_EEPKiS6_PKS3_S8_S4_PS3_21rocsparse_index_base_b,comdat
.Lfunc_end53:
	.size	_ZN9rocsparseL19gebsrmvn_4xn_kernelILj128ELj5ELj8EdEEvi20rocsparse_direction_NS_24const_host_device_scalarIT2_EEPKiS6_PKS3_S8_S4_PS3_21rocsparse_index_base_b, .Lfunc_end53-_ZN9rocsparseL19gebsrmvn_4xn_kernelILj128ELj5ELj8EdEEvi20rocsparse_direction_NS_24const_host_device_scalarIT2_EEPKiS6_PKS3_S8_S4_PS3_21rocsparse_index_base_b
                                        ; -- End function
	.set _ZN9rocsparseL19gebsrmvn_4xn_kernelILj128ELj5ELj8EdEEvi20rocsparse_direction_NS_24const_host_device_scalarIT2_EEPKiS6_PKS3_S8_S4_PS3_21rocsparse_index_base_b.num_vgpr, 72
	.set _ZN9rocsparseL19gebsrmvn_4xn_kernelILj128ELj5ELj8EdEEvi20rocsparse_direction_NS_24const_host_device_scalarIT2_EEPKiS6_PKS3_S8_S4_PS3_21rocsparse_index_base_b.num_agpr, 0
	.set _ZN9rocsparseL19gebsrmvn_4xn_kernelILj128ELj5ELj8EdEEvi20rocsparse_direction_NS_24const_host_device_scalarIT2_EEPKiS6_PKS3_S8_S4_PS3_21rocsparse_index_base_b.numbered_sgpr, 14
	.set _ZN9rocsparseL19gebsrmvn_4xn_kernelILj128ELj5ELj8EdEEvi20rocsparse_direction_NS_24const_host_device_scalarIT2_EEPKiS6_PKS3_S8_S4_PS3_21rocsparse_index_base_b.num_named_barrier, 0
	.set _ZN9rocsparseL19gebsrmvn_4xn_kernelILj128ELj5ELj8EdEEvi20rocsparse_direction_NS_24const_host_device_scalarIT2_EEPKiS6_PKS3_S8_S4_PS3_21rocsparse_index_base_b.private_seg_size, 0
	.set _ZN9rocsparseL19gebsrmvn_4xn_kernelILj128ELj5ELj8EdEEvi20rocsparse_direction_NS_24const_host_device_scalarIT2_EEPKiS6_PKS3_S8_S4_PS3_21rocsparse_index_base_b.uses_vcc, 1
	.set _ZN9rocsparseL19gebsrmvn_4xn_kernelILj128ELj5ELj8EdEEvi20rocsparse_direction_NS_24const_host_device_scalarIT2_EEPKiS6_PKS3_S8_S4_PS3_21rocsparse_index_base_b.uses_flat_scratch, 0
	.set _ZN9rocsparseL19gebsrmvn_4xn_kernelILj128ELj5ELj8EdEEvi20rocsparse_direction_NS_24const_host_device_scalarIT2_EEPKiS6_PKS3_S8_S4_PS3_21rocsparse_index_base_b.has_dyn_sized_stack, 0
	.set _ZN9rocsparseL19gebsrmvn_4xn_kernelILj128ELj5ELj8EdEEvi20rocsparse_direction_NS_24const_host_device_scalarIT2_EEPKiS6_PKS3_S8_S4_PS3_21rocsparse_index_base_b.has_recursion, 0
	.set _ZN9rocsparseL19gebsrmvn_4xn_kernelILj128ELj5ELj8EdEEvi20rocsparse_direction_NS_24const_host_device_scalarIT2_EEPKiS6_PKS3_S8_S4_PS3_21rocsparse_index_base_b.has_indirect_call, 0
	.section	.AMDGPU.csdata,"",@progbits
; Kernel info:
; codeLenInByte = 3348
; TotalNumSgprs: 16
; NumVgprs: 72
; ScratchSize: 0
; MemoryBound: 1
; FloatMode: 240
; IeeeMode: 1
; LDSByteSize: 0 bytes/workgroup (compile time only)
; SGPRBlocks: 0
; VGPRBlocks: 8
; NumSGPRsForWavesPerEU: 16
; NumVGPRsForWavesPerEU: 72
; Occupancy: 16
; WaveLimiterHint : 1
; COMPUTE_PGM_RSRC2:SCRATCH_EN: 0
; COMPUTE_PGM_RSRC2:USER_SGPR: 2
; COMPUTE_PGM_RSRC2:TRAP_HANDLER: 0
; COMPUTE_PGM_RSRC2:TGID_X_EN: 1
; COMPUTE_PGM_RSRC2:TGID_Y_EN: 0
; COMPUTE_PGM_RSRC2:TGID_Z_EN: 0
; COMPUTE_PGM_RSRC2:TIDIG_COMP_CNT: 0
	.section	.text._ZN9rocsparseL19gebsrmvn_4xn_kernelILj128ELj5ELj16EdEEvi20rocsparse_direction_NS_24const_host_device_scalarIT2_EEPKiS6_PKS3_S8_S4_PS3_21rocsparse_index_base_b,"axG",@progbits,_ZN9rocsparseL19gebsrmvn_4xn_kernelILj128ELj5ELj16EdEEvi20rocsparse_direction_NS_24const_host_device_scalarIT2_EEPKiS6_PKS3_S8_S4_PS3_21rocsparse_index_base_b,comdat
	.globl	_ZN9rocsparseL19gebsrmvn_4xn_kernelILj128ELj5ELj16EdEEvi20rocsparse_direction_NS_24const_host_device_scalarIT2_EEPKiS6_PKS3_S8_S4_PS3_21rocsparse_index_base_b ; -- Begin function _ZN9rocsparseL19gebsrmvn_4xn_kernelILj128ELj5ELj16EdEEvi20rocsparse_direction_NS_24const_host_device_scalarIT2_EEPKiS6_PKS3_S8_S4_PS3_21rocsparse_index_base_b
	.p2align	8
	.type	_ZN9rocsparseL19gebsrmvn_4xn_kernelILj128ELj5ELj16EdEEvi20rocsparse_direction_NS_24const_host_device_scalarIT2_EEPKiS6_PKS3_S8_S4_PS3_21rocsparse_index_base_b,@function
_ZN9rocsparseL19gebsrmvn_4xn_kernelILj128ELj5ELj16EdEEvi20rocsparse_direction_NS_24const_host_device_scalarIT2_EEPKiS6_PKS3_S8_S4_PS3_21rocsparse_index_base_b: ; @_ZN9rocsparseL19gebsrmvn_4xn_kernelILj128ELj5ELj16EdEEvi20rocsparse_direction_NS_24const_host_device_scalarIT2_EEPKiS6_PKS3_S8_S4_PS3_21rocsparse_index_base_b
; %bb.0:
	s_clause 0x2
	s_load_b64 s[12:13], s[0:1], 0x40
	s_load_b64 s[4:5], s[0:1], 0x8
	;; [unrolled: 1-line block ×3, first 2 shown]
	s_wait_kmcnt 0x0
	s_bitcmp1_b32 s13, 0
	v_dual_mov_b32 v1, s4 :: v_dual_mov_b32 v2, s5
	s_cselect_b32 s6, -1, 0
	s_delay_alu instid0(SALU_CYCLE_1)
	s_and_b32 vcc_lo, exec_lo, s6
	s_xor_b32 s6, s6, -1
	s_cbranch_vccnz .LBB54_2
; %bb.1:
	v_dual_mov_b32 v1, s4 :: v_dual_mov_b32 v2, s5
	flat_load_b64 v[1:2], v[1:2]
.LBB54_2:
	v_dual_mov_b32 v4, s3 :: v_dual_mov_b32 v3, s2
	s_and_not1_b32 vcc_lo, exec_lo, s6
	s_cbranch_vccnz .LBB54_4
; %bb.3:
	v_dual_mov_b32 v4, s3 :: v_dual_mov_b32 v3, s2
	flat_load_b64 v[3:4], v[3:4]
.LBB54_4:
	s_wait_loadcnt_dscnt 0x0
	v_cmp_neq_f64_e32 vcc_lo, 0, v[1:2]
	v_cmp_neq_f64_e64 s2, 1.0, v[3:4]
	s_or_b32 s2, vcc_lo, s2
	s_wait_alu 0xfffe
	s_and_saveexec_b32 s3, s2
	s_cbranch_execz .LBB54_23
; %bb.5:
	s_load_b64 s[2:3], s[0:1], 0x0
	v_lshrrev_b32_e32 v5, 4, v0
	s_delay_alu instid0(VALU_DEP_1) | instskip(SKIP_1) | instid1(VALU_DEP_1)
	v_lshl_or_b32 v5, ttmp9, 3, v5
	s_wait_kmcnt 0x0
	v_cmp_gt_i32_e32 vcc_lo, s2, v5
	s_and_b32 exec_lo, exec_lo, vcc_lo
	s_cbranch_execz .LBB54_23
; %bb.6:
	s_load_b256 s[4:11], s[0:1], 0x10
	v_ashrrev_i32_e32 v6, 31, v5
	v_and_b32_e32 v0, 15, v0
	s_cmp_lg_u32 s3, 0
	s_delay_alu instid0(VALU_DEP_2) | instskip(SKIP_1) | instid1(VALU_DEP_1)
	v_lshlrev_b64_e32 v[6:7], 2, v[5:6]
	s_wait_kmcnt 0x0
	v_add_co_u32 v6, vcc_lo, s4, v6
	s_delay_alu instid0(VALU_DEP_1) | instskip(SKIP_4) | instid1(VALU_DEP_2)
	v_add_co_ci_u32_e64 v7, null, s5, v7, vcc_lo
	global_load_b64 v[6:7], v[6:7], off
	s_wait_loadcnt 0x0
	v_subrev_nc_u32_e32 v6, s12, v6
	v_subrev_nc_u32_e32 v20, s12, v7
	v_add_nc_u32_e32 v14, v6, v0
	s_delay_alu instid0(VALU_DEP_1)
	v_cmp_lt_i32_e64 s2, v14, v20
	s_cbranch_scc0 .LBB54_12
; %bb.7:
	v_mov_b32_e32 v6, 0
	v_dual_mov_b32 v10, 0 :: v_dual_mov_b32 v7, 0
	v_dual_mov_b32 v8, 0 :: v_dual_mov_b32 v11, 0
	;; [unrolled: 1-line block ×3, first 2 shown]
	v_mov_b32_e32 v13, 0
	s_and_saveexec_b32 s3, s2
	s_cbranch_execz .LBB54_11
; %bb.8:
	v_dual_mov_b32 v6, 0 :: v_dual_mov_b32 v17, 0
	v_mad_co_u64_u32 v[15:16], null, v14, 20, 16
	v_dual_mov_b32 v7, 0 :: v_dual_mov_b32 v8, 0
	v_dual_mov_b32 v9, 0 :: v_dual_mov_b32 v10, 0
	;; [unrolled: 1-line block ×4, first 2 shown]
	s_mov_b32 s4, 0
.LBB54_9:                               ; =>This Inner Loop Header: Depth=1
	s_delay_alu instid0(VALU_DEP_1) | instskip(SKIP_2) | instid1(VALU_DEP_3)
	v_ashrrev_i32_e32 v19, 31, v18
	v_add_nc_u32_e32 v16, -16, v15
	v_mov_b32_e32 v58, v17
	v_lshlrev_b64_e32 v[21:22], 2, v[18:19]
	v_add_nc_u32_e32 v18, 16, v18
	s_delay_alu instid0(VALU_DEP_2) | instskip(SKIP_1) | instid1(VALU_DEP_3)
	v_add_co_u32 v21, vcc_lo, s6, v21
	s_wait_alu 0xfffd
	v_add_co_ci_u32_e64 v22, null, s7, v22, vcc_lo
	global_load_b32 v19, v[21:22], off
	v_lshlrev_b64_e32 v[21:22], 3, v[16:17]
	s_delay_alu instid0(VALU_DEP_1) | instskip(SKIP_1) | instid1(VALU_DEP_2)
	v_add_co_u32 v25, vcc_lo, s8, v21
	s_wait_alu 0xfffd
	v_add_co_ci_u32_e64 v26, null, s9, v22, vcc_lo
	global_load_b128 v[21:24], v[25:26], off offset:16
	s_wait_loadcnt 0x1
	v_subrev_nc_u32_e32 v16, s12, v19
	s_delay_alu instid0(VALU_DEP_1) | instskip(SKIP_1) | instid1(VALU_DEP_2)
	v_lshl_add_u32 v57, v16, 2, v16
	v_add_nc_u32_e32 v16, -12, v15
	v_lshlrev_b64_e32 v[27:28], 3, v[57:58]
	s_delay_alu instid0(VALU_DEP_1) | instskip(SKIP_1) | instid1(VALU_DEP_2)
	v_add_co_u32 v29, vcc_lo, s10, v27
	s_wait_alu 0xfffd
	v_add_co_ci_u32_e64 v30, null, s11, v28, vcc_lo
	global_load_b128 v[25:28], v[25:26], off
	global_load_b64 v[61:62], v[29:30], off
	v_lshlrev_b64_e32 v[29:30], 3, v[16:17]
	v_add_nc_u32_e32 v16, 1, v57
	s_delay_alu instid0(VALU_DEP_1) | instskip(NEXT) | instid1(VALU_DEP_3)
	v_lshlrev_b64_e32 v[35:36], 3, v[16:17]
	v_add_co_u32 v33, vcc_lo, s8, v29
	s_wait_alu 0xfffd
	s_delay_alu instid0(VALU_DEP_4) | instskip(SKIP_1) | instid1(VALU_DEP_4)
	v_add_co_ci_u32_e64 v34, null, s9, v30, vcc_lo
	v_add_nc_u32_e32 v16, -8, v15
	v_add_co_u32 v37, vcc_lo, s10, v35
	s_wait_alu 0xfffd
	v_add_co_ci_u32_e64 v38, null, s11, v36, vcc_lo
	s_clause 0x1
	global_load_b128 v[29:32], v[33:34], off offset:16
	global_load_b128 v[33:36], v[33:34], off
	global_load_b64 v[63:64], v[37:38], off
	v_lshlrev_b64_e32 v[37:38], 3, v[16:17]
	v_add_nc_u32_e32 v16, 2, v57
	s_delay_alu instid0(VALU_DEP_1) | instskip(NEXT) | instid1(VALU_DEP_3)
	v_lshlrev_b64_e32 v[39:40], 3, v[16:17]
	v_add_co_u32 v41, vcc_lo, s8, v37
	s_wait_alu 0xfffd
	s_delay_alu instid0(VALU_DEP_4) | instskip(SKIP_1) | instid1(VALU_DEP_4)
	v_add_co_ci_u32_e64 v42, null, s9, v38, vcc_lo
	v_add_nc_u32_e32 v16, -4, v15
	v_add_co_u32 v45, vcc_lo, s10, v39
	s_wait_alu 0xfffd
	v_add_co_ci_u32_e64 v46, null, s11, v40, vcc_lo
	s_clause 0x1
	global_load_b128 v[37:40], v[41:42], off offset:16
	global_load_b128 v[41:44], v[41:42], off
	global_load_b64 v[65:66], v[45:46], off
	v_lshlrev_b64_e32 v[45:46], 3, v[16:17]
	v_add_nc_u32_e32 v16, 3, v57
	s_delay_alu instid0(VALU_DEP_1) | instskip(NEXT) | instid1(VALU_DEP_3)
	v_lshlrev_b64_e32 v[47:48], 3, v[16:17]
	v_add_co_u32 v49, vcc_lo, s8, v45
	s_wait_alu 0xfffd
	s_delay_alu instid0(VALU_DEP_4) | instskip(SKIP_1) | instid1(VALU_DEP_4)
	v_add_co_ci_u32_e64 v50, null, s9, v46, vcc_lo
	v_mov_b32_e32 v16, v17
	v_add_co_u32 v53, vcc_lo, s10, v47
	s_wait_alu 0xfffd
	v_add_co_ci_u32_e64 v54, null, s11, v48, vcc_lo
	s_clause 0x1
	global_load_b128 v[45:48], v[49:50], off offset:16
	global_load_b128 v[49:52], v[49:50], off
	global_load_b64 v[67:68], v[53:54], off
	v_lshlrev_b64_e32 v[53:54], 3, v[15:16]
	v_add_nc_u32_e32 v16, 4, v57
	v_add_nc_u32_e32 v15, 0x140, v15
	s_delay_alu instid0(VALU_DEP_2) | instskip(NEXT) | instid1(VALU_DEP_4)
	v_lshlrev_b64_e32 v[69:70], 3, v[16:17]
	v_add_co_u32 v58, vcc_lo, s8, v53
	s_wait_alu 0xfffd
	v_add_co_ci_u32_e64 v59, null, s9, v54, vcc_lo
	s_delay_alu instid0(VALU_DEP_3)
	v_add_co_u32 v69, vcc_lo, s10, v69
	s_wait_alu 0xfffd
	v_add_co_ci_u32_e64 v70, null, s11, v70, vcc_lo
	s_clause 0x1
	global_load_b128 v[53:56], v[58:59], off offset:16
	global_load_b128 v[57:60], v[58:59], off
	global_load_b64 v[69:70], v[69:70], off
	v_cmp_ge_i32_e32 vcc_lo, v18, v20
	s_wait_alu 0xfffe
	s_or_b32 s4, vcc_lo, s4
	s_wait_loadcnt 0xc
	v_fma_f64 v[6:7], v[25:26], v[61:62], v[6:7]
	v_fma_f64 v[12:13], v[27:28], v[61:62], v[12:13]
	;; [unrolled: 1-line block ×4, first 2 shown]
	s_wait_loadcnt 0x9
	s_delay_alu instid0(VALU_DEP_4) | instskip(NEXT) | instid1(VALU_DEP_4)
	v_fma_f64 v[6:7], v[33:34], v[63:64], v[6:7]
	v_fma_f64 v[12:13], v[35:36], v[63:64], v[12:13]
	s_delay_alu instid0(VALU_DEP_4) | instskip(NEXT) | instid1(VALU_DEP_4)
	v_fma_f64 v[10:11], v[29:30], v[63:64], v[10:11]
	v_fma_f64 v[8:9], v[31:32], v[63:64], v[8:9]
	s_wait_loadcnt 0x6
	s_delay_alu instid0(VALU_DEP_4) | instskip(NEXT) | instid1(VALU_DEP_4)
	v_fma_f64 v[6:7], v[41:42], v[65:66], v[6:7]
	v_fma_f64 v[12:13], v[43:44], v[65:66], v[12:13]
	s_delay_alu instid0(VALU_DEP_4) | instskip(NEXT) | instid1(VALU_DEP_4)
	v_fma_f64 v[10:11], v[37:38], v[65:66], v[10:11]
	v_fma_f64 v[8:9], v[39:40], v[65:66], v[8:9]
	;; [unrolled: 7-line block ×4, first 2 shown]
	s_wait_alu 0xfffe
	s_and_not1_b32 exec_lo, exec_lo, s4
	s_cbranch_execnz .LBB54_9
; %bb.10:
	s_or_b32 exec_lo, exec_lo, s4
.LBB54_11:
	s_wait_alu 0xfffe
	s_or_b32 exec_lo, exec_lo, s3
	s_cbranch_execz .LBB54_13
	s_branch .LBB54_18
.LBB54_12:
                                        ; implicit-def: $vgpr6_vgpr7
                                        ; implicit-def: $vgpr8_vgpr9
                                        ; implicit-def: $vgpr10_vgpr11
                                        ; implicit-def: $vgpr12_vgpr13
.LBB54_13:
	v_mov_b32_e32 v6, 0
	v_dual_mov_b32 v10, 0 :: v_dual_mov_b32 v7, 0
	v_dual_mov_b32 v8, 0 :: v_dual_mov_b32 v11, 0
	;; [unrolled: 1-line block ×3, first 2 shown]
	v_mov_b32_e32 v13, 0
	s_and_saveexec_b32 s3, s2
	s_cbranch_execz .LBB54_17
; %bb.14:
	v_mad_co_u64_u32 v[16:17], null, v14, 20, 19
	v_mov_b32_e32 v6, 0
	v_dual_mov_b32 v10, 0 :: v_dual_mov_b32 v7, 0
	v_dual_mov_b32 v8, 0 :: v_dual_mov_b32 v11, 0
	;; [unrolled: 1-line block ×3, first 2 shown]
	v_mov_b32_e32 v13, 0
	v_mov_b32_e32 v19, 0
	s_mov_b32 s4, 0
.LBB54_15:                              ; =>This Inner Loop Header: Depth=1
	v_ashrrev_i32_e32 v15, 31, v14
	s_delay_alu instid0(VALU_DEP_2) | instskip(SKIP_1) | instid1(VALU_DEP_3)
	v_dual_mov_b32 v30, v19 :: v_dual_add_nc_u32 v21, -14, v16
	v_dual_mov_b32 v22, v19 :: v_dual_add_nc_u32 v23, -9, v16
	v_lshlrev_b64_e32 v[17:18], 2, v[14:15]
	v_dual_mov_b32 v24, v19 :: v_dual_add_nc_u32 v25, -4, v16
	v_mov_b32_e32 v26, v19
	s_delay_alu instid0(VALU_DEP_4)
	v_lshlrev_b64_e32 v[21:22], 3, v[21:22]
	v_add_nc_u32_e32 v14, 16, v14
	v_add_co_u32 v17, vcc_lo, s6, v17
	s_wait_alu 0xfffd
	v_add_co_ci_u32_e64 v18, null, s7, v18, vcc_lo
	v_lshlrev_b64_e32 v[23:24], 3, v[23:24]
	v_lshlrev_b64_e32 v[25:26], 3, v[25:26]
	global_load_b32 v15, v[17:18], off
	v_subrev_nc_u32_e32 v18, 19, v16
	s_delay_alu instid0(VALU_DEP_1) | instskip(NEXT) | instid1(VALU_DEP_1)
	v_lshlrev_b64_e32 v[17:18], 3, v[18:19]
	v_add_co_u32 v17, vcc_lo, s8, v17
	s_wait_alu 0xfffd
	s_delay_alu instid0(VALU_DEP_2)
	v_add_co_ci_u32_e64 v18, null, s9, v18, vcc_lo
	v_add_co_u32 v31, vcc_lo, s8, v21
	s_wait_alu 0xfffd
	v_add_co_ci_u32_e64 v32, null, s9, v22, vcc_lo
	v_add_co_u32 v33, vcc_lo, s8, v23
	s_wait_alu 0xfffd
	;; [unrolled: 3-line block ×3, first 2 shown]
	v_add_co_ci_u32_e64 v36, null, s9, v26, vcc_lo
	s_clause 0x3
	global_load_b128 v[21:24], v[17:18], off offset:16
	global_load_b128 v[25:28], v[17:18], off
	global_load_b64 v[31:32], v[31:32], off
	global_load_b64 v[33:34], v[33:34], off
	s_wait_loadcnt 0x4
	v_subrev_nc_u32_e32 v15, s12, v15
	s_delay_alu instid0(VALU_DEP_1) | instskip(NEXT) | instid1(VALU_DEP_1)
	v_lshl_add_u32 v29, v15, 2, v15
	v_lshlrev_b64_e32 v[17:18], 3, v[29:30]
	s_delay_alu instid0(VALU_DEP_1) | instskip(SKIP_1) | instid1(VALU_DEP_2)
	v_add_co_u32 v17, vcc_lo, s10, v17
	s_wait_alu 0xfffd
	v_add_co_ci_u32_e64 v18, null, s11, v18, vcc_lo
	global_load_b64 v[35:36], v[35:36], off
	global_load_b64 v[37:38], v[17:18], off
	v_dual_mov_b32 v17, v19 :: v_dual_add_nc_u32 v18, 1, v29
	s_delay_alu instid0(VALU_DEP_1) | instskip(SKIP_1) | instid1(VALU_DEP_3)
	v_lshlrev_b64_e32 v[39:40], 3, v[18:19]
	v_add_nc_u32_e32 v18, -13, v16
	v_lshlrev_b64_e32 v[47:48], 3, v[16:17]
	s_delay_alu instid0(VALU_DEP_2) | instskip(SKIP_4) | instid1(VALU_DEP_3)
	v_lshlrev_b64_e32 v[41:42], 3, v[18:19]
	v_add_nc_u32_e32 v18, -8, v16
	v_add_co_u32 v39, vcc_lo, s10, v39
	s_wait_alu 0xfffd
	v_add_co_ci_u32_e64 v40, null, s11, v40, vcc_lo
	v_lshlrev_b64_e32 v[43:44], 3, v[18:19]
	v_add_nc_u32_e32 v18, -3, v16
	v_add_co_u32 v41, vcc_lo, s8, v41
	s_wait_alu 0xfffd
	v_add_co_ci_u32_e64 v42, null, s9, v42, vcc_lo
	s_delay_alu instid0(VALU_DEP_3) | instskip(SKIP_4) | instid1(VALU_DEP_4)
	v_lshlrev_b64_e32 v[45:46], 3, v[18:19]
	v_add_co_u32 v43, vcc_lo, s8, v43
	s_wait_alu 0xfffd
	v_add_co_ci_u32_e64 v44, null, s9, v44, vcc_lo
	v_add_nc_u32_e32 v18, 2, v29
	v_add_co_u32 v45, vcc_lo, s8, v45
	s_wait_alu 0xfffd
	v_add_co_ci_u32_e64 v46, null, s9, v46, vcc_lo
	global_load_b64 v[39:40], v[39:40], off
	s_clause 0x2
	global_load_b64 v[41:42], v[41:42], off
	global_load_b64 v[43:44], v[43:44], off
	;; [unrolled: 1-line block ×3, first 2 shown]
	v_lshlrev_b64_e32 v[49:50], 3, v[18:19]
	v_add_nc_u32_e32 v18, -12, v16
	s_delay_alu instid0(VALU_DEP_1) | instskip(SKIP_1) | instid1(VALU_DEP_4)
	v_lshlrev_b64_e32 v[51:52], 3, v[18:19]
	v_add_nc_u32_e32 v18, -7, v16
	v_add_co_u32 v49, vcc_lo, s10, v49
	s_wait_alu 0xfffd
	v_add_co_ci_u32_e64 v50, null, s11, v50, vcc_lo
	s_delay_alu instid0(VALU_DEP_3) | instskip(SKIP_4) | instid1(VALU_DEP_3)
	v_lshlrev_b64_e32 v[53:54], 3, v[18:19]
	v_add_nc_u32_e32 v18, -2, v16
	v_add_co_u32 v51, vcc_lo, s8, v51
	s_wait_alu 0xfffd
	v_add_co_ci_u32_e64 v52, null, s9, v52, vcc_lo
	v_lshlrev_b64_e32 v[17:18], 3, v[18:19]
	v_add_co_u32 v53, vcc_lo, s8, v53
	s_wait_alu 0xfffd
	v_add_co_ci_u32_e64 v54, null, s9, v54, vcc_lo
	s_delay_alu instid0(VALU_DEP_3)
	v_add_co_u32 v17, vcc_lo, s8, v17
	s_wait_alu 0xfffd
	v_add_co_ci_u32_e64 v18, null, s9, v18, vcc_lo
	global_load_b64 v[49:50], v[49:50], off
	s_clause 0x2
	global_load_b64 v[51:52], v[51:52], off
	global_load_b64 v[53:54], v[53:54], off
	global_load_b64 v[55:56], v[17:18], off
	v_add_nc_u32_e32 v18, 3, v29
	v_add_co_u32 v47, vcc_lo, s8, v47
	s_wait_alu 0xfffd
	v_add_co_ci_u32_e64 v48, null, s9, v48, vcc_lo
	s_delay_alu instid0(VALU_DEP_3) | instskip(SKIP_1) | instid1(VALU_DEP_1)
	v_lshlrev_b64_e32 v[57:58], 3, v[18:19]
	v_add_nc_u32_e32 v18, -11, v16
	v_lshlrev_b64_e32 v[59:60], 3, v[18:19]
	v_add_nc_u32_e32 v18, -6, v16
	s_delay_alu instid0(VALU_DEP_4) | instskip(SKIP_2) | instid1(VALU_DEP_3)
	v_add_co_u32 v57, s2, s10, v57
	s_wait_alu 0xf1ff
	v_add_co_ci_u32_e64 v58, null, s11, v58, s2
	v_lshlrev_b64_e32 v[61:62], 3, v[18:19]
	v_add_nc_u32_e32 v18, -1, v16
	v_add_co_u32 v59, s2, s8, v59
	s_wait_alu 0xf1ff
	v_add_co_ci_u32_e64 v60, null, s9, v60, s2
	s_delay_alu instid0(VALU_DEP_3) | instskip(SKIP_3) | instid1(VALU_DEP_3)
	v_lshlrev_b64_e32 v[17:18], 3, v[18:19]
	v_add_co_u32 v61, s2, s8, v61
	s_wait_alu 0xf1ff
	v_add_co_ci_u32_e64 v62, null, s9, v62, s2
	v_add_co_u32 v17, s2, s8, v17
	s_wait_alu 0xf1ff
	v_add_co_ci_u32_e64 v18, null, s9, v18, s2
	global_load_b64 v[57:58], v[57:58], off
	s_clause 0x2
	global_load_b64 v[59:60], v[59:60], off
	global_load_b64 v[61:62], v[61:62], off
	;; [unrolled: 1-line block ×3, first 2 shown]
	v_add_nc_u32_e32 v18, -15, v16
	s_delay_alu instid0(VALU_DEP_1) | instskip(SKIP_1) | instid1(VALU_DEP_1)
	v_lshlrev_b64_e32 v[65:66], 3, v[18:19]
	v_add_nc_u32_e32 v18, 4, v29
	v_lshlrev_b64_e32 v[29:30], 3, v[18:19]
	v_add_nc_u32_e32 v18, -10, v16
	s_delay_alu instid0(VALU_DEP_4) | instskip(SKIP_2) | instid1(VALU_DEP_3)
	v_add_co_u32 v65, vcc_lo, s8, v65
	s_wait_alu 0xfffd
	v_add_co_ci_u32_e64 v66, null, s9, v66, vcc_lo
	v_lshlrev_b64_e32 v[67:68], 3, v[18:19]
	v_add_nc_u32_e32 v18, -5, v16
	v_add_co_u32 v29, vcc_lo, s10, v29
	s_wait_alu 0xfffd
	v_add_co_ci_u32_e64 v30, null, s11, v30, vcc_lo
	s_delay_alu instid0(VALU_DEP_3) | instskip(SKIP_4) | instid1(VALU_DEP_4)
	v_lshlrev_b64_e32 v[17:18], 3, v[18:19]
	v_add_co_u32 v67, vcc_lo, s8, v67
	s_wait_alu 0xfffd
	v_add_co_ci_u32_e64 v68, null, s9, v68, vcc_lo
	v_add_nc_u32_e32 v16, 0x140, v16
	v_add_co_u32 v17, vcc_lo, s8, v17
	s_wait_alu 0xfffd
	v_add_co_ci_u32_e64 v18, null, s9, v18, vcc_lo
	global_load_b64 v[65:66], v[65:66], off
	global_load_b64 v[29:30], v[29:30], off
	s_clause 0x2
	global_load_b64 v[67:68], v[67:68], off
	global_load_b64 v[17:18], v[17:18], off
	;; [unrolled: 1-line block ×3, first 2 shown]
	v_cmp_ge_i32_e32 vcc_lo, v14, v20
	s_wait_alu 0xfffe
	s_or_b32 s4, vcc_lo, s4
	s_wait_loadcnt 0x11
	v_fma_f64 v[6:7], v[25:26], v[37:38], v[6:7]
	v_fma_f64 v[12:13], v[31:32], v[37:38], v[12:13]
	;; [unrolled: 1-line block ×4, first 2 shown]
	s_wait_loadcnt 0x10
	s_delay_alu instid0(VALU_DEP_4) | instskip(SKIP_1) | instid1(VALU_DEP_4)
	v_fma_f64 v[6:7], v[27:28], v[39:40], v[6:7]
	s_wait_loadcnt 0xf
	v_fma_f64 v[12:13], v[41:42], v[39:40], v[12:13]
	s_wait_loadcnt 0xe
	s_delay_alu instid0(VALU_DEP_4) | instskip(SKIP_1) | instid1(VALU_DEP_4)
	v_fma_f64 v[10:11], v[43:44], v[39:40], v[10:11]
	s_wait_loadcnt 0xd
	v_fma_f64 v[8:9], v[45:46], v[39:40], v[8:9]
	;; [unrolled: 5-line block ×8, first 2 shown]
	s_wait_alu 0xfffe
	s_and_not1_b32 exec_lo, exec_lo, s4
	s_cbranch_execnz .LBB54_15
; %bb.16:
	s_or_b32 exec_lo, exec_lo, s4
.LBB54_17:
	s_wait_alu 0xfffe
	s_or_b32 exec_lo, exec_lo, s3
.LBB54_18:
	v_mbcnt_lo_u32_b32 v24, -1, 0
	s_delay_alu instid0(VALU_DEP_1) | instskip(NEXT) | instid1(VALU_DEP_1)
	v_xor_b32_e32 v14, 8, v24
	v_cmp_gt_i32_e32 vcc_lo, 32, v14
	s_wait_alu 0xfffd
	v_cndmask_b32_e32 v14, v24, v14, vcc_lo
	s_delay_alu instid0(VALU_DEP_1)
	v_lshlrev_b32_e32 v21, 2, v14
	ds_bpermute_b32 v14, v21, v6
	ds_bpermute_b32 v15, v21, v7
	ds_bpermute_b32 v16, v21, v12
	ds_bpermute_b32 v17, v21, v13
	ds_bpermute_b32 v18, v21, v10
	ds_bpermute_b32 v19, v21, v11
	ds_bpermute_b32 v20, v21, v8
	ds_bpermute_b32 v21, v21, v9
	s_wait_dscnt 0x6
	v_add_f64_e32 v[6:7], v[6:7], v[14:15]
	v_xor_b32_e32 v14, 4, v24
	s_wait_dscnt 0x4
	v_add_f64_e32 v[12:13], v[12:13], v[16:17]
	s_wait_dscnt 0x2
	v_add_f64_e32 v[10:11], v[10:11], v[18:19]
	;; [unrolled: 2-line block ×3, first 2 shown]
	v_cmp_gt_i32_e32 vcc_lo, 32, v14
	s_wait_alu 0xfffd
	v_cndmask_b32_e32 v14, v24, v14, vcc_lo
	s_delay_alu instid0(VALU_DEP_1)
	v_lshlrev_b32_e32 v21, 2, v14
	ds_bpermute_b32 v14, v21, v6
	ds_bpermute_b32 v15, v21, v7
	;; [unrolled: 1-line block ×8, first 2 shown]
	s_wait_dscnt 0x6
	v_add_f64_e32 v[6:7], v[6:7], v[14:15]
	s_wait_dscnt 0x4
	v_add_f64_e32 v[14:15], v[12:13], v[16:17]
	;; [unrolled: 2-line block ×3, first 2 shown]
	v_xor_b32_e32 v10, 2, v24
	s_wait_dscnt 0x0
	v_add_f64_e32 v[8:9], v[8:9], v[20:21]
	s_delay_alu instid0(VALU_DEP_2) | instskip(SKIP_2) | instid1(VALU_DEP_1)
	v_cmp_gt_i32_e32 vcc_lo, 32, v10
	s_wait_alu 0xfffd
	v_cndmask_b32_e32 v10, v24, v10, vcc_lo
	v_lshlrev_b32_e32 v12, 2, v10
	ds_bpermute_b32 v10, v12, v6
	ds_bpermute_b32 v11, v12, v7
	;; [unrolled: 1-line block ×8, first 2 shown]
	s_wait_dscnt 0x6
	v_add_f64_e32 v[12:13], v[6:7], v[10:11]
	s_wait_dscnt 0x4
	v_add_f64_e32 v[10:11], v[14:15], v[18:19]
	v_xor_b32_e32 v14, 1, v24
	s_wait_dscnt 0x2
	v_add_f64_e32 v[6:7], v[16:17], v[20:21]
	s_wait_dscnt 0x0
	v_add_f64_e32 v[8:9], v[8:9], v[22:23]
	v_cmp_gt_i32_e32 vcc_lo, 32, v14
	s_wait_alu 0xfffd
	v_cndmask_b32_e32 v14, v24, v14, vcc_lo
	v_cmp_eq_u32_e32 vcc_lo, 15, v0
	s_delay_alu instid0(VALU_DEP_2)
	v_lshlrev_b32_e32 v15, 2, v14
	ds_bpermute_b32 v20, v15, v12
	ds_bpermute_b32 v21, v15, v13
	ds_bpermute_b32 v18, v15, v10
	ds_bpermute_b32 v19, v15, v11
	ds_bpermute_b32 v16, v15, v6
	ds_bpermute_b32 v17, v15, v7
	ds_bpermute_b32 v14, v15, v8
	ds_bpermute_b32 v15, v15, v9
	s_and_b32 exec_lo, exec_lo, vcc_lo
	s_cbranch_execz .LBB54_23
; %bb.19:
	s_wait_dscnt 0x6
	v_add_f64_e32 v[12:13], v[12:13], v[20:21]
	s_wait_dscnt 0x4
	v_add_f64_e32 v[10:11], v[10:11], v[18:19]
	;; [unrolled: 2-line block ×4, first 2 shown]
	s_load_b64 s[0:1], s[0:1], 0x38
	s_mov_b32 s2, exec_lo
	v_cmpx_eq_f64_e32 0, v[3:4]
	s_wait_alu 0xfffe
	s_xor_b32 s2, exec_lo, s2
	s_cbranch_execz .LBB54_21
; %bb.20:
	v_mul_f64_e32 v[12:13], v[1:2], v[12:13]
	v_mul_f64_e32 v[14:15], v[1:2], v[10:11]
	;; [unrolled: 1-line block ×4, first 2 shown]
	v_lshlrev_b32_e32 v0, 2, v5
                                        ; implicit-def: $vgpr5
                                        ; implicit-def: $vgpr3_vgpr4
                                        ; implicit-def: $vgpr10_vgpr11
	s_delay_alu instid0(VALU_DEP_1) | instskip(NEXT) | instid1(VALU_DEP_1)
	v_ashrrev_i32_e32 v1, 31, v0
	v_lshlrev_b64_e32 v[0:1], 3, v[0:1]
	s_wait_kmcnt 0x0
	s_delay_alu instid0(VALU_DEP_1) | instskip(SKIP_1) | instid1(VALU_DEP_2)
	v_add_co_u32 v0, vcc_lo, s0, v0
	s_wait_alu 0xfffd
	v_add_co_ci_u32_e64 v1, null, s1, v1, vcc_lo
	s_clause 0x1
	global_store_b128 v[0:1], v[12:15], off
	global_store_b128 v[0:1], v[6:9], off offset:16
                                        ; implicit-def: $vgpr1_vgpr2
                                        ; implicit-def: $vgpr12_vgpr13
                                        ; implicit-def: $vgpr6_vgpr7
                                        ; implicit-def: $vgpr8_vgpr9
.LBB54_21:
	s_wait_alu 0xfffe
	s_and_not1_saveexec_b32 s2, s2
	s_cbranch_execz .LBB54_23
; %bb.22:
	v_lshlrev_b32_e32 v14, 2, v5
	v_mul_f64_e32 v[12:13], v[1:2], v[12:13]
	v_mul_f64_e32 v[10:11], v[1:2], v[10:11]
	;; [unrolled: 1-line block ×4, first 2 shown]
	v_ashrrev_i32_e32 v15, 31, v14
	s_delay_alu instid0(VALU_DEP_1) | instskip(SKIP_1) | instid1(VALU_DEP_1)
	v_lshlrev_b64_e32 v[14:15], 3, v[14:15]
	s_wait_kmcnt 0x0
	v_add_co_u32 v22, vcc_lo, s0, v14
	s_wait_alu 0xfffd
	s_delay_alu instid0(VALU_DEP_2)
	v_add_co_ci_u32_e64 v23, null, s1, v15, vcc_lo
	s_clause 0x1
	global_load_b128 v[14:17], v[22:23], off
	global_load_b128 v[18:21], v[22:23], off offset:16
	s_wait_loadcnt 0x1
	v_fma_f64 v[5:6], v[3:4], v[14:15], v[12:13]
	v_fma_f64 v[7:8], v[3:4], v[16:17], v[10:11]
	s_wait_loadcnt 0x0
	v_fma_f64 v[0:1], v[3:4], v[18:19], v[24:25]
	v_fma_f64 v[2:3], v[3:4], v[20:21], v[26:27]
	s_clause 0x1
	global_store_b128 v[22:23], v[5:8], off
	global_store_b128 v[22:23], v[0:3], off offset:16
.LBB54_23:
	s_endpgm
	.section	.rodata,"a",@progbits
	.p2align	6, 0x0
	.amdhsa_kernel _ZN9rocsparseL19gebsrmvn_4xn_kernelILj128ELj5ELj16EdEEvi20rocsparse_direction_NS_24const_host_device_scalarIT2_EEPKiS6_PKS3_S8_S4_PS3_21rocsparse_index_base_b
		.amdhsa_group_segment_fixed_size 0
		.amdhsa_private_segment_fixed_size 0
		.amdhsa_kernarg_size 72
		.amdhsa_user_sgpr_count 2
		.amdhsa_user_sgpr_dispatch_ptr 0
		.amdhsa_user_sgpr_queue_ptr 0
		.amdhsa_user_sgpr_kernarg_segment_ptr 1
		.amdhsa_user_sgpr_dispatch_id 0
		.amdhsa_user_sgpr_private_segment_size 0
		.amdhsa_wavefront_size32 1
		.amdhsa_uses_dynamic_stack 0
		.amdhsa_enable_private_segment 0
		.amdhsa_system_sgpr_workgroup_id_x 1
		.amdhsa_system_sgpr_workgroup_id_y 0
		.amdhsa_system_sgpr_workgroup_id_z 0
		.amdhsa_system_sgpr_workgroup_info 0
		.amdhsa_system_vgpr_workitem_id 0
		.amdhsa_next_free_vgpr 71
		.amdhsa_next_free_sgpr 14
		.amdhsa_reserve_vcc 1
		.amdhsa_float_round_mode_32 0
		.amdhsa_float_round_mode_16_64 0
		.amdhsa_float_denorm_mode_32 3
		.amdhsa_float_denorm_mode_16_64 3
		.amdhsa_fp16_overflow 0
		.amdhsa_workgroup_processor_mode 1
		.amdhsa_memory_ordered 1
		.amdhsa_forward_progress 1
		.amdhsa_inst_pref_size 28
		.amdhsa_round_robin_scheduling 0
		.amdhsa_exception_fp_ieee_invalid_op 0
		.amdhsa_exception_fp_denorm_src 0
		.amdhsa_exception_fp_ieee_div_zero 0
		.amdhsa_exception_fp_ieee_overflow 0
		.amdhsa_exception_fp_ieee_underflow 0
		.amdhsa_exception_fp_ieee_inexact 0
		.amdhsa_exception_int_div_zero 0
	.end_amdhsa_kernel
	.section	.text._ZN9rocsparseL19gebsrmvn_4xn_kernelILj128ELj5ELj16EdEEvi20rocsparse_direction_NS_24const_host_device_scalarIT2_EEPKiS6_PKS3_S8_S4_PS3_21rocsparse_index_base_b,"axG",@progbits,_ZN9rocsparseL19gebsrmvn_4xn_kernelILj128ELj5ELj16EdEEvi20rocsparse_direction_NS_24const_host_device_scalarIT2_EEPKiS6_PKS3_S8_S4_PS3_21rocsparse_index_base_b,comdat
.Lfunc_end54:
	.size	_ZN9rocsparseL19gebsrmvn_4xn_kernelILj128ELj5ELj16EdEEvi20rocsparse_direction_NS_24const_host_device_scalarIT2_EEPKiS6_PKS3_S8_S4_PS3_21rocsparse_index_base_b, .Lfunc_end54-_ZN9rocsparseL19gebsrmvn_4xn_kernelILj128ELj5ELj16EdEEvi20rocsparse_direction_NS_24const_host_device_scalarIT2_EEPKiS6_PKS3_S8_S4_PS3_21rocsparse_index_base_b
                                        ; -- End function
	.set _ZN9rocsparseL19gebsrmvn_4xn_kernelILj128ELj5ELj16EdEEvi20rocsparse_direction_NS_24const_host_device_scalarIT2_EEPKiS6_PKS3_S8_S4_PS3_21rocsparse_index_base_b.num_vgpr, 71
	.set _ZN9rocsparseL19gebsrmvn_4xn_kernelILj128ELj5ELj16EdEEvi20rocsparse_direction_NS_24const_host_device_scalarIT2_EEPKiS6_PKS3_S8_S4_PS3_21rocsparse_index_base_b.num_agpr, 0
	.set _ZN9rocsparseL19gebsrmvn_4xn_kernelILj128ELj5ELj16EdEEvi20rocsparse_direction_NS_24const_host_device_scalarIT2_EEPKiS6_PKS3_S8_S4_PS3_21rocsparse_index_base_b.numbered_sgpr, 14
	.set _ZN9rocsparseL19gebsrmvn_4xn_kernelILj128ELj5ELj16EdEEvi20rocsparse_direction_NS_24const_host_device_scalarIT2_EEPKiS6_PKS3_S8_S4_PS3_21rocsparse_index_base_b.num_named_barrier, 0
	.set _ZN9rocsparseL19gebsrmvn_4xn_kernelILj128ELj5ELj16EdEEvi20rocsparse_direction_NS_24const_host_device_scalarIT2_EEPKiS6_PKS3_S8_S4_PS3_21rocsparse_index_base_b.private_seg_size, 0
	.set _ZN9rocsparseL19gebsrmvn_4xn_kernelILj128ELj5ELj16EdEEvi20rocsparse_direction_NS_24const_host_device_scalarIT2_EEPKiS6_PKS3_S8_S4_PS3_21rocsparse_index_base_b.uses_vcc, 1
	.set _ZN9rocsparseL19gebsrmvn_4xn_kernelILj128ELj5ELj16EdEEvi20rocsparse_direction_NS_24const_host_device_scalarIT2_EEPKiS6_PKS3_S8_S4_PS3_21rocsparse_index_base_b.uses_flat_scratch, 0
	.set _ZN9rocsparseL19gebsrmvn_4xn_kernelILj128ELj5ELj16EdEEvi20rocsparse_direction_NS_24const_host_device_scalarIT2_EEPKiS6_PKS3_S8_S4_PS3_21rocsparse_index_base_b.has_dyn_sized_stack, 0
	.set _ZN9rocsparseL19gebsrmvn_4xn_kernelILj128ELj5ELj16EdEEvi20rocsparse_direction_NS_24const_host_device_scalarIT2_EEPKiS6_PKS3_S8_S4_PS3_21rocsparse_index_base_b.has_recursion, 0
	.set _ZN9rocsparseL19gebsrmvn_4xn_kernelILj128ELj5ELj16EdEEvi20rocsparse_direction_NS_24const_host_device_scalarIT2_EEPKiS6_PKS3_S8_S4_PS3_21rocsparse_index_base_b.has_indirect_call, 0
	.section	.AMDGPU.csdata,"",@progbits
; Kernel info:
; codeLenInByte = 3472
; TotalNumSgprs: 16
; NumVgprs: 71
; ScratchSize: 0
; MemoryBound: 1
; FloatMode: 240
; IeeeMode: 1
; LDSByteSize: 0 bytes/workgroup (compile time only)
; SGPRBlocks: 0
; VGPRBlocks: 8
; NumSGPRsForWavesPerEU: 16
; NumVGPRsForWavesPerEU: 71
; Occupancy: 16
; WaveLimiterHint : 1
; COMPUTE_PGM_RSRC2:SCRATCH_EN: 0
; COMPUTE_PGM_RSRC2:USER_SGPR: 2
; COMPUTE_PGM_RSRC2:TRAP_HANDLER: 0
; COMPUTE_PGM_RSRC2:TGID_X_EN: 1
; COMPUTE_PGM_RSRC2:TGID_Y_EN: 0
; COMPUTE_PGM_RSRC2:TGID_Z_EN: 0
; COMPUTE_PGM_RSRC2:TIDIG_COMP_CNT: 0
	.section	.text._ZN9rocsparseL19gebsrmvn_4xn_kernelILj128ELj5ELj32EdEEvi20rocsparse_direction_NS_24const_host_device_scalarIT2_EEPKiS6_PKS3_S8_S4_PS3_21rocsparse_index_base_b,"axG",@progbits,_ZN9rocsparseL19gebsrmvn_4xn_kernelILj128ELj5ELj32EdEEvi20rocsparse_direction_NS_24const_host_device_scalarIT2_EEPKiS6_PKS3_S8_S4_PS3_21rocsparse_index_base_b,comdat
	.globl	_ZN9rocsparseL19gebsrmvn_4xn_kernelILj128ELj5ELj32EdEEvi20rocsparse_direction_NS_24const_host_device_scalarIT2_EEPKiS6_PKS3_S8_S4_PS3_21rocsparse_index_base_b ; -- Begin function _ZN9rocsparseL19gebsrmvn_4xn_kernelILj128ELj5ELj32EdEEvi20rocsparse_direction_NS_24const_host_device_scalarIT2_EEPKiS6_PKS3_S8_S4_PS3_21rocsparse_index_base_b
	.p2align	8
	.type	_ZN9rocsparseL19gebsrmvn_4xn_kernelILj128ELj5ELj32EdEEvi20rocsparse_direction_NS_24const_host_device_scalarIT2_EEPKiS6_PKS3_S8_S4_PS3_21rocsparse_index_base_b,@function
_ZN9rocsparseL19gebsrmvn_4xn_kernelILj128ELj5ELj32EdEEvi20rocsparse_direction_NS_24const_host_device_scalarIT2_EEPKiS6_PKS3_S8_S4_PS3_21rocsparse_index_base_b: ; @_ZN9rocsparseL19gebsrmvn_4xn_kernelILj128ELj5ELj32EdEEvi20rocsparse_direction_NS_24const_host_device_scalarIT2_EEPKiS6_PKS3_S8_S4_PS3_21rocsparse_index_base_b
; %bb.0:
	s_clause 0x2
	s_load_b64 s[12:13], s[0:1], 0x40
	s_load_b64 s[4:5], s[0:1], 0x8
	;; [unrolled: 1-line block ×3, first 2 shown]
	s_wait_kmcnt 0x0
	s_bitcmp1_b32 s13, 0
	v_dual_mov_b32 v1, s4 :: v_dual_mov_b32 v2, s5
	s_cselect_b32 s6, -1, 0
	s_delay_alu instid0(SALU_CYCLE_1)
	s_and_b32 vcc_lo, exec_lo, s6
	s_xor_b32 s6, s6, -1
	s_cbranch_vccnz .LBB55_2
; %bb.1:
	v_dual_mov_b32 v1, s4 :: v_dual_mov_b32 v2, s5
	flat_load_b64 v[1:2], v[1:2]
.LBB55_2:
	v_dual_mov_b32 v4, s3 :: v_dual_mov_b32 v3, s2
	s_and_not1_b32 vcc_lo, exec_lo, s6
	s_cbranch_vccnz .LBB55_4
; %bb.3:
	v_dual_mov_b32 v4, s3 :: v_dual_mov_b32 v3, s2
	flat_load_b64 v[3:4], v[3:4]
.LBB55_4:
	s_wait_loadcnt_dscnt 0x0
	v_cmp_neq_f64_e32 vcc_lo, 0, v[1:2]
	v_cmp_neq_f64_e64 s2, 1.0, v[3:4]
	s_or_b32 s2, vcc_lo, s2
	s_wait_alu 0xfffe
	s_and_saveexec_b32 s3, s2
	s_cbranch_execz .LBB55_23
; %bb.5:
	s_load_b64 s[2:3], s[0:1], 0x0
	v_lshrrev_b32_e32 v5, 5, v0
	s_delay_alu instid0(VALU_DEP_1) | instskip(SKIP_1) | instid1(VALU_DEP_1)
	v_lshl_or_b32 v5, ttmp9, 2, v5
	s_wait_kmcnt 0x0
	v_cmp_gt_i32_e32 vcc_lo, s2, v5
	s_and_b32 exec_lo, exec_lo, vcc_lo
	s_cbranch_execz .LBB55_23
; %bb.6:
	s_load_b256 s[4:11], s[0:1], 0x10
	v_ashrrev_i32_e32 v6, 31, v5
	v_and_b32_e32 v0, 31, v0
	s_cmp_lg_u32 s3, 0
	s_delay_alu instid0(VALU_DEP_2) | instskip(SKIP_1) | instid1(VALU_DEP_1)
	v_lshlrev_b64_e32 v[6:7], 2, v[5:6]
	s_wait_kmcnt 0x0
	v_add_co_u32 v6, vcc_lo, s4, v6
	s_delay_alu instid0(VALU_DEP_1) | instskip(SKIP_4) | instid1(VALU_DEP_2)
	v_add_co_ci_u32_e64 v7, null, s5, v7, vcc_lo
	global_load_b64 v[6:7], v[6:7], off
	s_wait_loadcnt 0x0
	v_subrev_nc_u32_e32 v6, s12, v6
	v_subrev_nc_u32_e32 v20, s12, v7
	v_add_nc_u32_e32 v14, v6, v0
	s_delay_alu instid0(VALU_DEP_1)
	v_cmp_lt_i32_e64 s2, v14, v20
	s_cbranch_scc0 .LBB55_12
; %bb.7:
	v_mov_b32_e32 v6, 0
	v_dual_mov_b32 v10, 0 :: v_dual_mov_b32 v7, 0
	v_dual_mov_b32 v8, 0 :: v_dual_mov_b32 v11, 0
	;; [unrolled: 1-line block ×3, first 2 shown]
	v_mov_b32_e32 v13, 0
	s_and_saveexec_b32 s3, s2
	s_cbranch_execz .LBB55_11
; %bb.8:
	v_dual_mov_b32 v6, 0 :: v_dual_mov_b32 v17, 0
	v_mad_co_u64_u32 v[15:16], null, v14, 20, 16
	v_dual_mov_b32 v7, 0 :: v_dual_mov_b32 v8, 0
	v_dual_mov_b32 v9, 0 :: v_dual_mov_b32 v10, 0
	;; [unrolled: 1-line block ×4, first 2 shown]
	s_mov_b32 s4, 0
.LBB55_9:                               ; =>This Inner Loop Header: Depth=1
	s_delay_alu instid0(VALU_DEP_1) | instskip(SKIP_2) | instid1(VALU_DEP_3)
	v_ashrrev_i32_e32 v19, 31, v18
	v_add_nc_u32_e32 v16, -16, v15
	v_mov_b32_e32 v58, v17
	v_lshlrev_b64_e32 v[21:22], 2, v[18:19]
	v_add_nc_u32_e32 v18, 32, v18
	s_delay_alu instid0(VALU_DEP_2) | instskip(SKIP_1) | instid1(VALU_DEP_3)
	v_add_co_u32 v21, vcc_lo, s6, v21
	s_wait_alu 0xfffd
	v_add_co_ci_u32_e64 v22, null, s7, v22, vcc_lo
	global_load_b32 v19, v[21:22], off
	v_lshlrev_b64_e32 v[21:22], 3, v[16:17]
	s_delay_alu instid0(VALU_DEP_1) | instskip(SKIP_1) | instid1(VALU_DEP_2)
	v_add_co_u32 v25, vcc_lo, s8, v21
	s_wait_alu 0xfffd
	v_add_co_ci_u32_e64 v26, null, s9, v22, vcc_lo
	global_load_b128 v[21:24], v[25:26], off offset:16
	s_wait_loadcnt 0x1
	v_subrev_nc_u32_e32 v16, s12, v19
	s_delay_alu instid0(VALU_DEP_1) | instskip(SKIP_1) | instid1(VALU_DEP_2)
	v_lshl_add_u32 v57, v16, 2, v16
	v_add_nc_u32_e32 v16, -12, v15
	v_lshlrev_b64_e32 v[27:28], 3, v[57:58]
	s_delay_alu instid0(VALU_DEP_1) | instskip(SKIP_1) | instid1(VALU_DEP_2)
	v_add_co_u32 v29, vcc_lo, s10, v27
	s_wait_alu 0xfffd
	v_add_co_ci_u32_e64 v30, null, s11, v28, vcc_lo
	global_load_b128 v[25:28], v[25:26], off
	global_load_b64 v[61:62], v[29:30], off
	v_lshlrev_b64_e32 v[29:30], 3, v[16:17]
	v_add_nc_u32_e32 v16, 1, v57
	s_delay_alu instid0(VALU_DEP_1) | instskip(NEXT) | instid1(VALU_DEP_3)
	v_lshlrev_b64_e32 v[35:36], 3, v[16:17]
	v_add_co_u32 v33, vcc_lo, s8, v29
	s_wait_alu 0xfffd
	s_delay_alu instid0(VALU_DEP_4) | instskip(SKIP_1) | instid1(VALU_DEP_4)
	v_add_co_ci_u32_e64 v34, null, s9, v30, vcc_lo
	v_add_nc_u32_e32 v16, -8, v15
	v_add_co_u32 v37, vcc_lo, s10, v35
	s_wait_alu 0xfffd
	v_add_co_ci_u32_e64 v38, null, s11, v36, vcc_lo
	s_clause 0x1
	global_load_b128 v[29:32], v[33:34], off offset:16
	global_load_b128 v[33:36], v[33:34], off
	global_load_b64 v[63:64], v[37:38], off
	v_lshlrev_b64_e32 v[37:38], 3, v[16:17]
	v_add_nc_u32_e32 v16, 2, v57
	s_delay_alu instid0(VALU_DEP_1) | instskip(NEXT) | instid1(VALU_DEP_3)
	v_lshlrev_b64_e32 v[39:40], 3, v[16:17]
	v_add_co_u32 v41, vcc_lo, s8, v37
	s_wait_alu 0xfffd
	s_delay_alu instid0(VALU_DEP_4) | instskip(SKIP_1) | instid1(VALU_DEP_4)
	v_add_co_ci_u32_e64 v42, null, s9, v38, vcc_lo
	v_add_nc_u32_e32 v16, -4, v15
	v_add_co_u32 v45, vcc_lo, s10, v39
	s_wait_alu 0xfffd
	v_add_co_ci_u32_e64 v46, null, s11, v40, vcc_lo
	s_clause 0x1
	global_load_b128 v[37:40], v[41:42], off offset:16
	global_load_b128 v[41:44], v[41:42], off
	global_load_b64 v[65:66], v[45:46], off
	v_lshlrev_b64_e32 v[45:46], 3, v[16:17]
	v_add_nc_u32_e32 v16, 3, v57
	s_delay_alu instid0(VALU_DEP_1) | instskip(NEXT) | instid1(VALU_DEP_3)
	v_lshlrev_b64_e32 v[47:48], 3, v[16:17]
	v_add_co_u32 v49, vcc_lo, s8, v45
	s_wait_alu 0xfffd
	s_delay_alu instid0(VALU_DEP_4) | instskip(SKIP_1) | instid1(VALU_DEP_4)
	v_add_co_ci_u32_e64 v50, null, s9, v46, vcc_lo
	v_mov_b32_e32 v16, v17
	v_add_co_u32 v53, vcc_lo, s10, v47
	s_wait_alu 0xfffd
	v_add_co_ci_u32_e64 v54, null, s11, v48, vcc_lo
	s_clause 0x1
	global_load_b128 v[45:48], v[49:50], off offset:16
	global_load_b128 v[49:52], v[49:50], off
	global_load_b64 v[67:68], v[53:54], off
	v_lshlrev_b64_e32 v[53:54], 3, v[15:16]
	v_add_nc_u32_e32 v16, 4, v57
	v_add_nc_u32_e32 v15, 0x280, v15
	s_delay_alu instid0(VALU_DEP_2) | instskip(NEXT) | instid1(VALU_DEP_4)
	v_lshlrev_b64_e32 v[69:70], 3, v[16:17]
	v_add_co_u32 v58, vcc_lo, s8, v53
	s_wait_alu 0xfffd
	v_add_co_ci_u32_e64 v59, null, s9, v54, vcc_lo
	s_delay_alu instid0(VALU_DEP_3)
	v_add_co_u32 v69, vcc_lo, s10, v69
	s_wait_alu 0xfffd
	v_add_co_ci_u32_e64 v70, null, s11, v70, vcc_lo
	s_clause 0x1
	global_load_b128 v[53:56], v[58:59], off offset:16
	global_load_b128 v[57:60], v[58:59], off
	global_load_b64 v[69:70], v[69:70], off
	v_cmp_ge_i32_e32 vcc_lo, v18, v20
	s_wait_alu 0xfffe
	s_or_b32 s4, vcc_lo, s4
	s_wait_loadcnt 0xc
	v_fma_f64 v[6:7], v[25:26], v[61:62], v[6:7]
	v_fma_f64 v[12:13], v[27:28], v[61:62], v[12:13]
	;; [unrolled: 1-line block ×4, first 2 shown]
	s_wait_loadcnt 0x9
	s_delay_alu instid0(VALU_DEP_4) | instskip(NEXT) | instid1(VALU_DEP_4)
	v_fma_f64 v[6:7], v[33:34], v[63:64], v[6:7]
	v_fma_f64 v[12:13], v[35:36], v[63:64], v[12:13]
	s_delay_alu instid0(VALU_DEP_4) | instskip(NEXT) | instid1(VALU_DEP_4)
	v_fma_f64 v[10:11], v[29:30], v[63:64], v[10:11]
	v_fma_f64 v[8:9], v[31:32], v[63:64], v[8:9]
	s_wait_loadcnt 0x6
	s_delay_alu instid0(VALU_DEP_4) | instskip(NEXT) | instid1(VALU_DEP_4)
	v_fma_f64 v[6:7], v[41:42], v[65:66], v[6:7]
	v_fma_f64 v[12:13], v[43:44], v[65:66], v[12:13]
	s_delay_alu instid0(VALU_DEP_4) | instskip(NEXT) | instid1(VALU_DEP_4)
	v_fma_f64 v[10:11], v[37:38], v[65:66], v[10:11]
	v_fma_f64 v[8:9], v[39:40], v[65:66], v[8:9]
	;; [unrolled: 7-line block ×4, first 2 shown]
	s_wait_alu 0xfffe
	s_and_not1_b32 exec_lo, exec_lo, s4
	s_cbranch_execnz .LBB55_9
; %bb.10:
	s_or_b32 exec_lo, exec_lo, s4
.LBB55_11:
	s_wait_alu 0xfffe
	s_or_b32 exec_lo, exec_lo, s3
	s_cbranch_execz .LBB55_13
	s_branch .LBB55_18
.LBB55_12:
                                        ; implicit-def: $vgpr6_vgpr7
                                        ; implicit-def: $vgpr8_vgpr9
                                        ; implicit-def: $vgpr10_vgpr11
                                        ; implicit-def: $vgpr12_vgpr13
.LBB55_13:
	v_mov_b32_e32 v6, 0
	v_dual_mov_b32 v10, 0 :: v_dual_mov_b32 v7, 0
	v_dual_mov_b32 v8, 0 :: v_dual_mov_b32 v11, 0
	;; [unrolled: 1-line block ×3, first 2 shown]
	v_mov_b32_e32 v13, 0
	s_and_saveexec_b32 s3, s2
	s_cbranch_execz .LBB55_17
; %bb.14:
	v_mad_co_u64_u32 v[16:17], null, v14, 20, 19
	v_mov_b32_e32 v6, 0
	v_dual_mov_b32 v10, 0 :: v_dual_mov_b32 v7, 0
	v_dual_mov_b32 v8, 0 :: v_dual_mov_b32 v11, 0
	;; [unrolled: 1-line block ×3, first 2 shown]
	v_mov_b32_e32 v13, 0
	v_mov_b32_e32 v19, 0
	s_mov_b32 s4, 0
.LBB55_15:                              ; =>This Inner Loop Header: Depth=1
	v_ashrrev_i32_e32 v15, 31, v14
	s_delay_alu instid0(VALU_DEP_2) | instskip(SKIP_1) | instid1(VALU_DEP_3)
	v_dual_mov_b32 v30, v19 :: v_dual_add_nc_u32 v21, -14, v16
	v_dual_mov_b32 v22, v19 :: v_dual_add_nc_u32 v23, -9, v16
	v_lshlrev_b64_e32 v[17:18], 2, v[14:15]
	v_dual_mov_b32 v24, v19 :: v_dual_add_nc_u32 v25, -4, v16
	v_mov_b32_e32 v26, v19
	s_delay_alu instid0(VALU_DEP_4)
	v_lshlrev_b64_e32 v[21:22], 3, v[21:22]
	v_add_nc_u32_e32 v14, 32, v14
	v_add_co_u32 v17, vcc_lo, s6, v17
	s_wait_alu 0xfffd
	v_add_co_ci_u32_e64 v18, null, s7, v18, vcc_lo
	v_lshlrev_b64_e32 v[23:24], 3, v[23:24]
	v_lshlrev_b64_e32 v[25:26], 3, v[25:26]
	global_load_b32 v15, v[17:18], off
	v_subrev_nc_u32_e32 v18, 19, v16
	s_delay_alu instid0(VALU_DEP_1) | instskip(NEXT) | instid1(VALU_DEP_1)
	v_lshlrev_b64_e32 v[17:18], 3, v[18:19]
	v_add_co_u32 v17, vcc_lo, s8, v17
	s_wait_alu 0xfffd
	s_delay_alu instid0(VALU_DEP_2)
	v_add_co_ci_u32_e64 v18, null, s9, v18, vcc_lo
	v_add_co_u32 v31, vcc_lo, s8, v21
	s_wait_alu 0xfffd
	v_add_co_ci_u32_e64 v32, null, s9, v22, vcc_lo
	v_add_co_u32 v33, vcc_lo, s8, v23
	s_wait_alu 0xfffd
	;; [unrolled: 3-line block ×3, first 2 shown]
	v_add_co_ci_u32_e64 v36, null, s9, v26, vcc_lo
	s_clause 0x3
	global_load_b128 v[21:24], v[17:18], off offset:16
	global_load_b128 v[25:28], v[17:18], off
	global_load_b64 v[31:32], v[31:32], off
	global_load_b64 v[33:34], v[33:34], off
	s_wait_loadcnt 0x4
	v_subrev_nc_u32_e32 v15, s12, v15
	s_delay_alu instid0(VALU_DEP_1) | instskip(NEXT) | instid1(VALU_DEP_1)
	v_lshl_add_u32 v29, v15, 2, v15
	v_lshlrev_b64_e32 v[17:18], 3, v[29:30]
	s_delay_alu instid0(VALU_DEP_1) | instskip(SKIP_1) | instid1(VALU_DEP_2)
	v_add_co_u32 v17, vcc_lo, s10, v17
	s_wait_alu 0xfffd
	v_add_co_ci_u32_e64 v18, null, s11, v18, vcc_lo
	global_load_b64 v[35:36], v[35:36], off
	global_load_b64 v[37:38], v[17:18], off
	v_dual_mov_b32 v17, v19 :: v_dual_add_nc_u32 v18, 1, v29
	s_delay_alu instid0(VALU_DEP_1) | instskip(SKIP_1) | instid1(VALU_DEP_3)
	v_lshlrev_b64_e32 v[39:40], 3, v[18:19]
	v_add_nc_u32_e32 v18, -13, v16
	v_lshlrev_b64_e32 v[47:48], 3, v[16:17]
	s_delay_alu instid0(VALU_DEP_2) | instskip(SKIP_4) | instid1(VALU_DEP_3)
	v_lshlrev_b64_e32 v[41:42], 3, v[18:19]
	v_add_nc_u32_e32 v18, -8, v16
	v_add_co_u32 v39, vcc_lo, s10, v39
	s_wait_alu 0xfffd
	v_add_co_ci_u32_e64 v40, null, s11, v40, vcc_lo
	v_lshlrev_b64_e32 v[43:44], 3, v[18:19]
	v_add_nc_u32_e32 v18, -3, v16
	v_add_co_u32 v41, vcc_lo, s8, v41
	s_wait_alu 0xfffd
	v_add_co_ci_u32_e64 v42, null, s9, v42, vcc_lo
	s_delay_alu instid0(VALU_DEP_3) | instskip(SKIP_4) | instid1(VALU_DEP_4)
	v_lshlrev_b64_e32 v[45:46], 3, v[18:19]
	v_add_co_u32 v43, vcc_lo, s8, v43
	s_wait_alu 0xfffd
	v_add_co_ci_u32_e64 v44, null, s9, v44, vcc_lo
	v_add_nc_u32_e32 v18, 2, v29
	v_add_co_u32 v45, vcc_lo, s8, v45
	s_wait_alu 0xfffd
	v_add_co_ci_u32_e64 v46, null, s9, v46, vcc_lo
	global_load_b64 v[39:40], v[39:40], off
	s_clause 0x2
	global_load_b64 v[41:42], v[41:42], off
	global_load_b64 v[43:44], v[43:44], off
	;; [unrolled: 1-line block ×3, first 2 shown]
	v_lshlrev_b64_e32 v[49:50], 3, v[18:19]
	v_add_nc_u32_e32 v18, -12, v16
	s_delay_alu instid0(VALU_DEP_1) | instskip(SKIP_1) | instid1(VALU_DEP_4)
	v_lshlrev_b64_e32 v[51:52], 3, v[18:19]
	v_add_nc_u32_e32 v18, -7, v16
	v_add_co_u32 v49, vcc_lo, s10, v49
	s_wait_alu 0xfffd
	v_add_co_ci_u32_e64 v50, null, s11, v50, vcc_lo
	s_delay_alu instid0(VALU_DEP_3) | instskip(SKIP_4) | instid1(VALU_DEP_3)
	v_lshlrev_b64_e32 v[53:54], 3, v[18:19]
	v_add_nc_u32_e32 v18, -2, v16
	v_add_co_u32 v51, vcc_lo, s8, v51
	s_wait_alu 0xfffd
	v_add_co_ci_u32_e64 v52, null, s9, v52, vcc_lo
	v_lshlrev_b64_e32 v[17:18], 3, v[18:19]
	v_add_co_u32 v53, vcc_lo, s8, v53
	s_wait_alu 0xfffd
	v_add_co_ci_u32_e64 v54, null, s9, v54, vcc_lo
	s_delay_alu instid0(VALU_DEP_3)
	v_add_co_u32 v17, vcc_lo, s8, v17
	s_wait_alu 0xfffd
	v_add_co_ci_u32_e64 v18, null, s9, v18, vcc_lo
	global_load_b64 v[49:50], v[49:50], off
	s_clause 0x2
	global_load_b64 v[51:52], v[51:52], off
	global_load_b64 v[53:54], v[53:54], off
	;; [unrolled: 1-line block ×3, first 2 shown]
	v_add_nc_u32_e32 v18, 3, v29
	v_add_co_u32 v47, vcc_lo, s8, v47
	s_wait_alu 0xfffd
	v_add_co_ci_u32_e64 v48, null, s9, v48, vcc_lo
	s_delay_alu instid0(VALU_DEP_3) | instskip(SKIP_1) | instid1(VALU_DEP_1)
	v_lshlrev_b64_e32 v[57:58], 3, v[18:19]
	v_add_nc_u32_e32 v18, -11, v16
	v_lshlrev_b64_e32 v[59:60], 3, v[18:19]
	v_add_nc_u32_e32 v18, -6, v16
	s_delay_alu instid0(VALU_DEP_4) | instskip(SKIP_2) | instid1(VALU_DEP_3)
	v_add_co_u32 v57, s2, s10, v57
	s_wait_alu 0xf1ff
	v_add_co_ci_u32_e64 v58, null, s11, v58, s2
	v_lshlrev_b64_e32 v[61:62], 3, v[18:19]
	v_add_nc_u32_e32 v18, -1, v16
	v_add_co_u32 v59, s2, s8, v59
	s_wait_alu 0xf1ff
	v_add_co_ci_u32_e64 v60, null, s9, v60, s2
	s_delay_alu instid0(VALU_DEP_3) | instskip(SKIP_3) | instid1(VALU_DEP_3)
	v_lshlrev_b64_e32 v[17:18], 3, v[18:19]
	v_add_co_u32 v61, s2, s8, v61
	s_wait_alu 0xf1ff
	v_add_co_ci_u32_e64 v62, null, s9, v62, s2
	v_add_co_u32 v17, s2, s8, v17
	s_wait_alu 0xf1ff
	v_add_co_ci_u32_e64 v18, null, s9, v18, s2
	global_load_b64 v[57:58], v[57:58], off
	s_clause 0x2
	global_load_b64 v[59:60], v[59:60], off
	global_load_b64 v[61:62], v[61:62], off
	;; [unrolled: 1-line block ×3, first 2 shown]
	v_add_nc_u32_e32 v18, -15, v16
	s_delay_alu instid0(VALU_DEP_1) | instskip(SKIP_1) | instid1(VALU_DEP_1)
	v_lshlrev_b64_e32 v[65:66], 3, v[18:19]
	v_add_nc_u32_e32 v18, 4, v29
	v_lshlrev_b64_e32 v[29:30], 3, v[18:19]
	v_add_nc_u32_e32 v18, -10, v16
	s_delay_alu instid0(VALU_DEP_4) | instskip(SKIP_2) | instid1(VALU_DEP_3)
	v_add_co_u32 v65, vcc_lo, s8, v65
	s_wait_alu 0xfffd
	v_add_co_ci_u32_e64 v66, null, s9, v66, vcc_lo
	v_lshlrev_b64_e32 v[67:68], 3, v[18:19]
	v_add_nc_u32_e32 v18, -5, v16
	v_add_co_u32 v29, vcc_lo, s10, v29
	s_wait_alu 0xfffd
	v_add_co_ci_u32_e64 v30, null, s11, v30, vcc_lo
	s_delay_alu instid0(VALU_DEP_3) | instskip(SKIP_4) | instid1(VALU_DEP_4)
	v_lshlrev_b64_e32 v[17:18], 3, v[18:19]
	v_add_co_u32 v67, vcc_lo, s8, v67
	s_wait_alu 0xfffd
	v_add_co_ci_u32_e64 v68, null, s9, v68, vcc_lo
	v_add_nc_u32_e32 v16, 0x280, v16
	v_add_co_u32 v17, vcc_lo, s8, v17
	s_wait_alu 0xfffd
	v_add_co_ci_u32_e64 v18, null, s9, v18, vcc_lo
	global_load_b64 v[65:66], v[65:66], off
	global_load_b64 v[29:30], v[29:30], off
	s_clause 0x2
	global_load_b64 v[67:68], v[67:68], off
	global_load_b64 v[17:18], v[17:18], off
	;; [unrolled: 1-line block ×3, first 2 shown]
	v_cmp_ge_i32_e32 vcc_lo, v14, v20
	s_wait_alu 0xfffe
	s_or_b32 s4, vcc_lo, s4
	s_wait_loadcnt 0x11
	v_fma_f64 v[6:7], v[25:26], v[37:38], v[6:7]
	v_fma_f64 v[12:13], v[31:32], v[37:38], v[12:13]
	;; [unrolled: 1-line block ×4, first 2 shown]
	s_wait_loadcnt 0x10
	s_delay_alu instid0(VALU_DEP_4) | instskip(SKIP_1) | instid1(VALU_DEP_4)
	v_fma_f64 v[6:7], v[27:28], v[39:40], v[6:7]
	s_wait_loadcnt 0xf
	v_fma_f64 v[12:13], v[41:42], v[39:40], v[12:13]
	s_wait_loadcnt 0xe
	s_delay_alu instid0(VALU_DEP_4) | instskip(SKIP_1) | instid1(VALU_DEP_4)
	v_fma_f64 v[10:11], v[43:44], v[39:40], v[10:11]
	s_wait_loadcnt 0xd
	v_fma_f64 v[8:9], v[45:46], v[39:40], v[8:9]
	;; [unrolled: 5-line block ×8, first 2 shown]
	s_wait_alu 0xfffe
	s_and_not1_b32 exec_lo, exec_lo, s4
	s_cbranch_execnz .LBB55_15
; %bb.16:
	s_or_b32 exec_lo, exec_lo, s4
.LBB55_17:
	s_wait_alu 0xfffe
	s_or_b32 exec_lo, exec_lo, s3
.LBB55_18:
	v_mbcnt_lo_u32_b32 v24, -1, 0
	s_delay_alu instid0(VALU_DEP_1) | instskip(NEXT) | instid1(VALU_DEP_1)
	v_xor_b32_e32 v14, 16, v24
	v_cmp_gt_i32_e32 vcc_lo, 32, v14
	s_wait_alu 0xfffd
	v_cndmask_b32_e32 v14, v24, v14, vcc_lo
	s_delay_alu instid0(VALU_DEP_1)
	v_lshlrev_b32_e32 v21, 2, v14
	ds_bpermute_b32 v14, v21, v6
	ds_bpermute_b32 v15, v21, v7
	;; [unrolled: 1-line block ×8, first 2 shown]
	s_wait_dscnt 0x6
	v_add_f64_e32 v[6:7], v[6:7], v[14:15]
	v_xor_b32_e32 v14, 8, v24
	s_wait_dscnt 0x4
	v_add_f64_e32 v[12:13], v[12:13], v[16:17]
	s_wait_dscnt 0x2
	v_add_f64_e32 v[10:11], v[10:11], v[18:19]
	;; [unrolled: 2-line block ×3, first 2 shown]
	v_cmp_gt_i32_e32 vcc_lo, 32, v14
	s_wait_alu 0xfffd
	v_cndmask_b32_e32 v14, v24, v14, vcc_lo
	s_delay_alu instid0(VALU_DEP_1)
	v_lshlrev_b32_e32 v21, 2, v14
	ds_bpermute_b32 v14, v21, v6
	ds_bpermute_b32 v15, v21, v7
	;; [unrolled: 1-line block ×8, first 2 shown]
	s_wait_dscnt 0x6
	v_add_f64_e32 v[6:7], v[6:7], v[14:15]
	v_xor_b32_e32 v14, 4, v24
	s_wait_dscnt 0x4
	v_add_f64_e32 v[12:13], v[12:13], v[16:17]
	s_wait_dscnt 0x2
	v_add_f64_e32 v[10:11], v[10:11], v[18:19]
	;; [unrolled: 2-line block ×3, first 2 shown]
	v_cmp_gt_i32_e32 vcc_lo, 32, v14
	s_wait_alu 0xfffd
	v_cndmask_b32_e32 v14, v24, v14, vcc_lo
	s_delay_alu instid0(VALU_DEP_1)
	v_lshlrev_b32_e32 v21, 2, v14
	ds_bpermute_b32 v14, v21, v6
	ds_bpermute_b32 v15, v21, v7
	;; [unrolled: 1-line block ×8, first 2 shown]
	s_wait_dscnt 0x6
	v_add_f64_e32 v[6:7], v[6:7], v[14:15]
	s_wait_dscnt 0x4
	v_add_f64_e32 v[14:15], v[12:13], v[16:17]
	;; [unrolled: 2-line block ×3, first 2 shown]
	v_xor_b32_e32 v10, 2, v24
	s_wait_dscnt 0x0
	v_add_f64_e32 v[8:9], v[8:9], v[20:21]
	s_delay_alu instid0(VALU_DEP_2) | instskip(SKIP_2) | instid1(VALU_DEP_1)
	v_cmp_gt_i32_e32 vcc_lo, 32, v10
	s_wait_alu 0xfffd
	v_cndmask_b32_e32 v10, v24, v10, vcc_lo
	v_lshlrev_b32_e32 v12, 2, v10
	ds_bpermute_b32 v10, v12, v6
	ds_bpermute_b32 v11, v12, v7
	;; [unrolled: 1-line block ×8, first 2 shown]
	s_wait_dscnt 0x6
	v_add_f64_e32 v[12:13], v[6:7], v[10:11]
	s_wait_dscnt 0x4
	v_add_f64_e32 v[10:11], v[14:15], v[18:19]
	v_xor_b32_e32 v14, 1, v24
	s_wait_dscnt 0x2
	v_add_f64_e32 v[6:7], v[16:17], v[20:21]
	s_wait_dscnt 0x0
	v_add_f64_e32 v[8:9], v[8:9], v[22:23]
	v_cmp_gt_i32_e32 vcc_lo, 32, v14
	s_wait_alu 0xfffd
	v_cndmask_b32_e32 v14, v24, v14, vcc_lo
	v_cmp_eq_u32_e32 vcc_lo, 31, v0
	s_delay_alu instid0(VALU_DEP_2)
	v_lshlrev_b32_e32 v15, 2, v14
	ds_bpermute_b32 v20, v15, v12
	ds_bpermute_b32 v21, v15, v13
	;; [unrolled: 1-line block ×8, first 2 shown]
	s_and_b32 exec_lo, exec_lo, vcc_lo
	s_cbranch_execz .LBB55_23
; %bb.19:
	s_wait_dscnt 0x6
	v_add_f64_e32 v[12:13], v[12:13], v[20:21]
	s_wait_dscnt 0x4
	v_add_f64_e32 v[10:11], v[10:11], v[18:19]
	;; [unrolled: 2-line block ×4, first 2 shown]
	s_load_b64 s[0:1], s[0:1], 0x38
	s_mov_b32 s2, exec_lo
	v_cmpx_eq_f64_e32 0, v[3:4]
	s_wait_alu 0xfffe
	s_xor_b32 s2, exec_lo, s2
	s_cbranch_execz .LBB55_21
; %bb.20:
	v_mul_f64_e32 v[12:13], v[1:2], v[12:13]
	v_mul_f64_e32 v[14:15], v[1:2], v[10:11]
	;; [unrolled: 1-line block ×4, first 2 shown]
	v_lshlrev_b32_e32 v0, 2, v5
                                        ; implicit-def: $vgpr5
                                        ; implicit-def: $vgpr3_vgpr4
                                        ; implicit-def: $vgpr10_vgpr11
	s_delay_alu instid0(VALU_DEP_1) | instskip(NEXT) | instid1(VALU_DEP_1)
	v_ashrrev_i32_e32 v1, 31, v0
	v_lshlrev_b64_e32 v[0:1], 3, v[0:1]
	s_wait_kmcnt 0x0
	s_delay_alu instid0(VALU_DEP_1) | instskip(SKIP_1) | instid1(VALU_DEP_2)
	v_add_co_u32 v0, vcc_lo, s0, v0
	s_wait_alu 0xfffd
	v_add_co_ci_u32_e64 v1, null, s1, v1, vcc_lo
	s_clause 0x1
	global_store_b128 v[0:1], v[12:15], off
	global_store_b128 v[0:1], v[6:9], off offset:16
                                        ; implicit-def: $vgpr1_vgpr2
                                        ; implicit-def: $vgpr12_vgpr13
                                        ; implicit-def: $vgpr6_vgpr7
                                        ; implicit-def: $vgpr8_vgpr9
.LBB55_21:
	s_wait_alu 0xfffe
	s_and_not1_saveexec_b32 s2, s2
	s_cbranch_execz .LBB55_23
; %bb.22:
	v_lshlrev_b32_e32 v14, 2, v5
	v_mul_f64_e32 v[12:13], v[1:2], v[12:13]
	v_mul_f64_e32 v[10:11], v[1:2], v[10:11]
	;; [unrolled: 1-line block ×4, first 2 shown]
	v_ashrrev_i32_e32 v15, 31, v14
	s_delay_alu instid0(VALU_DEP_1) | instskip(SKIP_1) | instid1(VALU_DEP_1)
	v_lshlrev_b64_e32 v[14:15], 3, v[14:15]
	s_wait_kmcnt 0x0
	v_add_co_u32 v22, vcc_lo, s0, v14
	s_wait_alu 0xfffd
	s_delay_alu instid0(VALU_DEP_2)
	v_add_co_ci_u32_e64 v23, null, s1, v15, vcc_lo
	s_clause 0x1
	global_load_b128 v[14:17], v[22:23], off
	global_load_b128 v[18:21], v[22:23], off offset:16
	s_wait_loadcnt 0x1
	v_fma_f64 v[5:6], v[3:4], v[14:15], v[12:13]
	v_fma_f64 v[7:8], v[3:4], v[16:17], v[10:11]
	s_wait_loadcnt 0x0
	v_fma_f64 v[0:1], v[3:4], v[18:19], v[24:25]
	v_fma_f64 v[2:3], v[3:4], v[20:21], v[26:27]
	s_clause 0x1
	global_store_b128 v[22:23], v[5:8], off
	global_store_b128 v[22:23], v[0:3], off offset:16
.LBB55_23:
	s_endpgm
	.section	.rodata,"a",@progbits
	.p2align	6, 0x0
	.amdhsa_kernel _ZN9rocsparseL19gebsrmvn_4xn_kernelILj128ELj5ELj32EdEEvi20rocsparse_direction_NS_24const_host_device_scalarIT2_EEPKiS6_PKS3_S8_S4_PS3_21rocsparse_index_base_b
		.amdhsa_group_segment_fixed_size 0
		.amdhsa_private_segment_fixed_size 0
		.amdhsa_kernarg_size 72
		.amdhsa_user_sgpr_count 2
		.amdhsa_user_sgpr_dispatch_ptr 0
		.amdhsa_user_sgpr_queue_ptr 0
		.amdhsa_user_sgpr_kernarg_segment_ptr 1
		.amdhsa_user_sgpr_dispatch_id 0
		.amdhsa_user_sgpr_private_segment_size 0
		.amdhsa_wavefront_size32 1
		.amdhsa_uses_dynamic_stack 0
		.amdhsa_enable_private_segment 0
		.amdhsa_system_sgpr_workgroup_id_x 1
		.amdhsa_system_sgpr_workgroup_id_y 0
		.amdhsa_system_sgpr_workgroup_id_z 0
		.amdhsa_system_sgpr_workgroup_info 0
		.amdhsa_system_vgpr_workitem_id 0
		.amdhsa_next_free_vgpr 71
		.amdhsa_next_free_sgpr 14
		.amdhsa_reserve_vcc 1
		.amdhsa_float_round_mode_32 0
		.amdhsa_float_round_mode_16_64 0
		.amdhsa_float_denorm_mode_32 3
		.amdhsa_float_denorm_mode_16_64 3
		.amdhsa_fp16_overflow 0
		.amdhsa_workgroup_processor_mode 1
		.amdhsa_memory_ordered 1
		.amdhsa_forward_progress 1
		.amdhsa_inst_pref_size 29
		.amdhsa_round_robin_scheduling 0
		.amdhsa_exception_fp_ieee_invalid_op 0
		.amdhsa_exception_fp_denorm_src 0
		.amdhsa_exception_fp_ieee_div_zero 0
		.amdhsa_exception_fp_ieee_overflow 0
		.amdhsa_exception_fp_ieee_underflow 0
		.amdhsa_exception_fp_ieee_inexact 0
		.amdhsa_exception_int_div_zero 0
	.end_amdhsa_kernel
	.section	.text._ZN9rocsparseL19gebsrmvn_4xn_kernelILj128ELj5ELj32EdEEvi20rocsparse_direction_NS_24const_host_device_scalarIT2_EEPKiS6_PKS3_S8_S4_PS3_21rocsparse_index_base_b,"axG",@progbits,_ZN9rocsparseL19gebsrmvn_4xn_kernelILj128ELj5ELj32EdEEvi20rocsparse_direction_NS_24const_host_device_scalarIT2_EEPKiS6_PKS3_S8_S4_PS3_21rocsparse_index_base_b,comdat
.Lfunc_end55:
	.size	_ZN9rocsparseL19gebsrmvn_4xn_kernelILj128ELj5ELj32EdEEvi20rocsparse_direction_NS_24const_host_device_scalarIT2_EEPKiS6_PKS3_S8_S4_PS3_21rocsparse_index_base_b, .Lfunc_end55-_ZN9rocsparseL19gebsrmvn_4xn_kernelILj128ELj5ELj32EdEEvi20rocsparse_direction_NS_24const_host_device_scalarIT2_EEPKiS6_PKS3_S8_S4_PS3_21rocsparse_index_base_b
                                        ; -- End function
	.set _ZN9rocsparseL19gebsrmvn_4xn_kernelILj128ELj5ELj32EdEEvi20rocsparse_direction_NS_24const_host_device_scalarIT2_EEPKiS6_PKS3_S8_S4_PS3_21rocsparse_index_base_b.num_vgpr, 71
	.set _ZN9rocsparseL19gebsrmvn_4xn_kernelILj128ELj5ELj32EdEEvi20rocsparse_direction_NS_24const_host_device_scalarIT2_EEPKiS6_PKS3_S8_S4_PS3_21rocsparse_index_base_b.num_agpr, 0
	.set _ZN9rocsparseL19gebsrmvn_4xn_kernelILj128ELj5ELj32EdEEvi20rocsparse_direction_NS_24const_host_device_scalarIT2_EEPKiS6_PKS3_S8_S4_PS3_21rocsparse_index_base_b.numbered_sgpr, 14
	.set _ZN9rocsparseL19gebsrmvn_4xn_kernelILj128ELj5ELj32EdEEvi20rocsparse_direction_NS_24const_host_device_scalarIT2_EEPKiS6_PKS3_S8_S4_PS3_21rocsparse_index_base_b.num_named_barrier, 0
	.set _ZN9rocsparseL19gebsrmvn_4xn_kernelILj128ELj5ELj32EdEEvi20rocsparse_direction_NS_24const_host_device_scalarIT2_EEPKiS6_PKS3_S8_S4_PS3_21rocsparse_index_base_b.private_seg_size, 0
	.set _ZN9rocsparseL19gebsrmvn_4xn_kernelILj128ELj5ELj32EdEEvi20rocsparse_direction_NS_24const_host_device_scalarIT2_EEPKiS6_PKS3_S8_S4_PS3_21rocsparse_index_base_b.uses_vcc, 1
	.set _ZN9rocsparseL19gebsrmvn_4xn_kernelILj128ELj5ELj32EdEEvi20rocsparse_direction_NS_24const_host_device_scalarIT2_EEPKiS6_PKS3_S8_S4_PS3_21rocsparse_index_base_b.uses_flat_scratch, 0
	.set _ZN9rocsparseL19gebsrmvn_4xn_kernelILj128ELj5ELj32EdEEvi20rocsparse_direction_NS_24const_host_device_scalarIT2_EEPKiS6_PKS3_S8_S4_PS3_21rocsparse_index_base_b.has_dyn_sized_stack, 0
	.set _ZN9rocsparseL19gebsrmvn_4xn_kernelILj128ELj5ELj32EdEEvi20rocsparse_direction_NS_24const_host_device_scalarIT2_EEPKiS6_PKS3_S8_S4_PS3_21rocsparse_index_base_b.has_recursion, 0
	.set _ZN9rocsparseL19gebsrmvn_4xn_kernelILj128ELj5ELj32EdEEvi20rocsparse_direction_NS_24const_host_device_scalarIT2_EEPKiS6_PKS3_S8_S4_PS3_21rocsparse_index_base_b.has_indirect_call, 0
	.section	.AMDGPU.csdata,"",@progbits
; Kernel info:
; codeLenInByte = 3592
; TotalNumSgprs: 16
; NumVgprs: 71
; ScratchSize: 0
; MemoryBound: 1
; FloatMode: 240
; IeeeMode: 1
; LDSByteSize: 0 bytes/workgroup (compile time only)
; SGPRBlocks: 0
; VGPRBlocks: 8
; NumSGPRsForWavesPerEU: 16
; NumVGPRsForWavesPerEU: 71
; Occupancy: 16
; WaveLimiterHint : 1
; COMPUTE_PGM_RSRC2:SCRATCH_EN: 0
; COMPUTE_PGM_RSRC2:USER_SGPR: 2
; COMPUTE_PGM_RSRC2:TRAP_HANDLER: 0
; COMPUTE_PGM_RSRC2:TGID_X_EN: 1
; COMPUTE_PGM_RSRC2:TGID_Y_EN: 0
; COMPUTE_PGM_RSRC2:TGID_Z_EN: 0
; COMPUTE_PGM_RSRC2:TIDIG_COMP_CNT: 0
	.section	.text._ZN9rocsparseL19gebsrmvn_4xn_kernelILj128ELj5ELj64EdEEvi20rocsparse_direction_NS_24const_host_device_scalarIT2_EEPKiS6_PKS3_S8_S4_PS3_21rocsparse_index_base_b,"axG",@progbits,_ZN9rocsparseL19gebsrmvn_4xn_kernelILj128ELj5ELj64EdEEvi20rocsparse_direction_NS_24const_host_device_scalarIT2_EEPKiS6_PKS3_S8_S4_PS3_21rocsparse_index_base_b,comdat
	.globl	_ZN9rocsparseL19gebsrmvn_4xn_kernelILj128ELj5ELj64EdEEvi20rocsparse_direction_NS_24const_host_device_scalarIT2_EEPKiS6_PKS3_S8_S4_PS3_21rocsparse_index_base_b ; -- Begin function _ZN9rocsparseL19gebsrmvn_4xn_kernelILj128ELj5ELj64EdEEvi20rocsparse_direction_NS_24const_host_device_scalarIT2_EEPKiS6_PKS3_S8_S4_PS3_21rocsparse_index_base_b
	.p2align	8
	.type	_ZN9rocsparseL19gebsrmvn_4xn_kernelILj128ELj5ELj64EdEEvi20rocsparse_direction_NS_24const_host_device_scalarIT2_EEPKiS6_PKS3_S8_S4_PS3_21rocsparse_index_base_b,@function
_ZN9rocsparseL19gebsrmvn_4xn_kernelILj128ELj5ELj64EdEEvi20rocsparse_direction_NS_24const_host_device_scalarIT2_EEPKiS6_PKS3_S8_S4_PS3_21rocsparse_index_base_b: ; @_ZN9rocsparseL19gebsrmvn_4xn_kernelILj128ELj5ELj64EdEEvi20rocsparse_direction_NS_24const_host_device_scalarIT2_EEPKiS6_PKS3_S8_S4_PS3_21rocsparse_index_base_b
; %bb.0:
	s_clause 0x2
	s_load_b64 s[12:13], s[0:1], 0x40
	s_load_b64 s[4:5], s[0:1], 0x8
	;; [unrolled: 1-line block ×3, first 2 shown]
	s_wait_kmcnt 0x0
	s_bitcmp1_b32 s13, 0
	v_dual_mov_b32 v1, s4 :: v_dual_mov_b32 v2, s5
	s_cselect_b32 s6, -1, 0
	s_delay_alu instid0(SALU_CYCLE_1)
	s_and_b32 vcc_lo, exec_lo, s6
	s_xor_b32 s6, s6, -1
	s_cbranch_vccnz .LBB56_2
; %bb.1:
	v_dual_mov_b32 v1, s4 :: v_dual_mov_b32 v2, s5
	flat_load_b64 v[1:2], v[1:2]
.LBB56_2:
	v_dual_mov_b32 v4, s3 :: v_dual_mov_b32 v3, s2
	s_and_not1_b32 vcc_lo, exec_lo, s6
	s_cbranch_vccnz .LBB56_4
; %bb.3:
	v_dual_mov_b32 v4, s3 :: v_dual_mov_b32 v3, s2
	flat_load_b64 v[3:4], v[3:4]
.LBB56_4:
	s_wait_loadcnt_dscnt 0x0
	v_cmp_neq_f64_e32 vcc_lo, 0, v[1:2]
	v_cmp_neq_f64_e64 s2, 1.0, v[3:4]
	s_or_b32 s2, vcc_lo, s2
	s_wait_alu 0xfffe
	s_and_saveexec_b32 s3, s2
	s_cbranch_execz .LBB56_23
; %bb.5:
	s_load_b64 s[2:3], s[0:1], 0x0
	v_lshrrev_b32_e32 v5, 6, v0
	s_delay_alu instid0(VALU_DEP_1) | instskip(SKIP_1) | instid1(VALU_DEP_1)
	v_lshl_or_b32 v5, ttmp9, 1, v5
	s_wait_kmcnt 0x0
	v_cmp_gt_i32_e32 vcc_lo, s2, v5
	s_and_b32 exec_lo, exec_lo, vcc_lo
	s_cbranch_execz .LBB56_23
; %bb.6:
	s_load_b256 s[4:11], s[0:1], 0x10
	v_ashrrev_i32_e32 v6, 31, v5
	v_and_b32_e32 v0, 63, v0
	s_cmp_lg_u32 s3, 0
	s_delay_alu instid0(VALU_DEP_2) | instskip(SKIP_1) | instid1(VALU_DEP_1)
	v_lshlrev_b64_e32 v[6:7], 2, v[5:6]
	s_wait_kmcnt 0x0
	v_add_co_u32 v6, vcc_lo, s4, v6
	s_delay_alu instid0(VALU_DEP_1) | instskip(SKIP_4) | instid1(VALU_DEP_2)
	v_add_co_ci_u32_e64 v7, null, s5, v7, vcc_lo
	global_load_b64 v[6:7], v[6:7], off
	s_wait_loadcnt 0x0
	v_subrev_nc_u32_e32 v6, s12, v6
	v_subrev_nc_u32_e32 v20, s12, v7
	v_add_nc_u32_e32 v14, v6, v0
	s_delay_alu instid0(VALU_DEP_1)
	v_cmp_lt_i32_e64 s2, v14, v20
	s_cbranch_scc0 .LBB56_12
; %bb.7:
	v_mov_b32_e32 v6, 0
	v_dual_mov_b32 v10, 0 :: v_dual_mov_b32 v7, 0
	v_dual_mov_b32 v8, 0 :: v_dual_mov_b32 v11, 0
	;; [unrolled: 1-line block ×3, first 2 shown]
	v_mov_b32_e32 v13, 0
	s_and_saveexec_b32 s3, s2
	s_cbranch_execz .LBB56_11
; %bb.8:
	v_dual_mov_b32 v6, 0 :: v_dual_mov_b32 v17, 0
	v_mad_co_u64_u32 v[15:16], null, v14, 20, 16
	v_dual_mov_b32 v7, 0 :: v_dual_mov_b32 v8, 0
	v_dual_mov_b32 v9, 0 :: v_dual_mov_b32 v10, 0
	;; [unrolled: 1-line block ×4, first 2 shown]
	s_mov_b32 s4, 0
.LBB56_9:                               ; =>This Inner Loop Header: Depth=1
	s_delay_alu instid0(VALU_DEP_1) | instskip(SKIP_2) | instid1(VALU_DEP_3)
	v_ashrrev_i32_e32 v19, 31, v18
	v_add_nc_u32_e32 v16, -16, v15
	v_mov_b32_e32 v58, v17
	v_lshlrev_b64_e32 v[21:22], 2, v[18:19]
	v_add_nc_u32_e32 v18, 64, v18
	s_delay_alu instid0(VALU_DEP_2) | instskip(SKIP_1) | instid1(VALU_DEP_3)
	v_add_co_u32 v21, vcc_lo, s6, v21
	s_wait_alu 0xfffd
	v_add_co_ci_u32_e64 v22, null, s7, v22, vcc_lo
	global_load_b32 v19, v[21:22], off
	v_lshlrev_b64_e32 v[21:22], 3, v[16:17]
	s_delay_alu instid0(VALU_DEP_1) | instskip(SKIP_1) | instid1(VALU_DEP_2)
	v_add_co_u32 v25, vcc_lo, s8, v21
	s_wait_alu 0xfffd
	v_add_co_ci_u32_e64 v26, null, s9, v22, vcc_lo
	global_load_b128 v[21:24], v[25:26], off offset:16
	s_wait_loadcnt 0x1
	v_subrev_nc_u32_e32 v16, s12, v19
	s_delay_alu instid0(VALU_DEP_1) | instskip(SKIP_1) | instid1(VALU_DEP_2)
	v_lshl_add_u32 v57, v16, 2, v16
	v_add_nc_u32_e32 v16, -12, v15
	v_lshlrev_b64_e32 v[27:28], 3, v[57:58]
	s_delay_alu instid0(VALU_DEP_1) | instskip(SKIP_1) | instid1(VALU_DEP_2)
	v_add_co_u32 v29, vcc_lo, s10, v27
	s_wait_alu 0xfffd
	v_add_co_ci_u32_e64 v30, null, s11, v28, vcc_lo
	global_load_b128 v[25:28], v[25:26], off
	global_load_b64 v[61:62], v[29:30], off
	v_lshlrev_b64_e32 v[29:30], 3, v[16:17]
	v_add_nc_u32_e32 v16, 1, v57
	s_delay_alu instid0(VALU_DEP_1) | instskip(NEXT) | instid1(VALU_DEP_3)
	v_lshlrev_b64_e32 v[35:36], 3, v[16:17]
	v_add_co_u32 v33, vcc_lo, s8, v29
	s_wait_alu 0xfffd
	s_delay_alu instid0(VALU_DEP_4) | instskip(SKIP_1) | instid1(VALU_DEP_4)
	v_add_co_ci_u32_e64 v34, null, s9, v30, vcc_lo
	v_add_nc_u32_e32 v16, -8, v15
	v_add_co_u32 v37, vcc_lo, s10, v35
	s_wait_alu 0xfffd
	v_add_co_ci_u32_e64 v38, null, s11, v36, vcc_lo
	s_clause 0x1
	global_load_b128 v[29:32], v[33:34], off offset:16
	global_load_b128 v[33:36], v[33:34], off
	global_load_b64 v[63:64], v[37:38], off
	v_lshlrev_b64_e32 v[37:38], 3, v[16:17]
	v_add_nc_u32_e32 v16, 2, v57
	s_delay_alu instid0(VALU_DEP_1) | instskip(NEXT) | instid1(VALU_DEP_3)
	v_lshlrev_b64_e32 v[39:40], 3, v[16:17]
	v_add_co_u32 v41, vcc_lo, s8, v37
	s_wait_alu 0xfffd
	s_delay_alu instid0(VALU_DEP_4) | instskip(SKIP_1) | instid1(VALU_DEP_4)
	v_add_co_ci_u32_e64 v42, null, s9, v38, vcc_lo
	v_add_nc_u32_e32 v16, -4, v15
	v_add_co_u32 v45, vcc_lo, s10, v39
	s_wait_alu 0xfffd
	v_add_co_ci_u32_e64 v46, null, s11, v40, vcc_lo
	s_clause 0x1
	global_load_b128 v[37:40], v[41:42], off offset:16
	global_load_b128 v[41:44], v[41:42], off
	global_load_b64 v[65:66], v[45:46], off
	v_lshlrev_b64_e32 v[45:46], 3, v[16:17]
	v_add_nc_u32_e32 v16, 3, v57
	s_delay_alu instid0(VALU_DEP_1) | instskip(NEXT) | instid1(VALU_DEP_3)
	v_lshlrev_b64_e32 v[47:48], 3, v[16:17]
	v_add_co_u32 v49, vcc_lo, s8, v45
	s_wait_alu 0xfffd
	s_delay_alu instid0(VALU_DEP_4) | instskip(SKIP_1) | instid1(VALU_DEP_4)
	v_add_co_ci_u32_e64 v50, null, s9, v46, vcc_lo
	v_mov_b32_e32 v16, v17
	v_add_co_u32 v53, vcc_lo, s10, v47
	s_wait_alu 0xfffd
	v_add_co_ci_u32_e64 v54, null, s11, v48, vcc_lo
	s_clause 0x1
	global_load_b128 v[45:48], v[49:50], off offset:16
	global_load_b128 v[49:52], v[49:50], off
	global_load_b64 v[67:68], v[53:54], off
	v_lshlrev_b64_e32 v[53:54], 3, v[15:16]
	v_add_nc_u32_e32 v16, 4, v57
	v_add_nc_u32_e32 v15, 0x500, v15
	s_delay_alu instid0(VALU_DEP_2) | instskip(NEXT) | instid1(VALU_DEP_4)
	v_lshlrev_b64_e32 v[69:70], 3, v[16:17]
	v_add_co_u32 v58, vcc_lo, s8, v53
	s_wait_alu 0xfffd
	v_add_co_ci_u32_e64 v59, null, s9, v54, vcc_lo
	s_delay_alu instid0(VALU_DEP_3)
	v_add_co_u32 v69, vcc_lo, s10, v69
	s_wait_alu 0xfffd
	v_add_co_ci_u32_e64 v70, null, s11, v70, vcc_lo
	s_clause 0x1
	global_load_b128 v[53:56], v[58:59], off offset:16
	global_load_b128 v[57:60], v[58:59], off
	global_load_b64 v[69:70], v[69:70], off
	v_cmp_ge_i32_e32 vcc_lo, v18, v20
	s_wait_alu 0xfffe
	s_or_b32 s4, vcc_lo, s4
	s_wait_loadcnt 0xc
	v_fma_f64 v[6:7], v[25:26], v[61:62], v[6:7]
	v_fma_f64 v[12:13], v[27:28], v[61:62], v[12:13]
	v_fma_f64 v[10:11], v[21:22], v[61:62], v[10:11]
	v_fma_f64 v[8:9], v[23:24], v[61:62], v[8:9]
	s_wait_loadcnt 0x9
	s_delay_alu instid0(VALU_DEP_4) | instskip(NEXT) | instid1(VALU_DEP_4)
	v_fma_f64 v[6:7], v[33:34], v[63:64], v[6:7]
	v_fma_f64 v[12:13], v[35:36], v[63:64], v[12:13]
	s_delay_alu instid0(VALU_DEP_4) | instskip(NEXT) | instid1(VALU_DEP_4)
	v_fma_f64 v[10:11], v[29:30], v[63:64], v[10:11]
	v_fma_f64 v[8:9], v[31:32], v[63:64], v[8:9]
	s_wait_loadcnt 0x6
	s_delay_alu instid0(VALU_DEP_4) | instskip(NEXT) | instid1(VALU_DEP_4)
	v_fma_f64 v[6:7], v[41:42], v[65:66], v[6:7]
	v_fma_f64 v[12:13], v[43:44], v[65:66], v[12:13]
	s_delay_alu instid0(VALU_DEP_4) | instskip(NEXT) | instid1(VALU_DEP_4)
	v_fma_f64 v[10:11], v[37:38], v[65:66], v[10:11]
	v_fma_f64 v[8:9], v[39:40], v[65:66], v[8:9]
	;; [unrolled: 7-line block ×4, first 2 shown]
	s_wait_alu 0xfffe
	s_and_not1_b32 exec_lo, exec_lo, s4
	s_cbranch_execnz .LBB56_9
; %bb.10:
	s_or_b32 exec_lo, exec_lo, s4
.LBB56_11:
	s_wait_alu 0xfffe
	s_or_b32 exec_lo, exec_lo, s3
	s_cbranch_execz .LBB56_13
	s_branch .LBB56_18
.LBB56_12:
                                        ; implicit-def: $vgpr6_vgpr7
                                        ; implicit-def: $vgpr8_vgpr9
                                        ; implicit-def: $vgpr10_vgpr11
                                        ; implicit-def: $vgpr12_vgpr13
.LBB56_13:
	v_mov_b32_e32 v6, 0
	v_dual_mov_b32 v10, 0 :: v_dual_mov_b32 v7, 0
	v_dual_mov_b32 v8, 0 :: v_dual_mov_b32 v11, 0
	;; [unrolled: 1-line block ×3, first 2 shown]
	v_mov_b32_e32 v13, 0
	s_and_saveexec_b32 s3, s2
	s_cbranch_execz .LBB56_17
; %bb.14:
	v_mad_co_u64_u32 v[16:17], null, v14, 20, 19
	v_mov_b32_e32 v6, 0
	v_dual_mov_b32 v10, 0 :: v_dual_mov_b32 v7, 0
	v_dual_mov_b32 v8, 0 :: v_dual_mov_b32 v11, 0
	;; [unrolled: 1-line block ×3, first 2 shown]
	v_mov_b32_e32 v13, 0
	v_mov_b32_e32 v19, 0
	s_mov_b32 s4, 0
.LBB56_15:                              ; =>This Inner Loop Header: Depth=1
	v_ashrrev_i32_e32 v15, 31, v14
	s_delay_alu instid0(VALU_DEP_2) | instskip(SKIP_1) | instid1(VALU_DEP_3)
	v_dual_mov_b32 v30, v19 :: v_dual_add_nc_u32 v21, -14, v16
	v_dual_mov_b32 v22, v19 :: v_dual_add_nc_u32 v23, -9, v16
	v_lshlrev_b64_e32 v[17:18], 2, v[14:15]
	v_dual_mov_b32 v24, v19 :: v_dual_add_nc_u32 v25, -4, v16
	v_mov_b32_e32 v26, v19
	s_delay_alu instid0(VALU_DEP_4)
	v_lshlrev_b64_e32 v[21:22], 3, v[21:22]
	v_add_nc_u32_e32 v14, 64, v14
	v_add_co_u32 v17, vcc_lo, s6, v17
	s_wait_alu 0xfffd
	v_add_co_ci_u32_e64 v18, null, s7, v18, vcc_lo
	v_lshlrev_b64_e32 v[23:24], 3, v[23:24]
	v_lshlrev_b64_e32 v[25:26], 3, v[25:26]
	global_load_b32 v15, v[17:18], off
	v_subrev_nc_u32_e32 v18, 19, v16
	s_delay_alu instid0(VALU_DEP_1) | instskip(NEXT) | instid1(VALU_DEP_1)
	v_lshlrev_b64_e32 v[17:18], 3, v[18:19]
	v_add_co_u32 v17, vcc_lo, s8, v17
	s_wait_alu 0xfffd
	s_delay_alu instid0(VALU_DEP_2)
	v_add_co_ci_u32_e64 v18, null, s9, v18, vcc_lo
	v_add_co_u32 v31, vcc_lo, s8, v21
	s_wait_alu 0xfffd
	v_add_co_ci_u32_e64 v32, null, s9, v22, vcc_lo
	v_add_co_u32 v33, vcc_lo, s8, v23
	s_wait_alu 0xfffd
	;; [unrolled: 3-line block ×3, first 2 shown]
	v_add_co_ci_u32_e64 v36, null, s9, v26, vcc_lo
	s_clause 0x3
	global_load_b128 v[21:24], v[17:18], off offset:16
	global_load_b128 v[25:28], v[17:18], off
	global_load_b64 v[31:32], v[31:32], off
	global_load_b64 v[33:34], v[33:34], off
	s_wait_loadcnt 0x4
	v_subrev_nc_u32_e32 v15, s12, v15
	s_delay_alu instid0(VALU_DEP_1) | instskip(NEXT) | instid1(VALU_DEP_1)
	v_lshl_add_u32 v29, v15, 2, v15
	v_lshlrev_b64_e32 v[17:18], 3, v[29:30]
	s_delay_alu instid0(VALU_DEP_1) | instskip(SKIP_1) | instid1(VALU_DEP_2)
	v_add_co_u32 v17, vcc_lo, s10, v17
	s_wait_alu 0xfffd
	v_add_co_ci_u32_e64 v18, null, s11, v18, vcc_lo
	global_load_b64 v[35:36], v[35:36], off
	global_load_b64 v[37:38], v[17:18], off
	v_dual_mov_b32 v17, v19 :: v_dual_add_nc_u32 v18, 1, v29
	s_delay_alu instid0(VALU_DEP_1) | instskip(SKIP_1) | instid1(VALU_DEP_3)
	v_lshlrev_b64_e32 v[39:40], 3, v[18:19]
	v_add_nc_u32_e32 v18, -13, v16
	v_lshlrev_b64_e32 v[47:48], 3, v[16:17]
	s_delay_alu instid0(VALU_DEP_2) | instskip(SKIP_4) | instid1(VALU_DEP_3)
	v_lshlrev_b64_e32 v[41:42], 3, v[18:19]
	v_add_nc_u32_e32 v18, -8, v16
	v_add_co_u32 v39, vcc_lo, s10, v39
	s_wait_alu 0xfffd
	v_add_co_ci_u32_e64 v40, null, s11, v40, vcc_lo
	v_lshlrev_b64_e32 v[43:44], 3, v[18:19]
	v_add_nc_u32_e32 v18, -3, v16
	v_add_co_u32 v41, vcc_lo, s8, v41
	s_wait_alu 0xfffd
	v_add_co_ci_u32_e64 v42, null, s9, v42, vcc_lo
	s_delay_alu instid0(VALU_DEP_3) | instskip(SKIP_4) | instid1(VALU_DEP_4)
	v_lshlrev_b64_e32 v[45:46], 3, v[18:19]
	v_add_co_u32 v43, vcc_lo, s8, v43
	s_wait_alu 0xfffd
	v_add_co_ci_u32_e64 v44, null, s9, v44, vcc_lo
	v_add_nc_u32_e32 v18, 2, v29
	v_add_co_u32 v45, vcc_lo, s8, v45
	s_wait_alu 0xfffd
	v_add_co_ci_u32_e64 v46, null, s9, v46, vcc_lo
	global_load_b64 v[39:40], v[39:40], off
	s_clause 0x2
	global_load_b64 v[41:42], v[41:42], off
	global_load_b64 v[43:44], v[43:44], off
	;; [unrolled: 1-line block ×3, first 2 shown]
	v_lshlrev_b64_e32 v[49:50], 3, v[18:19]
	v_add_nc_u32_e32 v18, -12, v16
	s_delay_alu instid0(VALU_DEP_1) | instskip(SKIP_1) | instid1(VALU_DEP_4)
	v_lshlrev_b64_e32 v[51:52], 3, v[18:19]
	v_add_nc_u32_e32 v18, -7, v16
	v_add_co_u32 v49, vcc_lo, s10, v49
	s_wait_alu 0xfffd
	v_add_co_ci_u32_e64 v50, null, s11, v50, vcc_lo
	s_delay_alu instid0(VALU_DEP_3) | instskip(SKIP_4) | instid1(VALU_DEP_3)
	v_lshlrev_b64_e32 v[53:54], 3, v[18:19]
	v_add_nc_u32_e32 v18, -2, v16
	v_add_co_u32 v51, vcc_lo, s8, v51
	s_wait_alu 0xfffd
	v_add_co_ci_u32_e64 v52, null, s9, v52, vcc_lo
	v_lshlrev_b64_e32 v[17:18], 3, v[18:19]
	v_add_co_u32 v53, vcc_lo, s8, v53
	s_wait_alu 0xfffd
	v_add_co_ci_u32_e64 v54, null, s9, v54, vcc_lo
	s_delay_alu instid0(VALU_DEP_3)
	v_add_co_u32 v17, vcc_lo, s8, v17
	s_wait_alu 0xfffd
	v_add_co_ci_u32_e64 v18, null, s9, v18, vcc_lo
	global_load_b64 v[49:50], v[49:50], off
	s_clause 0x2
	global_load_b64 v[51:52], v[51:52], off
	global_load_b64 v[53:54], v[53:54], off
	;; [unrolled: 1-line block ×3, first 2 shown]
	v_add_nc_u32_e32 v18, 3, v29
	v_add_co_u32 v47, vcc_lo, s8, v47
	s_wait_alu 0xfffd
	v_add_co_ci_u32_e64 v48, null, s9, v48, vcc_lo
	s_delay_alu instid0(VALU_DEP_3) | instskip(SKIP_1) | instid1(VALU_DEP_1)
	v_lshlrev_b64_e32 v[57:58], 3, v[18:19]
	v_add_nc_u32_e32 v18, -11, v16
	v_lshlrev_b64_e32 v[59:60], 3, v[18:19]
	v_add_nc_u32_e32 v18, -6, v16
	s_delay_alu instid0(VALU_DEP_4) | instskip(SKIP_2) | instid1(VALU_DEP_3)
	v_add_co_u32 v57, s2, s10, v57
	s_wait_alu 0xf1ff
	v_add_co_ci_u32_e64 v58, null, s11, v58, s2
	v_lshlrev_b64_e32 v[61:62], 3, v[18:19]
	v_add_nc_u32_e32 v18, -1, v16
	v_add_co_u32 v59, s2, s8, v59
	s_wait_alu 0xf1ff
	v_add_co_ci_u32_e64 v60, null, s9, v60, s2
	s_delay_alu instid0(VALU_DEP_3) | instskip(SKIP_3) | instid1(VALU_DEP_3)
	v_lshlrev_b64_e32 v[17:18], 3, v[18:19]
	v_add_co_u32 v61, s2, s8, v61
	s_wait_alu 0xf1ff
	v_add_co_ci_u32_e64 v62, null, s9, v62, s2
	v_add_co_u32 v17, s2, s8, v17
	s_wait_alu 0xf1ff
	v_add_co_ci_u32_e64 v18, null, s9, v18, s2
	global_load_b64 v[57:58], v[57:58], off
	s_clause 0x2
	global_load_b64 v[59:60], v[59:60], off
	global_load_b64 v[61:62], v[61:62], off
	;; [unrolled: 1-line block ×3, first 2 shown]
	v_add_nc_u32_e32 v18, -15, v16
	s_delay_alu instid0(VALU_DEP_1) | instskip(SKIP_1) | instid1(VALU_DEP_1)
	v_lshlrev_b64_e32 v[65:66], 3, v[18:19]
	v_add_nc_u32_e32 v18, 4, v29
	v_lshlrev_b64_e32 v[29:30], 3, v[18:19]
	v_add_nc_u32_e32 v18, -10, v16
	s_delay_alu instid0(VALU_DEP_4) | instskip(SKIP_2) | instid1(VALU_DEP_3)
	v_add_co_u32 v65, vcc_lo, s8, v65
	s_wait_alu 0xfffd
	v_add_co_ci_u32_e64 v66, null, s9, v66, vcc_lo
	v_lshlrev_b64_e32 v[67:68], 3, v[18:19]
	v_add_nc_u32_e32 v18, -5, v16
	v_add_co_u32 v29, vcc_lo, s10, v29
	s_wait_alu 0xfffd
	v_add_co_ci_u32_e64 v30, null, s11, v30, vcc_lo
	s_delay_alu instid0(VALU_DEP_3) | instskip(SKIP_4) | instid1(VALU_DEP_4)
	v_lshlrev_b64_e32 v[17:18], 3, v[18:19]
	v_add_co_u32 v67, vcc_lo, s8, v67
	s_wait_alu 0xfffd
	v_add_co_ci_u32_e64 v68, null, s9, v68, vcc_lo
	v_add_nc_u32_e32 v16, 0x500, v16
	v_add_co_u32 v17, vcc_lo, s8, v17
	s_wait_alu 0xfffd
	v_add_co_ci_u32_e64 v18, null, s9, v18, vcc_lo
	global_load_b64 v[65:66], v[65:66], off
	global_load_b64 v[29:30], v[29:30], off
	s_clause 0x2
	global_load_b64 v[67:68], v[67:68], off
	global_load_b64 v[17:18], v[17:18], off
	;; [unrolled: 1-line block ×3, first 2 shown]
	v_cmp_ge_i32_e32 vcc_lo, v14, v20
	s_wait_alu 0xfffe
	s_or_b32 s4, vcc_lo, s4
	s_wait_loadcnt 0x11
	v_fma_f64 v[6:7], v[25:26], v[37:38], v[6:7]
	v_fma_f64 v[12:13], v[31:32], v[37:38], v[12:13]
	v_fma_f64 v[10:11], v[33:34], v[37:38], v[10:11]
	v_fma_f64 v[8:9], v[35:36], v[37:38], v[8:9]
	s_wait_loadcnt 0x10
	s_delay_alu instid0(VALU_DEP_4) | instskip(SKIP_1) | instid1(VALU_DEP_4)
	v_fma_f64 v[6:7], v[27:28], v[39:40], v[6:7]
	s_wait_loadcnt 0xf
	v_fma_f64 v[12:13], v[41:42], v[39:40], v[12:13]
	s_wait_loadcnt 0xe
	s_delay_alu instid0(VALU_DEP_4) | instskip(SKIP_1) | instid1(VALU_DEP_4)
	v_fma_f64 v[10:11], v[43:44], v[39:40], v[10:11]
	s_wait_loadcnt 0xd
	v_fma_f64 v[8:9], v[45:46], v[39:40], v[8:9]
	;; [unrolled: 5-line block ×8, first 2 shown]
	s_wait_alu 0xfffe
	s_and_not1_b32 exec_lo, exec_lo, s4
	s_cbranch_execnz .LBB56_15
; %bb.16:
	s_or_b32 exec_lo, exec_lo, s4
.LBB56_17:
	s_wait_alu 0xfffe
	s_or_b32 exec_lo, exec_lo, s3
.LBB56_18:
	v_mbcnt_lo_u32_b32 v24, -1, 0
	s_delay_alu instid0(VALU_DEP_1) | instskip(NEXT) | instid1(VALU_DEP_1)
	v_or_b32_e32 v14, 32, v24
	v_cmp_gt_i32_e32 vcc_lo, 32, v14
	s_wait_alu 0xfffd
	v_cndmask_b32_e32 v14, v24, v14, vcc_lo
	s_delay_alu instid0(VALU_DEP_1)
	v_lshlrev_b32_e32 v21, 2, v14
	ds_bpermute_b32 v14, v21, v6
	ds_bpermute_b32 v15, v21, v7
	ds_bpermute_b32 v16, v21, v12
	ds_bpermute_b32 v17, v21, v13
	ds_bpermute_b32 v18, v21, v10
	ds_bpermute_b32 v19, v21, v11
	ds_bpermute_b32 v20, v21, v8
	ds_bpermute_b32 v21, v21, v9
	s_wait_dscnt 0x6
	v_add_f64_e32 v[6:7], v[6:7], v[14:15]
	v_xor_b32_e32 v14, 16, v24
	s_wait_dscnt 0x4
	v_add_f64_e32 v[12:13], v[12:13], v[16:17]
	s_wait_dscnt 0x2
	v_add_f64_e32 v[10:11], v[10:11], v[18:19]
	s_wait_dscnt 0x0
	v_add_f64_e32 v[8:9], v[8:9], v[20:21]
	v_cmp_gt_i32_e32 vcc_lo, 32, v14
	s_wait_alu 0xfffd
	v_cndmask_b32_e32 v14, v24, v14, vcc_lo
	s_delay_alu instid0(VALU_DEP_1)
	v_lshlrev_b32_e32 v21, 2, v14
	ds_bpermute_b32 v14, v21, v6
	ds_bpermute_b32 v15, v21, v7
	ds_bpermute_b32 v16, v21, v12
	ds_bpermute_b32 v17, v21, v13
	ds_bpermute_b32 v18, v21, v10
	ds_bpermute_b32 v19, v21, v11
	ds_bpermute_b32 v20, v21, v8
	ds_bpermute_b32 v21, v21, v9
	s_wait_dscnt 0x6
	v_add_f64_e32 v[6:7], v[6:7], v[14:15]
	v_xor_b32_e32 v14, 8, v24
	s_wait_dscnt 0x4
	v_add_f64_e32 v[12:13], v[12:13], v[16:17]
	s_wait_dscnt 0x2
	v_add_f64_e32 v[10:11], v[10:11], v[18:19]
	s_wait_dscnt 0x0
	v_add_f64_e32 v[8:9], v[8:9], v[20:21]
	v_cmp_gt_i32_e32 vcc_lo, 32, v14
	s_wait_alu 0xfffd
	v_cndmask_b32_e32 v14, v24, v14, vcc_lo
	s_delay_alu instid0(VALU_DEP_1)
	v_lshlrev_b32_e32 v21, 2, v14
	ds_bpermute_b32 v14, v21, v6
	ds_bpermute_b32 v15, v21, v7
	ds_bpermute_b32 v16, v21, v12
	ds_bpermute_b32 v17, v21, v13
	ds_bpermute_b32 v18, v21, v10
	ds_bpermute_b32 v19, v21, v11
	ds_bpermute_b32 v20, v21, v8
	ds_bpermute_b32 v21, v21, v9
	s_wait_dscnt 0x6
	v_add_f64_e32 v[6:7], v[6:7], v[14:15]
	v_xor_b32_e32 v14, 4, v24
	s_wait_dscnt 0x4
	v_add_f64_e32 v[12:13], v[12:13], v[16:17]
	s_wait_dscnt 0x2
	v_add_f64_e32 v[10:11], v[10:11], v[18:19]
	s_wait_dscnt 0x0
	v_add_f64_e32 v[8:9], v[8:9], v[20:21]
	v_cmp_gt_i32_e32 vcc_lo, 32, v14
	s_wait_alu 0xfffd
	v_cndmask_b32_e32 v14, v24, v14, vcc_lo
	s_delay_alu instid0(VALU_DEP_1)
	v_lshlrev_b32_e32 v21, 2, v14
	ds_bpermute_b32 v14, v21, v6
	ds_bpermute_b32 v15, v21, v7
	;; [unrolled: 1-line block ×8, first 2 shown]
	s_wait_dscnt 0x6
	v_add_f64_e32 v[6:7], v[6:7], v[14:15]
	s_wait_dscnt 0x4
	v_add_f64_e32 v[14:15], v[12:13], v[16:17]
	;; [unrolled: 2-line block ×3, first 2 shown]
	v_xor_b32_e32 v10, 2, v24
	s_wait_dscnt 0x0
	v_add_f64_e32 v[8:9], v[8:9], v[20:21]
	s_delay_alu instid0(VALU_DEP_2) | instskip(SKIP_2) | instid1(VALU_DEP_1)
	v_cmp_gt_i32_e32 vcc_lo, 32, v10
	s_wait_alu 0xfffd
	v_cndmask_b32_e32 v10, v24, v10, vcc_lo
	v_lshlrev_b32_e32 v12, 2, v10
	ds_bpermute_b32 v10, v12, v6
	ds_bpermute_b32 v11, v12, v7
	;; [unrolled: 1-line block ×8, first 2 shown]
	s_wait_dscnt 0x6
	v_add_f64_e32 v[12:13], v[6:7], v[10:11]
	s_wait_dscnt 0x4
	v_add_f64_e32 v[10:11], v[14:15], v[18:19]
	v_xor_b32_e32 v14, 1, v24
	s_wait_dscnt 0x2
	v_add_f64_e32 v[6:7], v[16:17], v[20:21]
	s_wait_dscnt 0x0
	v_add_f64_e32 v[8:9], v[8:9], v[22:23]
	v_cmp_gt_i32_e32 vcc_lo, 32, v14
	s_wait_alu 0xfffd
	v_cndmask_b32_e32 v14, v24, v14, vcc_lo
	v_cmp_eq_u32_e32 vcc_lo, 63, v0
	s_delay_alu instid0(VALU_DEP_2)
	v_lshlrev_b32_e32 v15, 2, v14
	ds_bpermute_b32 v20, v15, v12
	ds_bpermute_b32 v21, v15, v13
	;; [unrolled: 1-line block ×8, first 2 shown]
	s_and_b32 exec_lo, exec_lo, vcc_lo
	s_cbranch_execz .LBB56_23
; %bb.19:
	s_wait_dscnt 0x6
	v_add_f64_e32 v[12:13], v[12:13], v[20:21]
	s_wait_dscnt 0x4
	v_add_f64_e32 v[10:11], v[10:11], v[18:19]
	;; [unrolled: 2-line block ×4, first 2 shown]
	s_load_b64 s[0:1], s[0:1], 0x38
	s_mov_b32 s2, exec_lo
	v_cmpx_eq_f64_e32 0, v[3:4]
	s_wait_alu 0xfffe
	s_xor_b32 s2, exec_lo, s2
	s_cbranch_execz .LBB56_21
; %bb.20:
	v_mul_f64_e32 v[12:13], v[1:2], v[12:13]
	v_mul_f64_e32 v[14:15], v[1:2], v[10:11]
	;; [unrolled: 1-line block ×4, first 2 shown]
	v_lshlrev_b32_e32 v0, 2, v5
                                        ; implicit-def: $vgpr5
                                        ; implicit-def: $vgpr3_vgpr4
                                        ; implicit-def: $vgpr10_vgpr11
	s_delay_alu instid0(VALU_DEP_1) | instskip(NEXT) | instid1(VALU_DEP_1)
	v_ashrrev_i32_e32 v1, 31, v0
	v_lshlrev_b64_e32 v[0:1], 3, v[0:1]
	s_wait_kmcnt 0x0
	s_delay_alu instid0(VALU_DEP_1) | instskip(SKIP_1) | instid1(VALU_DEP_2)
	v_add_co_u32 v0, vcc_lo, s0, v0
	s_wait_alu 0xfffd
	v_add_co_ci_u32_e64 v1, null, s1, v1, vcc_lo
	s_clause 0x1
	global_store_b128 v[0:1], v[12:15], off
	global_store_b128 v[0:1], v[6:9], off offset:16
                                        ; implicit-def: $vgpr1_vgpr2
                                        ; implicit-def: $vgpr12_vgpr13
                                        ; implicit-def: $vgpr6_vgpr7
                                        ; implicit-def: $vgpr8_vgpr9
.LBB56_21:
	s_wait_alu 0xfffe
	s_and_not1_saveexec_b32 s2, s2
	s_cbranch_execz .LBB56_23
; %bb.22:
	v_lshlrev_b32_e32 v14, 2, v5
	v_mul_f64_e32 v[12:13], v[1:2], v[12:13]
	v_mul_f64_e32 v[10:11], v[1:2], v[10:11]
	;; [unrolled: 1-line block ×4, first 2 shown]
	v_ashrrev_i32_e32 v15, 31, v14
	s_delay_alu instid0(VALU_DEP_1) | instskip(SKIP_1) | instid1(VALU_DEP_1)
	v_lshlrev_b64_e32 v[14:15], 3, v[14:15]
	s_wait_kmcnt 0x0
	v_add_co_u32 v22, vcc_lo, s0, v14
	s_wait_alu 0xfffd
	s_delay_alu instid0(VALU_DEP_2)
	v_add_co_ci_u32_e64 v23, null, s1, v15, vcc_lo
	s_clause 0x1
	global_load_b128 v[14:17], v[22:23], off
	global_load_b128 v[18:21], v[22:23], off offset:16
	s_wait_loadcnt 0x1
	v_fma_f64 v[5:6], v[3:4], v[14:15], v[12:13]
	v_fma_f64 v[7:8], v[3:4], v[16:17], v[10:11]
	s_wait_loadcnt 0x0
	v_fma_f64 v[0:1], v[3:4], v[18:19], v[24:25]
	v_fma_f64 v[2:3], v[3:4], v[20:21], v[26:27]
	s_clause 0x1
	global_store_b128 v[22:23], v[5:8], off
	global_store_b128 v[22:23], v[0:3], off offset:16
.LBB56_23:
	s_endpgm
	.section	.rodata,"a",@progbits
	.p2align	6, 0x0
	.amdhsa_kernel _ZN9rocsparseL19gebsrmvn_4xn_kernelILj128ELj5ELj64EdEEvi20rocsparse_direction_NS_24const_host_device_scalarIT2_EEPKiS6_PKS3_S8_S4_PS3_21rocsparse_index_base_b
		.amdhsa_group_segment_fixed_size 0
		.amdhsa_private_segment_fixed_size 0
		.amdhsa_kernarg_size 72
		.amdhsa_user_sgpr_count 2
		.amdhsa_user_sgpr_dispatch_ptr 0
		.amdhsa_user_sgpr_queue_ptr 0
		.amdhsa_user_sgpr_kernarg_segment_ptr 1
		.amdhsa_user_sgpr_dispatch_id 0
		.amdhsa_user_sgpr_private_segment_size 0
		.amdhsa_wavefront_size32 1
		.amdhsa_uses_dynamic_stack 0
		.amdhsa_enable_private_segment 0
		.amdhsa_system_sgpr_workgroup_id_x 1
		.amdhsa_system_sgpr_workgroup_id_y 0
		.amdhsa_system_sgpr_workgroup_id_z 0
		.amdhsa_system_sgpr_workgroup_info 0
		.amdhsa_system_vgpr_workitem_id 0
		.amdhsa_next_free_vgpr 71
		.amdhsa_next_free_sgpr 14
		.amdhsa_reserve_vcc 1
		.amdhsa_float_round_mode_32 0
		.amdhsa_float_round_mode_16_64 0
		.amdhsa_float_denorm_mode_32 3
		.amdhsa_float_denorm_mode_16_64 3
		.amdhsa_fp16_overflow 0
		.amdhsa_workgroup_processor_mode 1
		.amdhsa_memory_ordered 1
		.amdhsa_forward_progress 1
		.amdhsa_inst_pref_size 29
		.amdhsa_round_robin_scheduling 0
		.amdhsa_exception_fp_ieee_invalid_op 0
		.amdhsa_exception_fp_denorm_src 0
		.amdhsa_exception_fp_ieee_div_zero 0
		.amdhsa_exception_fp_ieee_overflow 0
		.amdhsa_exception_fp_ieee_underflow 0
		.amdhsa_exception_fp_ieee_inexact 0
		.amdhsa_exception_int_div_zero 0
	.end_amdhsa_kernel
	.section	.text._ZN9rocsparseL19gebsrmvn_4xn_kernelILj128ELj5ELj64EdEEvi20rocsparse_direction_NS_24const_host_device_scalarIT2_EEPKiS6_PKS3_S8_S4_PS3_21rocsparse_index_base_b,"axG",@progbits,_ZN9rocsparseL19gebsrmvn_4xn_kernelILj128ELj5ELj64EdEEvi20rocsparse_direction_NS_24const_host_device_scalarIT2_EEPKiS6_PKS3_S8_S4_PS3_21rocsparse_index_base_b,comdat
.Lfunc_end56:
	.size	_ZN9rocsparseL19gebsrmvn_4xn_kernelILj128ELj5ELj64EdEEvi20rocsparse_direction_NS_24const_host_device_scalarIT2_EEPKiS6_PKS3_S8_S4_PS3_21rocsparse_index_base_b, .Lfunc_end56-_ZN9rocsparseL19gebsrmvn_4xn_kernelILj128ELj5ELj64EdEEvi20rocsparse_direction_NS_24const_host_device_scalarIT2_EEPKiS6_PKS3_S8_S4_PS3_21rocsparse_index_base_b
                                        ; -- End function
	.set _ZN9rocsparseL19gebsrmvn_4xn_kernelILj128ELj5ELj64EdEEvi20rocsparse_direction_NS_24const_host_device_scalarIT2_EEPKiS6_PKS3_S8_S4_PS3_21rocsparse_index_base_b.num_vgpr, 71
	.set _ZN9rocsparseL19gebsrmvn_4xn_kernelILj128ELj5ELj64EdEEvi20rocsparse_direction_NS_24const_host_device_scalarIT2_EEPKiS6_PKS3_S8_S4_PS3_21rocsparse_index_base_b.num_agpr, 0
	.set _ZN9rocsparseL19gebsrmvn_4xn_kernelILj128ELj5ELj64EdEEvi20rocsparse_direction_NS_24const_host_device_scalarIT2_EEPKiS6_PKS3_S8_S4_PS3_21rocsparse_index_base_b.numbered_sgpr, 14
	.set _ZN9rocsparseL19gebsrmvn_4xn_kernelILj128ELj5ELj64EdEEvi20rocsparse_direction_NS_24const_host_device_scalarIT2_EEPKiS6_PKS3_S8_S4_PS3_21rocsparse_index_base_b.num_named_barrier, 0
	.set _ZN9rocsparseL19gebsrmvn_4xn_kernelILj128ELj5ELj64EdEEvi20rocsparse_direction_NS_24const_host_device_scalarIT2_EEPKiS6_PKS3_S8_S4_PS3_21rocsparse_index_base_b.private_seg_size, 0
	.set _ZN9rocsparseL19gebsrmvn_4xn_kernelILj128ELj5ELj64EdEEvi20rocsparse_direction_NS_24const_host_device_scalarIT2_EEPKiS6_PKS3_S8_S4_PS3_21rocsparse_index_base_b.uses_vcc, 1
	.set _ZN9rocsparseL19gebsrmvn_4xn_kernelILj128ELj5ELj64EdEEvi20rocsparse_direction_NS_24const_host_device_scalarIT2_EEPKiS6_PKS3_S8_S4_PS3_21rocsparse_index_base_b.uses_flat_scratch, 0
	.set _ZN9rocsparseL19gebsrmvn_4xn_kernelILj128ELj5ELj64EdEEvi20rocsparse_direction_NS_24const_host_device_scalarIT2_EEPKiS6_PKS3_S8_S4_PS3_21rocsparse_index_base_b.has_dyn_sized_stack, 0
	.set _ZN9rocsparseL19gebsrmvn_4xn_kernelILj128ELj5ELj64EdEEvi20rocsparse_direction_NS_24const_host_device_scalarIT2_EEPKiS6_PKS3_S8_S4_PS3_21rocsparse_index_base_b.has_recursion, 0
	.set _ZN9rocsparseL19gebsrmvn_4xn_kernelILj128ELj5ELj64EdEEvi20rocsparse_direction_NS_24const_host_device_scalarIT2_EEPKiS6_PKS3_S8_S4_PS3_21rocsparse_index_base_b.has_indirect_call, 0
	.section	.AMDGPU.csdata,"",@progbits
; Kernel info:
; codeLenInByte = 3712
; TotalNumSgprs: 16
; NumVgprs: 71
; ScratchSize: 0
; MemoryBound: 1
; FloatMode: 240
; IeeeMode: 1
; LDSByteSize: 0 bytes/workgroup (compile time only)
; SGPRBlocks: 0
; VGPRBlocks: 8
; NumSGPRsForWavesPerEU: 16
; NumVGPRsForWavesPerEU: 71
; Occupancy: 16
; WaveLimiterHint : 1
; COMPUTE_PGM_RSRC2:SCRATCH_EN: 0
; COMPUTE_PGM_RSRC2:USER_SGPR: 2
; COMPUTE_PGM_RSRC2:TRAP_HANDLER: 0
; COMPUTE_PGM_RSRC2:TGID_X_EN: 1
; COMPUTE_PGM_RSRC2:TGID_Y_EN: 0
; COMPUTE_PGM_RSRC2:TGID_Z_EN: 0
; COMPUTE_PGM_RSRC2:TIDIG_COMP_CNT: 0
	.section	.text._ZN9rocsparseL19gebsrmvn_4xn_kernelILj128ELj6ELj4EdEEvi20rocsparse_direction_NS_24const_host_device_scalarIT2_EEPKiS6_PKS3_S8_S4_PS3_21rocsparse_index_base_b,"axG",@progbits,_ZN9rocsparseL19gebsrmvn_4xn_kernelILj128ELj6ELj4EdEEvi20rocsparse_direction_NS_24const_host_device_scalarIT2_EEPKiS6_PKS3_S8_S4_PS3_21rocsparse_index_base_b,comdat
	.globl	_ZN9rocsparseL19gebsrmvn_4xn_kernelILj128ELj6ELj4EdEEvi20rocsparse_direction_NS_24const_host_device_scalarIT2_EEPKiS6_PKS3_S8_S4_PS3_21rocsparse_index_base_b ; -- Begin function _ZN9rocsparseL19gebsrmvn_4xn_kernelILj128ELj6ELj4EdEEvi20rocsparse_direction_NS_24const_host_device_scalarIT2_EEPKiS6_PKS3_S8_S4_PS3_21rocsparse_index_base_b
	.p2align	8
	.type	_ZN9rocsparseL19gebsrmvn_4xn_kernelILj128ELj6ELj4EdEEvi20rocsparse_direction_NS_24const_host_device_scalarIT2_EEPKiS6_PKS3_S8_S4_PS3_21rocsparse_index_base_b,@function
_ZN9rocsparseL19gebsrmvn_4xn_kernelILj128ELj6ELj4EdEEvi20rocsparse_direction_NS_24const_host_device_scalarIT2_EEPKiS6_PKS3_S8_S4_PS3_21rocsparse_index_base_b: ; @_ZN9rocsparseL19gebsrmvn_4xn_kernelILj128ELj6ELj4EdEEvi20rocsparse_direction_NS_24const_host_device_scalarIT2_EEPKiS6_PKS3_S8_S4_PS3_21rocsparse_index_base_b
; %bb.0:
	s_clause 0x2
	s_load_b64 s[12:13], s[0:1], 0x40
	s_load_b64 s[4:5], s[0:1], 0x8
	s_load_b64 s[2:3], s[0:1], 0x30
	s_wait_kmcnt 0x0
	s_bitcmp1_b32 s13, 0
	v_dual_mov_b32 v1, s4 :: v_dual_mov_b32 v2, s5
	s_cselect_b32 s6, -1, 0
	s_delay_alu instid0(SALU_CYCLE_1)
	s_and_b32 vcc_lo, exec_lo, s6
	s_xor_b32 s6, s6, -1
	s_cbranch_vccnz .LBB57_2
; %bb.1:
	v_dual_mov_b32 v1, s4 :: v_dual_mov_b32 v2, s5
	flat_load_b64 v[1:2], v[1:2]
.LBB57_2:
	v_dual_mov_b32 v4, s3 :: v_dual_mov_b32 v3, s2
	s_and_not1_b32 vcc_lo, exec_lo, s6
	s_cbranch_vccnz .LBB57_4
; %bb.3:
	v_dual_mov_b32 v4, s3 :: v_dual_mov_b32 v3, s2
	flat_load_b64 v[3:4], v[3:4]
.LBB57_4:
	s_wait_loadcnt_dscnt 0x0
	v_cmp_neq_f64_e32 vcc_lo, 0, v[1:2]
	v_cmp_neq_f64_e64 s2, 1.0, v[3:4]
	s_or_b32 s2, vcc_lo, s2
	s_wait_alu 0xfffe
	s_and_saveexec_b32 s3, s2
	s_cbranch_execz .LBB57_23
; %bb.5:
	s_load_b64 s[2:3], s[0:1], 0x0
	v_lshrrev_b32_e32 v5, 2, v0
	s_delay_alu instid0(VALU_DEP_1) | instskip(SKIP_1) | instid1(VALU_DEP_1)
	v_lshl_or_b32 v5, ttmp9, 5, v5
	s_wait_kmcnt 0x0
	v_cmp_gt_i32_e32 vcc_lo, s2, v5
	s_and_b32 exec_lo, exec_lo, vcc_lo
	s_cbranch_execz .LBB57_23
; %bb.6:
	s_load_b256 s[4:11], s[0:1], 0x10
	v_ashrrev_i32_e32 v6, 31, v5
	v_and_b32_e32 v0, 3, v0
	s_cmp_lg_u32 s3, 0
	s_delay_alu instid0(VALU_DEP_2) | instskip(SKIP_1) | instid1(VALU_DEP_1)
	v_lshlrev_b64_e32 v[6:7], 2, v[5:6]
	s_wait_kmcnt 0x0
	v_add_co_u32 v6, vcc_lo, s4, v6
	s_delay_alu instid0(VALU_DEP_1) | instskip(SKIP_4) | instid1(VALU_DEP_2)
	v_add_co_ci_u32_e64 v7, null, s5, v7, vcc_lo
	global_load_b64 v[6:7], v[6:7], off
	s_wait_loadcnt 0x0
	v_subrev_nc_u32_e32 v6, s12, v6
	v_subrev_nc_u32_e32 v21, s12, v7
	v_add_nc_u32_e32 v6, v6, v0
	s_delay_alu instid0(VALU_DEP_1)
	v_cmp_lt_i32_e64 s2, v6, v21
	s_cbranch_scc0 .LBB57_12
; %bb.7:
	v_mov_b32_e32 v8, 0
	v_dual_mov_b32 v12, 0 :: v_dual_mov_b32 v9, 0
	v_dual_mov_b32 v10, 0 :: v_dual_mov_b32 v13, 0
	;; [unrolled: 1-line block ×3, first 2 shown]
	v_mov_b32_e32 v15, 0
	s_and_saveexec_b32 s3, s2
	s_cbranch_execz .LBB57_11
; %bb.8:
	v_mad_co_u64_u32 v[16:17], null, v6, 24, 20
	v_mov_b32_e32 v8, 0
	v_mov_b32_e32 v10, 0
	;; [unrolled: 1-line block ×3, first 2 shown]
	v_dual_mov_b32 v14, 0 :: v_dual_mov_b32 v19, v6
	v_dual_mov_b32 v9, 0 :: v_dual_mov_b32 v18, 0
	v_mov_b32_e32 v11, 0
	v_mov_b32_e32 v13, 0
	;; [unrolled: 1-line block ×3, first 2 shown]
	s_mov_b32 s4, 0
.LBB57_9:                               ; =>This Inner Loop Header: Depth=1
	v_ashrrev_i32_e32 v20, 31, v19
	v_subrev_nc_u32_e32 v17, 20, v16
	v_mov_b32_e32 v63, v18
	s_delay_alu instid0(VALU_DEP_3) | instskip(SKIP_1) | instid1(VALU_DEP_2)
	v_lshlrev_b64_e32 v[22:23], 2, v[19:20]
	v_add_nc_u32_e32 v19, 4, v19
	v_add_co_u32 v22, vcc_lo, s6, v22
	s_wait_alu 0xfffd
	s_delay_alu instid0(VALU_DEP_3) | instskip(SKIP_3) | instid1(VALU_DEP_1)
	v_add_co_ci_u32_e64 v23, null, s7, v23, vcc_lo
	global_load_b32 v7, v[22:23], off
	v_lshlrev_b64_e32 v[22:23], 3, v[17:18]
	v_add_nc_u32_e32 v17, -12, v16
	v_lshlrev_b64_e32 v[42:43], 3, v[17:18]
	s_delay_alu instid0(VALU_DEP_3) | instskip(SKIP_1) | instid1(VALU_DEP_4)
	v_add_co_u32 v38, vcc_lo, s8, v22
	s_wait_alu 0xfffd
	v_add_co_ci_u32_e64 v39, null, s9, v23, vcc_lo
	global_load_b128 v[22:25], v[38:39], off offset:16
	s_wait_loadcnt 0x1
	v_subrev_nc_u32_e32 v7, s12, v7
	s_delay_alu instid0(VALU_DEP_1) | instskip(NEXT) | instid1(VALU_DEP_1)
	v_mul_lo_u32 v62, v7, 6
	v_lshlrev_b64_e32 v[26:27], 3, v[62:63]
	v_add_nc_u32_e32 v17, 2, v62
	s_delay_alu instid0(VALU_DEP_1) | instskip(NEXT) | instid1(VALU_DEP_3)
	v_lshlrev_b64_e32 v[48:49], 3, v[17:18]
	v_add_co_u32 v30, vcc_lo, s10, v26
	s_wait_alu 0xfffd
	s_delay_alu instid0(VALU_DEP_4)
	v_add_co_ci_u32_e64 v31, null, s11, v27, vcc_lo
	v_add_co_u32 v46, vcc_lo, s8, v42
	global_load_b128 v[26:29], v[38:39], off
	global_load_b128 v[30:33], v[30:31], off
	s_clause 0x1
	global_load_b128 v[34:37], v[38:39], off offset:48
	global_load_b128 v[38:41], v[38:39], off offset:32
	s_wait_alu 0xfffd
	v_add_co_ci_u32_e64 v47, null, s9, v43, vcc_lo
	v_add_co_u32 v50, vcc_lo, s10, v48
	s_wait_alu 0xfffd
	v_add_co_ci_u32_e64 v51, null, s11, v49, vcc_lo
	s_clause 0x1
	global_load_b128 v[42:45], v[46:47], off offset:16
	global_load_b128 v[46:49], v[46:47], off
	global_load_b128 v[50:53], v[50:51], off
	v_add_nc_u32_e32 v17, -8, v16
	s_delay_alu instid0(VALU_DEP_1) | instskip(SKIP_1) | instid1(VALU_DEP_2)
	v_lshlrev_b64_e32 v[54:55], 3, v[17:18]
	v_add_nc_u32_e32 v17, -4, v16
	v_add_co_u32 v58, vcc_lo, s8, v54
	s_wait_alu 0xfffd
	s_delay_alu instid0(VALU_DEP_3)
	v_add_co_ci_u32_e64 v59, null, s9, v55, vcc_lo
	s_clause 0x1
	global_load_b128 v[54:57], v[58:59], off
	global_load_b128 v[58:61], v[58:59], off offset:16
	v_lshlrev_b64_e32 v[63:64], 3, v[17:18]
	v_add_nc_u32_e32 v17, 4, v62
	s_delay_alu instid0(VALU_DEP_1) | instskip(NEXT) | instid1(VALU_DEP_3)
	v_lshlrev_b64_e32 v[65:66], 3, v[17:18]
	v_add_co_u32 v67, vcc_lo, s8, v63
	s_wait_alu 0xfffd
	s_delay_alu instid0(VALU_DEP_4) | instskip(SKIP_1) | instid1(VALU_DEP_4)
	v_add_co_ci_u32_e64 v68, null, s9, v64, vcc_lo
	v_mov_b32_e32 v17, v18
	v_add_co_u32 v70, vcc_lo, s10, v65
	s_wait_alu 0xfffd
	v_add_co_ci_u32_e64 v71, null, s11, v66, vcc_lo
	s_clause 0x1
	global_load_b128 v[62:65], v[67:68], off offset:16
	global_load_b128 v[66:69], v[67:68], off
	global_load_b128 v[70:73], v[70:71], off
	v_lshlrev_b64_e32 v[74:75], 3, v[16:17]
	v_add_nc_u32_e32 v16, 0x60, v16
	s_delay_alu instid0(VALU_DEP_2) | instskip(SKIP_1) | instid1(VALU_DEP_3)
	v_add_co_u32 v78, vcc_lo, s8, v74
	s_wait_alu 0xfffd
	v_add_co_ci_u32_e64 v79, null, s9, v75, vcc_lo
	s_clause 0x1
	global_load_b128 v[74:77], v[78:79], off
	global_load_b128 v[78:81], v[78:79], off offset:16
	v_cmp_ge_i32_e32 vcc_lo, v19, v21
	s_wait_alu 0xfffe
	s_or_b32 s4, vcc_lo, s4
	s_wait_loadcnt 0xc
	v_fma_f64 v[7:8], v[26:27], v[30:31], v[8:9]
	v_fma_f64 v[14:15], v[28:29], v[30:31], v[14:15]
	;; [unrolled: 1-line block ×4, first 2 shown]
	s_wait_loadcnt 0xa
	s_delay_alu instid0(VALU_DEP_4) | instskip(NEXT) | instid1(VALU_DEP_4)
	v_fma_f64 v[7:8], v[38:39], v[32:33], v[7:8]
	v_fma_f64 v[14:15], v[40:41], v[32:33], v[14:15]
	s_delay_alu instid0(VALU_DEP_4) | instskip(NEXT) | instid1(VALU_DEP_4)
	v_fma_f64 v[11:12], v[34:35], v[32:33], v[12:13]
	v_fma_f64 v[9:10], v[36:37], v[32:33], v[9:10]
	s_wait_loadcnt 0x7
	s_delay_alu instid0(VALU_DEP_4) | instskip(NEXT) | instid1(VALU_DEP_4)
	v_fma_f64 v[7:8], v[46:47], v[50:51], v[7:8]
	v_fma_f64 v[13:14], v[48:49], v[50:51], v[14:15]
	s_delay_alu instid0(VALU_DEP_4) | instskip(NEXT) | instid1(VALU_DEP_4)
	v_fma_f64 v[11:12], v[42:43], v[50:51], v[11:12]
	v_fma_f64 v[9:10], v[44:45], v[50:51], v[9:10]
	s_wait_loadcnt 0x6
	s_delay_alu instid0(VALU_DEP_4) | instskip(NEXT) | instid1(VALU_DEP_4)
	v_fma_f64 v[7:8], v[54:55], v[52:53], v[7:8]
	v_fma_f64 v[13:14], v[56:57], v[52:53], v[13:14]
	s_wait_loadcnt 0x5
	;; [unrolled: 4-line block ×3, first 2 shown]
	s_delay_alu instid0(VALU_DEP_4) | instskip(NEXT) | instid1(VALU_DEP_4)
	v_fma_f64 v[7:8], v[66:67], v[70:71], v[7:8]
	v_fma_f64 v[13:14], v[68:69], v[70:71], v[13:14]
	s_delay_alu instid0(VALU_DEP_4) | instskip(NEXT) | instid1(VALU_DEP_4)
	v_fma_f64 v[11:12], v[62:63], v[70:71], v[11:12]
	v_fma_f64 v[22:23], v[64:65], v[70:71], v[9:10]
	s_wait_loadcnt 0x1
	s_delay_alu instid0(VALU_DEP_4) | instskip(NEXT) | instid1(VALU_DEP_4)
	v_fma_f64 v[8:9], v[74:75], v[72:73], v[7:8]
	v_fma_f64 v[14:15], v[76:77], v[72:73], v[13:14]
	s_wait_loadcnt 0x0
	s_delay_alu instid0(VALU_DEP_4) | instskip(NEXT) | instid1(VALU_DEP_4)
	v_fma_f64 v[12:13], v[78:79], v[72:73], v[11:12]
	v_fma_f64 v[10:11], v[80:81], v[72:73], v[22:23]
	s_wait_alu 0xfffe
	s_and_not1_b32 exec_lo, exec_lo, s4
	s_cbranch_execnz .LBB57_9
; %bb.10:
	s_or_b32 exec_lo, exec_lo, s4
.LBB57_11:
	s_wait_alu 0xfffe
	s_or_b32 exec_lo, exec_lo, s3
	s_cbranch_execz .LBB57_13
	s_branch .LBB57_18
.LBB57_12:
                                        ; implicit-def: $vgpr8_vgpr9
                                        ; implicit-def: $vgpr10_vgpr11
                                        ; implicit-def: $vgpr12_vgpr13
                                        ; implicit-def: $vgpr14_vgpr15
.LBB57_13:
	v_mov_b32_e32 v8, 0
	v_dual_mov_b32 v12, 0 :: v_dual_mov_b32 v9, 0
	v_dual_mov_b32 v10, 0 :: v_dual_mov_b32 v13, 0
	;; [unrolled: 1-line block ×3, first 2 shown]
	v_mov_b32_e32 v15, 0
	s_and_saveexec_b32 s3, s2
	s_cbranch_execz .LBB57_17
; %bb.14:
	v_mad_co_u64_u32 v[16:17], null, v6, 24, 23
	v_mov_b32_e32 v8, 0
	v_dual_mov_b32 v12, 0 :: v_dual_mov_b32 v9, 0
	v_dual_mov_b32 v10, 0 :: v_dual_mov_b32 v13, 0
	;; [unrolled: 1-line block ×4, first 2 shown]
	s_mov_b32 s2, 0
.LBB57_15:                              ; =>This Inner Loop Header: Depth=1
	v_ashrrev_i32_e32 v7, 31, v6
	v_subrev_nc_u32_e32 v17, 23, v16
	s_delay_alu instid0(VALU_DEP_3) | instskip(SKIP_1) | instid1(VALU_DEP_4)
	v_dual_mov_b32 v43, v18 :: v_dual_add_nc_u32 v22, -5, v16
	v_mov_b32_e32 v23, v18
	v_lshlrev_b64_e32 v[19:20], 2, v[6:7]
	s_delay_alu instid0(VALU_DEP_4)
	v_lshlrev_b64_e32 v[24:25], 3, v[17:18]
	v_add_nc_u32_e32 v6, 4, v6
	v_add_nc_u32_e32 v17, -10, v16
	v_lshlrev_b64_e32 v[22:23], 3, v[22:23]
	v_add_co_u32 v19, vcc_lo, s6, v19
	s_wait_alu 0xfffd
	v_add_co_ci_u32_e64 v20, null, s7, v20, vcc_lo
	v_add_co_u32 v44, vcc_lo, s8, v24
	s_wait_alu 0xfffd
	v_add_co_ci_u32_e64 v45, null, s9, v25, vcc_lo
	global_load_b32 v7, v[19:20], off
	v_dual_mov_b32 v20, v18 :: v_dual_add_nc_u32 v19, -11, v16
	v_lshlrev_b64_e32 v[38:39], 3, v[17:18]
	v_add_nc_u32_e32 v17, -4, v16
	s_delay_alu instid0(VALU_DEP_3) | instskip(NEXT) | instid1(VALU_DEP_2)
	v_lshlrev_b64_e32 v[19:20], 3, v[19:20]
	v_lshlrev_b64_e32 v[40:41], 3, v[17:18]
	s_delay_alu instid0(VALU_DEP_2) | instskip(SKIP_1) | instid1(VALU_DEP_3)
	v_add_co_u32 v19, vcc_lo, s8, v19
	s_wait_alu 0xfffd
	v_add_co_ci_u32_e64 v20, null, s9, v20, vcc_lo
	v_add_co_u32 v34, vcc_lo, s8, v22
	s_wait_alu 0xfffd
	v_add_co_ci_u32_e64 v35, null, s9, v23, vcc_lo
	s_clause 0x3
	global_load_b128 v[22:25], v[44:45], off offset:48
	global_load_b128 v[26:29], v[44:45], off offset:16
	global_load_b128 v[30:33], v[44:45], off
	global_load_b64 v[19:20], v[19:20], off
	s_wait_loadcnt 0x4
	v_subrev_nc_u32_e32 v7, s12, v7
	s_delay_alu instid0(VALU_DEP_1) | instskip(NEXT) | instid1(VALU_DEP_1)
	v_mul_lo_u32 v42, v7, 6
	v_lshlrev_b64_e32 v[36:37], 3, v[42:43]
	v_add_nc_u32_e32 v17, 2, v42
	s_delay_alu instid0(VALU_DEP_2) | instskip(SKIP_1) | instid1(VALU_DEP_3)
	v_add_co_u32 v36, vcc_lo, s10, v36
	s_wait_alu 0xfffd
	v_add_co_ci_u32_e64 v37, null, s11, v37, vcc_lo
	v_add_co_u32 v38, vcc_lo, s8, v38
	global_load_b64 v[50:51], v[34:35], off
	global_load_b128 v[34:37], v[36:37], off
	s_wait_alu 0xfffd
	v_add_co_ci_u32_e64 v39, null, s9, v39, vcc_lo
	v_add_co_u32 v40, vcc_lo, s8, v40
	s_wait_alu 0xfffd
	v_add_co_ci_u32_e64 v41, null, s9, v41, vcc_lo
	s_clause 0x1
	global_load_b64 v[52:53], v[38:39], off
	global_load_b64 v[54:55], v[40:41], off
	v_lshlrev_b64_e32 v[38:39], 3, v[17:18]
	v_add_nc_u32_e32 v17, -15, v16
	s_delay_alu instid0(VALU_DEP_1) | instskip(SKIP_1) | instid1(VALU_DEP_4)
	v_lshlrev_b64_e32 v[40:41], 3, v[17:18]
	v_add_nc_u32_e32 v17, -9, v16
	v_add_co_u32 v38, vcc_lo, s10, v38
	s_wait_alu 0xfffd
	v_add_co_ci_u32_e64 v39, null, s11, v39, vcc_lo
	s_delay_alu instid0(VALU_DEP_3) | instskip(SKIP_4) | instid1(VALU_DEP_3)
	v_lshlrev_b64_e32 v[46:47], 3, v[17:18]
	v_add_nc_u32_e32 v17, -3, v16
	v_add_co_u32 v48, vcc_lo, s8, v40
	s_wait_alu 0xfffd
	v_add_co_ci_u32_e64 v49, null, s9, v41, vcc_lo
	v_lshlrev_b64_e32 v[40:41], 3, v[17:18]
	v_add_co_u32 v46, vcc_lo, s8, v46
	s_wait_alu 0xfffd
	v_add_co_ci_u32_e64 v47, null, s9, v47, vcc_lo
	v_add_nc_u32_e32 v17, -14, v16
	s_delay_alu instid0(VALU_DEP_4)
	v_add_co_u32 v56, vcc_lo, s8, v40
	s_wait_alu 0xfffd
	v_add_co_ci_u32_e64 v57, null, s9, v41, vcc_lo
	global_load_b128 v[38:41], v[38:39], off
	s_clause 0x2
	global_load_b64 v[58:59], v[48:49], off
	global_load_b64 v[60:61], v[46:47], off
	;; [unrolled: 1-line block ×3, first 2 shown]
	v_lshlrev_b64_e32 v[46:47], 3, v[17:18]
	v_add_nc_u32_e32 v17, -8, v16
	s_delay_alu instid0(VALU_DEP_1) | instskip(SKIP_1) | instid1(VALU_DEP_4)
	v_lshlrev_b64_e32 v[48:49], 3, v[17:18]
	v_add_nc_u32_e32 v17, -2, v16
	v_add_co_u32 v46, vcc_lo, s8, v46
	s_wait_alu 0xfffd
	v_add_co_ci_u32_e64 v47, null, s9, v47, vcc_lo
	s_delay_alu instid0(VALU_DEP_3) | instskip(SKIP_4) | instid1(VALU_DEP_4)
	v_lshlrev_b64_e32 v[62:63], 3, v[17:18]
	v_add_co_u32 v48, vcc_lo, s8, v48
	s_wait_alu 0xfffd
	v_add_co_ci_u32_e64 v49, null, s9, v49, vcc_lo
	v_add_nc_u32_e32 v17, 4, v42
	v_add_co_u32 v62, vcc_lo, s8, v62
	s_wait_alu 0xfffd
	v_add_co_ci_u32_e64 v63, null, s9, v63, vcc_lo
	s_clause 0x2
	global_load_b64 v[64:65], v[46:47], off
	global_load_b64 v[66:67], v[48:49], off
	global_load_b64 v[62:63], v[62:63], off
	v_lshlrev_b64_e32 v[42:43], 3, v[17:18]
	v_add_nc_u32_e32 v17, -13, v16
	s_delay_alu instid0(VALU_DEP_1) | instskip(SKIP_1) | instid1(VALU_DEP_4)
	v_lshlrev_b64_e32 v[46:47], 3, v[17:18]
	v_add_nc_u32_e32 v17, -7, v16
	v_add_co_u32 v48, vcc_lo, s10, v42
	s_wait_alu 0xfffd
	v_add_co_ci_u32_e64 v49, null, s11, v43, vcc_lo
	s_delay_alu instid0(VALU_DEP_3) | instskip(SKIP_4) | instid1(VALU_DEP_3)
	v_lshlrev_b64_e32 v[42:43], 3, v[17:18]
	v_add_nc_u32_e32 v17, -1, v16
	v_add_co_u32 v68, vcc_lo, s8, v46
	s_wait_alu 0xfffd
	v_add_co_ci_u32_e64 v69, null, s9, v47, vcc_lo
	v_lshlrev_b64_e32 v[46:47], 3, v[17:18]
	v_add_co_u32 v70, vcc_lo, s8, v42
	s_wait_alu 0xfffd
	v_add_co_ci_u32_e64 v71, null, s9, v43, vcc_lo
	v_mov_b32_e32 v17, v18
	s_delay_alu instid0(VALU_DEP_4)
	v_add_co_u32 v72, vcc_lo, s8, v46
	s_wait_alu 0xfffd
	v_add_co_ci_u32_e64 v73, null, s9, v47, vcc_lo
	global_load_b128 v[42:45], v[44:45], off offset:32
	global_load_b128 v[46:49], v[48:49], off
	s_clause 0x2
	global_load_b64 v[68:69], v[68:69], off
	global_load_b64 v[70:71], v[70:71], off
	;; [unrolled: 1-line block ×3, first 2 shown]
	v_lshlrev_b64_e32 v[74:75], 3, v[16:17]
	v_add_nc_u32_e32 v17, -12, v16
	s_delay_alu instid0(VALU_DEP_1) | instskip(SKIP_1) | instid1(VALU_DEP_4)
	v_lshlrev_b64_e32 v[76:77], 3, v[17:18]
	v_add_nc_u32_e32 v17, -6, v16
	v_add_co_u32 v74, vcc_lo, s8, v74
	s_wait_alu 0xfffd
	v_add_co_ci_u32_e64 v75, null, s9, v75, vcc_lo
	s_delay_alu instid0(VALU_DEP_3) | instskip(SKIP_4) | instid1(VALU_DEP_4)
	v_lshlrev_b64_e32 v[78:79], 3, v[17:18]
	v_add_co_u32 v76, vcc_lo, s8, v76
	s_wait_alu 0xfffd
	v_add_co_ci_u32_e64 v77, null, s9, v77, vcc_lo
	v_add_nc_u32_e32 v16, 0x60, v16
	v_add_co_u32 v78, vcc_lo, s8, v78
	s_wait_alu 0xfffd
	v_add_co_ci_u32_e64 v79, null, s9, v79, vcc_lo
	s_clause 0x2
	global_load_b64 v[76:77], v[76:77], off
	global_load_b64 v[78:79], v[78:79], off
	;; [unrolled: 1-line block ×3, first 2 shown]
	v_cmp_ge_i32_e32 vcc_lo, v6, v21
	s_wait_alu 0xfffe
	s_or_b32 s2, vcc_lo, s2
	s_wait_loadcnt 0x11
	v_fma_f64 v[7:8], v[30:31], v[34:35], v[8:9]
	v_fma_f64 v[14:15], v[22:23], v[34:35], v[14:15]
	;; [unrolled: 1-line block ×4, first 2 shown]
	s_delay_alu instid0(VALU_DEP_4) | instskip(NEXT) | instid1(VALU_DEP_4)
	v_fma_f64 v[7:8], v[32:33], v[36:37], v[7:8]
	v_fma_f64 v[14:15], v[24:25], v[36:37], v[14:15]
	s_wait_loadcnt 0x10
	s_delay_alu instid0(VALU_DEP_4) | instskip(SKIP_1) | instid1(VALU_DEP_4)
	v_fma_f64 v[11:12], v[52:53], v[36:37], v[12:13]
	s_wait_loadcnt 0xf
	v_fma_f64 v[9:10], v[54:55], v[36:37], v[9:10]
	s_wait_loadcnt 0xe
	s_delay_alu instid0(VALU_DEP_4) | instskip(SKIP_1) | instid1(VALU_DEP_4)
	v_fma_f64 v[7:8], v[26:27], v[38:39], v[7:8]
	s_wait_loadcnt 0xd
	;; [unrolled: 5-line block ×3, first 2 shown]
	v_fma_f64 v[9:10], v[56:57], v[38:39], v[9:10]
	s_delay_alu instid0(VALU_DEP_4) | instskip(SKIP_1) | instid1(VALU_DEP_4)
	v_fma_f64 v[7:8], v[28:29], v[40:41], v[7:8]
	s_wait_loadcnt 0xa
	v_fma_f64 v[13:14], v[64:65], v[40:41], v[13:14]
	s_wait_loadcnt 0x9
	s_delay_alu instid0(VALU_DEP_4) | instskip(SKIP_1) | instid1(VALU_DEP_4)
	v_fma_f64 v[11:12], v[66:67], v[40:41], v[11:12]
	s_wait_loadcnt 0x8
	v_fma_f64 v[9:10], v[62:63], v[40:41], v[9:10]
	s_wait_loadcnt 0x6
	;; [unrolled: 5-line block ×3, first 2 shown]
	s_delay_alu instid0(VALU_DEP_4) | instskip(SKIP_1) | instid1(VALU_DEP_4)
	v_fma_f64 v[11:12], v[70:71], v[46:47], v[11:12]
	s_wait_loadcnt 0x3
	v_fma_f64 v[19:20], v[72:73], v[46:47], v[9:10]
	s_delay_alu instid0(VALU_DEP_4) | instskip(SKIP_1) | instid1(VALU_DEP_4)
	v_fma_f64 v[8:9], v[44:45], v[48:49], v[7:8]
	s_wait_loadcnt 0x2
	v_fma_f64 v[14:15], v[76:77], v[48:49], v[13:14]
	s_wait_loadcnt 0x1
	s_delay_alu instid0(VALU_DEP_4) | instskip(SKIP_1) | instid1(VALU_DEP_4)
	v_fma_f64 v[12:13], v[78:79], v[48:49], v[11:12]
	s_wait_loadcnt 0x0
	v_fma_f64 v[10:11], v[74:75], v[48:49], v[19:20]
	s_wait_alu 0xfffe
	s_and_not1_b32 exec_lo, exec_lo, s2
	s_cbranch_execnz .LBB57_15
; %bb.16:
	s_or_b32 exec_lo, exec_lo, s2
.LBB57_17:
	s_wait_alu 0xfffe
	s_or_b32 exec_lo, exec_lo, s3
.LBB57_18:
	v_mbcnt_lo_u32_b32 v24, -1, 0
	s_delay_alu instid0(VALU_DEP_1) | instskip(NEXT) | instid1(VALU_DEP_1)
	v_xor_b32_e32 v6, 2, v24
	v_cmp_gt_i32_e32 vcc_lo, 32, v6
	s_wait_alu 0xfffd
	v_cndmask_b32_e32 v6, v24, v6, vcc_lo
	s_delay_alu instid0(VALU_DEP_1)
	v_lshlrev_b32_e32 v16, 2, v6
	ds_bpermute_b32 v6, v16, v8
	ds_bpermute_b32 v7, v16, v9
	ds_bpermute_b32 v18, v16, v14
	ds_bpermute_b32 v19, v16, v15
	ds_bpermute_b32 v20, v16, v12
	ds_bpermute_b32 v21, v16, v13
	ds_bpermute_b32 v22, v16, v10
	ds_bpermute_b32 v23, v16, v11
	s_wait_dscnt 0x6
	v_add_f64_e32 v[16:17], v[8:9], v[6:7]
	s_wait_dscnt 0x4
	v_add_f64_e32 v[14:15], v[14:15], v[18:19]
	;; [unrolled: 2-line block ×4, first 2 shown]
	v_xor_b32_e32 v10, 1, v24
	s_delay_alu instid0(VALU_DEP_1) | instskip(SKIP_3) | instid1(VALU_DEP_2)
	v_cmp_gt_i32_e32 vcc_lo, 32, v10
	s_wait_alu 0xfffd
	v_cndmask_b32_e32 v10, v24, v10, vcc_lo
	v_cmp_eq_u32_e32 vcc_lo, 3, v0
	v_lshlrev_b32_e32 v19, 2, v10
	ds_bpermute_b32 v12, v19, v16
	ds_bpermute_b32 v13, v19, v17
	;; [unrolled: 1-line block ×8, first 2 shown]
	s_and_b32 exec_lo, exec_lo, vcc_lo
	s_cbranch_execz .LBB57_23
; %bb.19:
	s_wait_dscnt 0x6
	v_add_f64_e32 v[12:13], v[16:17], v[12:13]
	s_wait_dscnt 0x4
	v_add_f64_e32 v[10:11], v[14:15], v[10:11]
	;; [unrolled: 2-line block ×4, first 2 shown]
	s_load_b64 s[0:1], s[0:1], 0x38
	s_mov_b32 s2, exec_lo
	v_cmpx_eq_f64_e32 0, v[3:4]
	s_wait_alu 0xfffe
	s_xor_b32 s2, exec_lo, s2
	s_cbranch_execz .LBB57_21
; %bb.20:
	v_mul_f64_e32 v[12:13], v[1:2], v[12:13]
	v_mul_f64_e32 v[14:15], v[1:2], v[10:11]
	;; [unrolled: 1-line block ×4, first 2 shown]
	v_lshlrev_b32_e32 v0, 2, v5
                                        ; implicit-def: $vgpr5
                                        ; implicit-def: $vgpr3_vgpr4
                                        ; implicit-def: $vgpr10_vgpr11
	s_delay_alu instid0(VALU_DEP_1) | instskip(NEXT) | instid1(VALU_DEP_1)
	v_ashrrev_i32_e32 v1, 31, v0
	v_lshlrev_b64_e32 v[0:1], 3, v[0:1]
	s_wait_kmcnt 0x0
	s_delay_alu instid0(VALU_DEP_1) | instskip(SKIP_1) | instid1(VALU_DEP_2)
	v_add_co_u32 v0, vcc_lo, s0, v0
	s_wait_alu 0xfffd
	v_add_co_ci_u32_e64 v1, null, s1, v1, vcc_lo
	s_clause 0x1
	global_store_b128 v[0:1], v[12:15], off
	global_store_b128 v[0:1], v[6:9], off offset:16
                                        ; implicit-def: $vgpr1_vgpr2
                                        ; implicit-def: $vgpr12_vgpr13
                                        ; implicit-def: $vgpr6_vgpr7
                                        ; implicit-def: $vgpr8_vgpr9
.LBB57_21:
	s_wait_alu 0xfffe
	s_and_not1_saveexec_b32 s2, s2
	s_cbranch_execz .LBB57_23
; %bb.22:
	v_lshlrev_b32_e32 v14, 2, v5
	v_mul_f64_e32 v[12:13], v[1:2], v[12:13]
	v_mul_f64_e32 v[10:11], v[1:2], v[10:11]
	;; [unrolled: 1-line block ×4, first 2 shown]
	v_ashrrev_i32_e32 v15, 31, v14
	s_delay_alu instid0(VALU_DEP_1) | instskip(SKIP_1) | instid1(VALU_DEP_1)
	v_lshlrev_b64_e32 v[14:15], 3, v[14:15]
	s_wait_kmcnt 0x0
	v_add_co_u32 v22, vcc_lo, s0, v14
	s_wait_alu 0xfffd
	s_delay_alu instid0(VALU_DEP_2)
	v_add_co_ci_u32_e64 v23, null, s1, v15, vcc_lo
	s_clause 0x1
	global_load_b128 v[14:17], v[22:23], off
	global_load_b128 v[18:21], v[22:23], off offset:16
	s_wait_loadcnt 0x1
	v_fma_f64 v[5:6], v[3:4], v[14:15], v[12:13]
	v_fma_f64 v[7:8], v[3:4], v[16:17], v[10:11]
	s_wait_loadcnt 0x0
	v_fma_f64 v[0:1], v[3:4], v[18:19], v[24:25]
	v_fma_f64 v[2:3], v[3:4], v[20:21], v[26:27]
	s_clause 0x1
	global_store_b128 v[22:23], v[5:8], off
	global_store_b128 v[22:23], v[0:3], off offset:16
.LBB57_23:
	s_endpgm
	.section	.rodata,"a",@progbits
	.p2align	6, 0x0
	.amdhsa_kernel _ZN9rocsparseL19gebsrmvn_4xn_kernelILj128ELj6ELj4EdEEvi20rocsparse_direction_NS_24const_host_device_scalarIT2_EEPKiS6_PKS3_S8_S4_PS3_21rocsparse_index_base_b
		.amdhsa_group_segment_fixed_size 0
		.amdhsa_private_segment_fixed_size 0
		.amdhsa_kernarg_size 72
		.amdhsa_user_sgpr_count 2
		.amdhsa_user_sgpr_dispatch_ptr 0
		.amdhsa_user_sgpr_queue_ptr 0
		.amdhsa_user_sgpr_kernarg_segment_ptr 1
		.amdhsa_user_sgpr_dispatch_id 0
		.amdhsa_user_sgpr_private_segment_size 0
		.amdhsa_wavefront_size32 1
		.amdhsa_uses_dynamic_stack 0
		.amdhsa_enable_private_segment 0
		.amdhsa_system_sgpr_workgroup_id_x 1
		.amdhsa_system_sgpr_workgroup_id_y 0
		.amdhsa_system_sgpr_workgroup_id_z 0
		.amdhsa_system_sgpr_workgroup_info 0
		.amdhsa_system_vgpr_workitem_id 0
		.amdhsa_next_free_vgpr 82
		.amdhsa_next_free_sgpr 14
		.amdhsa_reserve_vcc 1
		.amdhsa_float_round_mode_32 0
		.amdhsa_float_round_mode_16_64 0
		.amdhsa_float_denorm_mode_32 3
		.amdhsa_float_denorm_mode_16_64 3
		.amdhsa_fp16_overflow 0
		.amdhsa_workgroup_processor_mode 1
		.amdhsa_memory_ordered 1
		.amdhsa_forward_progress 1
		.amdhsa_inst_pref_size 25
		.amdhsa_round_robin_scheduling 0
		.amdhsa_exception_fp_ieee_invalid_op 0
		.amdhsa_exception_fp_denorm_src 0
		.amdhsa_exception_fp_ieee_div_zero 0
		.amdhsa_exception_fp_ieee_overflow 0
		.amdhsa_exception_fp_ieee_underflow 0
		.amdhsa_exception_fp_ieee_inexact 0
		.amdhsa_exception_int_div_zero 0
	.end_amdhsa_kernel
	.section	.text._ZN9rocsparseL19gebsrmvn_4xn_kernelILj128ELj6ELj4EdEEvi20rocsparse_direction_NS_24const_host_device_scalarIT2_EEPKiS6_PKS3_S8_S4_PS3_21rocsparse_index_base_b,"axG",@progbits,_ZN9rocsparseL19gebsrmvn_4xn_kernelILj128ELj6ELj4EdEEvi20rocsparse_direction_NS_24const_host_device_scalarIT2_EEPKiS6_PKS3_S8_S4_PS3_21rocsparse_index_base_b,comdat
.Lfunc_end57:
	.size	_ZN9rocsparseL19gebsrmvn_4xn_kernelILj128ELj6ELj4EdEEvi20rocsparse_direction_NS_24const_host_device_scalarIT2_EEPKiS6_PKS3_S8_S4_PS3_21rocsparse_index_base_b, .Lfunc_end57-_ZN9rocsparseL19gebsrmvn_4xn_kernelILj128ELj6ELj4EdEEvi20rocsparse_direction_NS_24const_host_device_scalarIT2_EEPKiS6_PKS3_S8_S4_PS3_21rocsparse_index_base_b
                                        ; -- End function
	.set _ZN9rocsparseL19gebsrmvn_4xn_kernelILj128ELj6ELj4EdEEvi20rocsparse_direction_NS_24const_host_device_scalarIT2_EEPKiS6_PKS3_S8_S4_PS3_21rocsparse_index_base_b.num_vgpr, 82
	.set _ZN9rocsparseL19gebsrmvn_4xn_kernelILj128ELj6ELj4EdEEvi20rocsparse_direction_NS_24const_host_device_scalarIT2_EEPKiS6_PKS3_S8_S4_PS3_21rocsparse_index_base_b.num_agpr, 0
	.set _ZN9rocsparseL19gebsrmvn_4xn_kernelILj128ELj6ELj4EdEEvi20rocsparse_direction_NS_24const_host_device_scalarIT2_EEPKiS6_PKS3_S8_S4_PS3_21rocsparse_index_base_b.numbered_sgpr, 14
	.set _ZN9rocsparseL19gebsrmvn_4xn_kernelILj128ELj6ELj4EdEEvi20rocsparse_direction_NS_24const_host_device_scalarIT2_EEPKiS6_PKS3_S8_S4_PS3_21rocsparse_index_base_b.num_named_barrier, 0
	.set _ZN9rocsparseL19gebsrmvn_4xn_kernelILj128ELj6ELj4EdEEvi20rocsparse_direction_NS_24const_host_device_scalarIT2_EEPKiS6_PKS3_S8_S4_PS3_21rocsparse_index_base_b.private_seg_size, 0
	.set _ZN9rocsparseL19gebsrmvn_4xn_kernelILj128ELj6ELj4EdEEvi20rocsparse_direction_NS_24const_host_device_scalarIT2_EEPKiS6_PKS3_S8_S4_PS3_21rocsparse_index_base_b.uses_vcc, 1
	.set _ZN9rocsparseL19gebsrmvn_4xn_kernelILj128ELj6ELj4EdEEvi20rocsparse_direction_NS_24const_host_device_scalarIT2_EEPKiS6_PKS3_S8_S4_PS3_21rocsparse_index_base_b.uses_flat_scratch, 0
	.set _ZN9rocsparseL19gebsrmvn_4xn_kernelILj128ELj6ELj4EdEEvi20rocsparse_direction_NS_24const_host_device_scalarIT2_EEPKiS6_PKS3_S8_S4_PS3_21rocsparse_index_base_b.has_dyn_sized_stack, 0
	.set _ZN9rocsparseL19gebsrmvn_4xn_kernelILj128ELj6ELj4EdEEvi20rocsparse_direction_NS_24const_host_device_scalarIT2_EEPKiS6_PKS3_S8_S4_PS3_21rocsparse_index_base_b.has_recursion, 0
	.set _ZN9rocsparseL19gebsrmvn_4xn_kernelILj128ELj6ELj4EdEEvi20rocsparse_direction_NS_24const_host_device_scalarIT2_EEPKiS6_PKS3_S8_S4_PS3_21rocsparse_index_base_b.has_indirect_call, 0
	.section	.AMDGPU.csdata,"",@progbits
; Kernel info:
; codeLenInByte = 3200
; TotalNumSgprs: 16
; NumVgprs: 82
; ScratchSize: 0
; MemoryBound: 1
; FloatMode: 240
; IeeeMode: 1
; LDSByteSize: 0 bytes/workgroup (compile time only)
; SGPRBlocks: 0
; VGPRBlocks: 10
; NumSGPRsForWavesPerEU: 16
; NumVGPRsForWavesPerEU: 82
; Occupancy: 16
; WaveLimiterHint : 1
; COMPUTE_PGM_RSRC2:SCRATCH_EN: 0
; COMPUTE_PGM_RSRC2:USER_SGPR: 2
; COMPUTE_PGM_RSRC2:TRAP_HANDLER: 0
; COMPUTE_PGM_RSRC2:TGID_X_EN: 1
; COMPUTE_PGM_RSRC2:TGID_Y_EN: 0
; COMPUTE_PGM_RSRC2:TGID_Z_EN: 0
; COMPUTE_PGM_RSRC2:TIDIG_COMP_CNT: 0
	.section	.text._ZN9rocsparseL19gebsrmvn_4xn_kernelILj128ELj6ELj8EdEEvi20rocsparse_direction_NS_24const_host_device_scalarIT2_EEPKiS6_PKS3_S8_S4_PS3_21rocsparse_index_base_b,"axG",@progbits,_ZN9rocsparseL19gebsrmvn_4xn_kernelILj128ELj6ELj8EdEEvi20rocsparse_direction_NS_24const_host_device_scalarIT2_EEPKiS6_PKS3_S8_S4_PS3_21rocsparse_index_base_b,comdat
	.globl	_ZN9rocsparseL19gebsrmvn_4xn_kernelILj128ELj6ELj8EdEEvi20rocsparse_direction_NS_24const_host_device_scalarIT2_EEPKiS6_PKS3_S8_S4_PS3_21rocsparse_index_base_b ; -- Begin function _ZN9rocsparseL19gebsrmvn_4xn_kernelILj128ELj6ELj8EdEEvi20rocsparse_direction_NS_24const_host_device_scalarIT2_EEPKiS6_PKS3_S8_S4_PS3_21rocsparse_index_base_b
	.p2align	8
	.type	_ZN9rocsparseL19gebsrmvn_4xn_kernelILj128ELj6ELj8EdEEvi20rocsparse_direction_NS_24const_host_device_scalarIT2_EEPKiS6_PKS3_S8_S4_PS3_21rocsparse_index_base_b,@function
_ZN9rocsparseL19gebsrmvn_4xn_kernelILj128ELj6ELj8EdEEvi20rocsparse_direction_NS_24const_host_device_scalarIT2_EEPKiS6_PKS3_S8_S4_PS3_21rocsparse_index_base_b: ; @_ZN9rocsparseL19gebsrmvn_4xn_kernelILj128ELj6ELj8EdEEvi20rocsparse_direction_NS_24const_host_device_scalarIT2_EEPKiS6_PKS3_S8_S4_PS3_21rocsparse_index_base_b
; %bb.0:
	s_clause 0x2
	s_load_b64 s[12:13], s[0:1], 0x40
	s_load_b64 s[4:5], s[0:1], 0x8
	;; [unrolled: 1-line block ×3, first 2 shown]
	s_wait_kmcnt 0x0
	s_bitcmp1_b32 s13, 0
	v_dual_mov_b32 v1, s4 :: v_dual_mov_b32 v2, s5
	s_cselect_b32 s6, -1, 0
	s_delay_alu instid0(SALU_CYCLE_1)
	s_and_b32 vcc_lo, exec_lo, s6
	s_xor_b32 s6, s6, -1
	s_cbranch_vccnz .LBB58_2
; %bb.1:
	v_dual_mov_b32 v1, s4 :: v_dual_mov_b32 v2, s5
	flat_load_b64 v[1:2], v[1:2]
.LBB58_2:
	v_dual_mov_b32 v4, s3 :: v_dual_mov_b32 v3, s2
	s_and_not1_b32 vcc_lo, exec_lo, s6
	s_cbranch_vccnz .LBB58_4
; %bb.3:
	v_dual_mov_b32 v4, s3 :: v_dual_mov_b32 v3, s2
	flat_load_b64 v[3:4], v[3:4]
.LBB58_4:
	s_wait_loadcnt_dscnt 0x0
	v_cmp_neq_f64_e32 vcc_lo, 0, v[1:2]
	v_cmp_neq_f64_e64 s2, 1.0, v[3:4]
	s_or_b32 s2, vcc_lo, s2
	s_wait_alu 0xfffe
	s_and_saveexec_b32 s3, s2
	s_cbranch_execz .LBB58_23
; %bb.5:
	s_load_b64 s[2:3], s[0:1], 0x0
	v_lshrrev_b32_e32 v5, 3, v0
	s_delay_alu instid0(VALU_DEP_1) | instskip(SKIP_1) | instid1(VALU_DEP_1)
	v_lshl_or_b32 v5, ttmp9, 4, v5
	s_wait_kmcnt 0x0
	v_cmp_gt_i32_e32 vcc_lo, s2, v5
	s_and_b32 exec_lo, exec_lo, vcc_lo
	s_cbranch_execz .LBB58_23
; %bb.6:
	s_load_b256 s[4:11], s[0:1], 0x10
	v_ashrrev_i32_e32 v6, 31, v5
	v_and_b32_e32 v0, 7, v0
	s_cmp_lg_u32 s3, 0
	s_delay_alu instid0(VALU_DEP_2) | instskip(SKIP_1) | instid1(VALU_DEP_1)
	v_lshlrev_b64_e32 v[6:7], 2, v[5:6]
	s_wait_kmcnt 0x0
	v_add_co_u32 v6, vcc_lo, s4, v6
	s_delay_alu instid0(VALU_DEP_1) | instskip(SKIP_4) | instid1(VALU_DEP_2)
	v_add_co_ci_u32_e64 v7, null, s5, v7, vcc_lo
	global_load_b64 v[6:7], v[6:7], off
	s_wait_loadcnt 0x0
	v_subrev_nc_u32_e32 v6, s12, v6
	v_subrev_nc_u32_e32 v21, s12, v7
	v_add_nc_u32_e32 v8, v6, v0
	s_delay_alu instid0(VALU_DEP_1)
	v_cmp_lt_i32_e64 s2, v8, v21
	s_cbranch_scc0 .LBB58_12
; %bb.7:
	v_mov_b32_e32 v6, 0
	v_dual_mov_b32 v12, 0 :: v_dual_mov_b32 v7, 0
	v_dual_mov_b32 v10, 0 :: v_dual_mov_b32 v13, 0
	;; [unrolled: 1-line block ×3, first 2 shown]
	v_mov_b32_e32 v15, 0
	s_and_saveexec_b32 s3, s2
	s_cbranch_execz .LBB58_11
; %bb.8:
	v_mad_co_u64_u32 v[16:17], null, v8, 24, 20
	v_mov_b32_e32 v6, 0
	v_mov_b32_e32 v10, 0
	;; [unrolled: 1-line block ×3, first 2 shown]
	v_dual_mov_b32 v14, 0 :: v_dual_mov_b32 v19, v8
	v_dual_mov_b32 v7, 0 :: v_dual_mov_b32 v18, 0
	v_mov_b32_e32 v11, 0
	v_mov_b32_e32 v13, 0
	;; [unrolled: 1-line block ×3, first 2 shown]
	s_mov_b32 s4, 0
.LBB58_9:                               ; =>This Inner Loop Header: Depth=1
	v_ashrrev_i32_e32 v20, 31, v19
	v_subrev_nc_u32_e32 v17, 20, v16
	v_mov_b32_e32 v63, v18
	s_delay_alu instid0(VALU_DEP_3) | instskip(SKIP_1) | instid1(VALU_DEP_2)
	v_lshlrev_b64_e32 v[22:23], 2, v[19:20]
	v_add_nc_u32_e32 v19, 8, v19
	v_add_co_u32 v22, vcc_lo, s6, v22
	s_wait_alu 0xfffd
	s_delay_alu instid0(VALU_DEP_3) | instskip(SKIP_3) | instid1(VALU_DEP_1)
	v_add_co_ci_u32_e64 v23, null, s7, v23, vcc_lo
	global_load_b32 v9, v[22:23], off
	v_lshlrev_b64_e32 v[22:23], 3, v[17:18]
	v_add_nc_u32_e32 v17, -12, v16
	v_lshlrev_b64_e32 v[42:43], 3, v[17:18]
	s_delay_alu instid0(VALU_DEP_3) | instskip(SKIP_1) | instid1(VALU_DEP_4)
	v_add_co_u32 v38, vcc_lo, s8, v22
	s_wait_alu 0xfffd
	v_add_co_ci_u32_e64 v39, null, s9, v23, vcc_lo
	global_load_b128 v[22:25], v[38:39], off offset:16
	s_wait_loadcnt 0x1
	v_subrev_nc_u32_e32 v9, s12, v9
	s_delay_alu instid0(VALU_DEP_1) | instskip(NEXT) | instid1(VALU_DEP_1)
	v_mul_lo_u32 v62, v9, 6
	v_lshlrev_b64_e32 v[26:27], 3, v[62:63]
	v_add_nc_u32_e32 v17, 2, v62
	s_delay_alu instid0(VALU_DEP_1) | instskip(NEXT) | instid1(VALU_DEP_3)
	v_lshlrev_b64_e32 v[48:49], 3, v[17:18]
	v_add_co_u32 v30, vcc_lo, s10, v26
	s_wait_alu 0xfffd
	s_delay_alu instid0(VALU_DEP_4)
	v_add_co_ci_u32_e64 v31, null, s11, v27, vcc_lo
	v_add_co_u32 v46, vcc_lo, s8, v42
	global_load_b128 v[26:29], v[38:39], off
	global_load_b128 v[30:33], v[30:31], off
	s_clause 0x1
	global_load_b128 v[34:37], v[38:39], off offset:48
	global_load_b128 v[38:41], v[38:39], off offset:32
	s_wait_alu 0xfffd
	v_add_co_ci_u32_e64 v47, null, s9, v43, vcc_lo
	v_add_co_u32 v50, vcc_lo, s10, v48
	s_wait_alu 0xfffd
	v_add_co_ci_u32_e64 v51, null, s11, v49, vcc_lo
	s_clause 0x1
	global_load_b128 v[42:45], v[46:47], off offset:16
	global_load_b128 v[46:49], v[46:47], off
	global_load_b128 v[50:53], v[50:51], off
	v_add_nc_u32_e32 v17, -8, v16
	s_delay_alu instid0(VALU_DEP_1) | instskip(SKIP_1) | instid1(VALU_DEP_2)
	v_lshlrev_b64_e32 v[54:55], 3, v[17:18]
	v_add_nc_u32_e32 v17, -4, v16
	v_add_co_u32 v58, vcc_lo, s8, v54
	s_wait_alu 0xfffd
	s_delay_alu instid0(VALU_DEP_3)
	v_add_co_ci_u32_e64 v59, null, s9, v55, vcc_lo
	s_clause 0x1
	global_load_b128 v[54:57], v[58:59], off
	global_load_b128 v[58:61], v[58:59], off offset:16
	v_lshlrev_b64_e32 v[63:64], 3, v[17:18]
	v_add_nc_u32_e32 v17, 4, v62
	s_delay_alu instid0(VALU_DEP_1) | instskip(NEXT) | instid1(VALU_DEP_3)
	v_lshlrev_b64_e32 v[65:66], 3, v[17:18]
	v_add_co_u32 v67, vcc_lo, s8, v63
	s_wait_alu 0xfffd
	s_delay_alu instid0(VALU_DEP_4) | instskip(SKIP_1) | instid1(VALU_DEP_4)
	v_add_co_ci_u32_e64 v68, null, s9, v64, vcc_lo
	v_mov_b32_e32 v17, v18
	v_add_co_u32 v70, vcc_lo, s10, v65
	s_wait_alu 0xfffd
	v_add_co_ci_u32_e64 v71, null, s11, v66, vcc_lo
	s_clause 0x1
	global_load_b128 v[62:65], v[67:68], off offset:16
	global_load_b128 v[66:69], v[67:68], off
	global_load_b128 v[70:73], v[70:71], off
	v_lshlrev_b64_e32 v[74:75], 3, v[16:17]
	v_add_nc_u32_e32 v16, 0xc0, v16
	s_delay_alu instid0(VALU_DEP_2) | instskip(SKIP_1) | instid1(VALU_DEP_3)
	v_add_co_u32 v78, vcc_lo, s8, v74
	s_wait_alu 0xfffd
	v_add_co_ci_u32_e64 v79, null, s9, v75, vcc_lo
	s_clause 0x1
	global_load_b128 v[74:77], v[78:79], off
	global_load_b128 v[78:81], v[78:79], off offset:16
	v_cmp_ge_i32_e32 vcc_lo, v19, v21
	s_wait_alu 0xfffe
	s_or_b32 s4, vcc_lo, s4
	s_wait_loadcnt 0xc
	v_fma_f64 v[6:7], v[26:27], v[30:31], v[6:7]
	v_fma_f64 v[14:15], v[28:29], v[30:31], v[14:15]
	;; [unrolled: 1-line block ×4, first 2 shown]
	s_wait_loadcnt 0xa
	s_delay_alu instid0(VALU_DEP_4) | instskip(NEXT) | instid1(VALU_DEP_4)
	v_fma_f64 v[6:7], v[38:39], v[32:33], v[6:7]
	v_fma_f64 v[14:15], v[40:41], v[32:33], v[14:15]
	s_delay_alu instid0(VALU_DEP_4) | instskip(NEXT) | instid1(VALU_DEP_4)
	v_fma_f64 v[11:12], v[34:35], v[32:33], v[12:13]
	v_fma_f64 v[9:10], v[36:37], v[32:33], v[9:10]
	s_wait_loadcnt 0x7
	s_delay_alu instid0(VALU_DEP_4) | instskip(NEXT) | instid1(VALU_DEP_4)
	v_fma_f64 v[6:7], v[46:47], v[50:51], v[6:7]
	v_fma_f64 v[13:14], v[48:49], v[50:51], v[14:15]
	s_delay_alu instid0(VALU_DEP_4) | instskip(NEXT) | instid1(VALU_DEP_4)
	v_fma_f64 v[11:12], v[42:43], v[50:51], v[11:12]
	v_fma_f64 v[9:10], v[44:45], v[50:51], v[9:10]
	s_wait_loadcnt 0x6
	s_delay_alu instid0(VALU_DEP_4) | instskip(NEXT) | instid1(VALU_DEP_4)
	v_fma_f64 v[6:7], v[54:55], v[52:53], v[6:7]
	v_fma_f64 v[13:14], v[56:57], v[52:53], v[13:14]
	s_wait_loadcnt 0x5
	;; [unrolled: 4-line block ×3, first 2 shown]
	s_delay_alu instid0(VALU_DEP_4) | instskip(NEXT) | instid1(VALU_DEP_4)
	v_fma_f64 v[6:7], v[66:67], v[70:71], v[6:7]
	v_fma_f64 v[13:14], v[68:69], v[70:71], v[13:14]
	s_delay_alu instid0(VALU_DEP_4) | instskip(NEXT) | instid1(VALU_DEP_4)
	v_fma_f64 v[11:12], v[62:63], v[70:71], v[11:12]
	v_fma_f64 v[9:10], v[64:65], v[70:71], v[9:10]
	s_wait_loadcnt 0x1
	s_delay_alu instid0(VALU_DEP_4) | instskip(NEXT) | instid1(VALU_DEP_4)
	v_fma_f64 v[6:7], v[74:75], v[72:73], v[6:7]
	v_fma_f64 v[14:15], v[76:77], v[72:73], v[13:14]
	s_wait_loadcnt 0x0
	s_delay_alu instid0(VALU_DEP_4) | instskip(NEXT) | instid1(VALU_DEP_4)
	v_fma_f64 v[12:13], v[78:79], v[72:73], v[11:12]
	v_fma_f64 v[10:11], v[80:81], v[72:73], v[9:10]
	s_wait_alu 0xfffe
	s_and_not1_b32 exec_lo, exec_lo, s4
	s_cbranch_execnz .LBB58_9
; %bb.10:
	s_or_b32 exec_lo, exec_lo, s4
.LBB58_11:
	s_wait_alu 0xfffe
	s_or_b32 exec_lo, exec_lo, s3
	s_cbranch_execz .LBB58_13
	s_branch .LBB58_18
.LBB58_12:
                                        ; implicit-def: $vgpr6_vgpr7
                                        ; implicit-def: $vgpr10_vgpr11
                                        ; implicit-def: $vgpr12_vgpr13
                                        ; implicit-def: $vgpr14_vgpr15
.LBB58_13:
	v_mov_b32_e32 v6, 0
	v_dual_mov_b32 v12, 0 :: v_dual_mov_b32 v7, 0
	v_dual_mov_b32 v10, 0 :: v_dual_mov_b32 v13, 0
	;; [unrolled: 1-line block ×3, first 2 shown]
	v_mov_b32_e32 v15, 0
	s_and_saveexec_b32 s3, s2
	s_cbranch_execz .LBB58_17
; %bb.14:
	v_mad_co_u64_u32 v[16:17], null, v8, 24, 23
	v_mov_b32_e32 v6, 0
	v_dual_mov_b32 v12, 0 :: v_dual_mov_b32 v7, 0
	v_dual_mov_b32 v10, 0 :: v_dual_mov_b32 v13, 0
	;; [unrolled: 1-line block ×4, first 2 shown]
	s_mov_b32 s2, 0
.LBB58_15:                              ; =>This Inner Loop Header: Depth=1
	v_ashrrev_i32_e32 v9, 31, v8
	v_subrev_nc_u32_e32 v17, 23, v16
	s_delay_alu instid0(VALU_DEP_3) | instskip(SKIP_1) | instid1(VALU_DEP_4)
	v_dual_mov_b32 v43, v18 :: v_dual_add_nc_u32 v22, -5, v16
	v_mov_b32_e32 v23, v18
	v_lshlrev_b64_e32 v[19:20], 2, v[8:9]
	s_delay_alu instid0(VALU_DEP_4)
	v_lshlrev_b64_e32 v[24:25], 3, v[17:18]
	v_add_nc_u32_e32 v8, 8, v8
	v_add_nc_u32_e32 v17, -10, v16
	v_lshlrev_b64_e32 v[22:23], 3, v[22:23]
	v_add_co_u32 v19, vcc_lo, s6, v19
	s_wait_alu 0xfffd
	v_add_co_ci_u32_e64 v20, null, s7, v20, vcc_lo
	v_add_co_u32 v44, vcc_lo, s8, v24
	s_wait_alu 0xfffd
	v_add_co_ci_u32_e64 v45, null, s9, v25, vcc_lo
	global_load_b32 v9, v[19:20], off
	v_dual_mov_b32 v20, v18 :: v_dual_add_nc_u32 v19, -11, v16
	v_lshlrev_b64_e32 v[38:39], 3, v[17:18]
	v_add_nc_u32_e32 v17, -4, v16
	s_delay_alu instid0(VALU_DEP_3) | instskip(NEXT) | instid1(VALU_DEP_2)
	v_lshlrev_b64_e32 v[19:20], 3, v[19:20]
	v_lshlrev_b64_e32 v[40:41], 3, v[17:18]
	s_delay_alu instid0(VALU_DEP_2) | instskip(SKIP_1) | instid1(VALU_DEP_3)
	v_add_co_u32 v19, vcc_lo, s8, v19
	s_wait_alu 0xfffd
	v_add_co_ci_u32_e64 v20, null, s9, v20, vcc_lo
	v_add_co_u32 v34, vcc_lo, s8, v22
	s_wait_alu 0xfffd
	v_add_co_ci_u32_e64 v35, null, s9, v23, vcc_lo
	s_clause 0x3
	global_load_b128 v[22:25], v[44:45], off offset:48
	global_load_b128 v[26:29], v[44:45], off offset:16
	global_load_b128 v[30:33], v[44:45], off
	global_load_b64 v[19:20], v[19:20], off
	s_wait_loadcnt 0x4
	v_subrev_nc_u32_e32 v9, s12, v9
	s_delay_alu instid0(VALU_DEP_1) | instskip(NEXT) | instid1(VALU_DEP_1)
	v_mul_lo_u32 v42, v9, 6
	v_lshlrev_b64_e32 v[36:37], 3, v[42:43]
	v_add_nc_u32_e32 v17, 2, v42
	s_delay_alu instid0(VALU_DEP_2) | instskip(SKIP_1) | instid1(VALU_DEP_3)
	v_add_co_u32 v36, vcc_lo, s10, v36
	s_wait_alu 0xfffd
	v_add_co_ci_u32_e64 v37, null, s11, v37, vcc_lo
	v_add_co_u32 v38, vcc_lo, s8, v38
	global_load_b64 v[50:51], v[34:35], off
	global_load_b128 v[34:37], v[36:37], off
	s_wait_alu 0xfffd
	v_add_co_ci_u32_e64 v39, null, s9, v39, vcc_lo
	v_add_co_u32 v40, vcc_lo, s8, v40
	s_wait_alu 0xfffd
	v_add_co_ci_u32_e64 v41, null, s9, v41, vcc_lo
	s_clause 0x1
	global_load_b64 v[52:53], v[38:39], off
	global_load_b64 v[54:55], v[40:41], off
	v_lshlrev_b64_e32 v[38:39], 3, v[17:18]
	v_add_nc_u32_e32 v17, -15, v16
	s_delay_alu instid0(VALU_DEP_1) | instskip(SKIP_1) | instid1(VALU_DEP_4)
	v_lshlrev_b64_e32 v[40:41], 3, v[17:18]
	v_add_nc_u32_e32 v17, -9, v16
	v_add_co_u32 v38, vcc_lo, s10, v38
	s_wait_alu 0xfffd
	v_add_co_ci_u32_e64 v39, null, s11, v39, vcc_lo
	s_delay_alu instid0(VALU_DEP_3) | instskip(SKIP_4) | instid1(VALU_DEP_3)
	v_lshlrev_b64_e32 v[46:47], 3, v[17:18]
	v_add_nc_u32_e32 v17, -3, v16
	v_add_co_u32 v48, vcc_lo, s8, v40
	s_wait_alu 0xfffd
	v_add_co_ci_u32_e64 v49, null, s9, v41, vcc_lo
	v_lshlrev_b64_e32 v[40:41], 3, v[17:18]
	v_add_co_u32 v46, vcc_lo, s8, v46
	s_wait_alu 0xfffd
	v_add_co_ci_u32_e64 v47, null, s9, v47, vcc_lo
	v_add_nc_u32_e32 v17, -14, v16
	s_delay_alu instid0(VALU_DEP_4)
	v_add_co_u32 v56, vcc_lo, s8, v40
	s_wait_alu 0xfffd
	v_add_co_ci_u32_e64 v57, null, s9, v41, vcc_lo
	global_load_b128 v[38:41], v[38:39], off
	s_clause 0x2
	global_load_b64 v[58:59], v[48:49], off
	global_load_b64 v[60:61], v[46:47], off
	;; [unrolled: 1-line block ×3, first 2 shown]
	v_lshlrev_b64_e32 v[46:47], 3, v[17:18]
	v_add_nc_u32_e32 v17, -8, v16
	s_delay_alu instid0(VALU_DEP_1) | instskip(SKIP_1) | instid1(VALU_DEP_4)
	v_lshlrev_b64_e32 v[48:49], 3, v[17:18]
	v_add_nc_u32_e32 v17, -2, v16
	v_add_co_u32 v46, vcc_lo, s8, v46
	s_wait_alu 0xfffd
	v_add_co_ci_u32_e64 v47, null, s9, v47, vcc_lo
	s_delay_alu instid0(VALU_DEP_3) | instskip(SKIP_4) | instid1(VALU_DEP_4)
	v_lshlrev_b64_e32 v[62:63], 3, v[17:18]
	v_add_co_u32 v48, vcc_lo, s8, v48
	s_wait_alu 0xfffd
	v_add_co_ci_u32_e64 v49, null, s9, v49, vcc_lo
	v_add_nc_u32_e32 v17, 4, v42
	v_add_co_u32 v62, vcc_lo, s8, v62
	s_wait_alu 0xfffd
	v_add_co_ci_u32_e64 v63, null, s9, v63, vcc_lo
	s_clause 0x2
	global_load_b64 v[64:65], v[46:47], off
	global_load_b64 v[66:67], v[48:49], off
	;; [unrolled: 1-line block ×3, first 2 shown]
	v_lshlrev_b64_e32 v[42:43], 3, v[17:18]
	v_add_nc_u32_e32 v17, -13, v16
	s_delay_alu instid0(VALU_DEP_1) | instskip(SKIP_1) | instid1(VALU_DEP_4)
	v_lshlrev_b64_e32 v[46:47], 3, v[17:18]
	v_add_nc_u32_e32 v17, -7, v16
	v_add_co_u32 v48, vcc_lo, s10, v42
	s_wait_alu 0xfffd
	v_add_co_ci_u32_e64 v49, null, s11, v43, vcc_lo
	s_delay_alu instid0(VALU_DEP_3) | instskip(SKIP_4) | instid1(VALU_DEP_3)
	v_lshlrev_b64_e32 v[42:43], 3, v[17:18]
	v_add_nc_u32_e32 v17, -1, v16
	v_add_co_u32 v68, vcc_lo, s8, v46
	s_wait_alu 0xfffd
	v_add_co_ci_u32_e64 v69, null, s9, v47, vcc_lo
	v_lshlrev_b64_e32 v[46:47], 3, v[17:18]
	v_add_co_u32 v70, vcc_lo, s8, v42
	s_wait_alu 0xfffd
	v_add_co_ci_u32_e64 v71, null, s9, v43, vcc_lo
	v_mov_b32_e32 v17, v18
	s_delay_alu instid0(VALU_DEP_4)
	v_add_co_u32 v72, vcc_lo, s8, v46
	s_wait_alu 0xfffd
	v_add_co_ci_u32_e64 v73, null, s9, v47, vcc_lo
	global_load_b128 v[42:45], v[44:45], off offset:32
	global_load_b128 v[46:49], v[48:49], off
	s_clause 0x2
	global_load_b64 v[68:69], v[68:69], off
	global_load_b64 v[70:71], v[70:71], off
	;; [unrolled: 1-line block ×3, first 2 shown]
	v_lshlrev_b64_e32 v[74:75], 3, v[16:17]
	v_add_nc_u32_e32 v17, -12, v16
	s_delay_alu instid0(VALU_DEP_1) | instskip(SKIP_1) | instid1(VALU_DEP_4)
	v_lshlrev_b64_e32 v[76:77], 3, v[17:18]
	v_add_nc_u32_e32 v17, -6, v16
	v_add_co_u32 v74, vcc_lo, s8, v74
	s_wait_alu 0xfffd
	v_add_co_ci_u32_e64 v75, null, s9, v75, vcc_lo
	s_delay_alu instid0(VALU_DEP_3) | instskip(SKIP_4) | instid1(VALU_DEP_4)
	v_lshlrev_b64_e32 v[78:79], 3, v[17:18]
	v_add_co_u32 v76, vcc_lo, s8, v76
	s_wait_alu 0xfffd
	v_add_co_ci_u32_e64 v77, null, s9, v77, vcc_lo
	v_add_nc_u32_e32 v16, 0xc0, v16
	v_add_co_u32 v78, vcc_lo, s8, v78
	s_wait_alu 0xfffd
	v_add_co_ci_u32_e64 v79, null, s9, v79, vcc_lo
	s_clause 0x2
	global_load_b64 v[76:77], v[76:77], off
	global_load_b64 v[78:79], v[78:79], off
	;; [unrolled: 1-line block ×3, first 2 shown]
	v_cmp_ge_i32_e32 vcc_lo, v8, v21
	s_wait_alu 0xfffe
	s_or_b32 s2, vcc_lo, s2
	s_wait_loadcnt 0x11
	v_fma_f64 v[6:7], v[30:31], v[34:35], v[6:7]
	v_fma_f64 v[14:15], v[22:23], v[34:35], v[14:15]
	;; [unrolled: 1-line block ×4, first 2 shown]
	s_delay_alu instid0(VALU_DEP_4) | instskip(NEXT) | instid1(VALU_DEP_4)
	v_fma_f64 v[6:7], v[32:33], v[36:37], v[6:7]
	v_fma_f64 v[14:15], v[24:25], v[36:37], v[14:15]
	s_wait_loadcnt 0x10
	s_delay_alu instid0(VALU_DEP_4) | instskip(SKIP_1) | instid1(VALU_DEP_4)
	v_fma_f64 v[11:12], v[52:53], v[36:37], v[12:13]
	s_wait_loadcnt 0xf
	v_fma_f64 v[9:10], v[54:55], v[36:37], v[9:10]
	s_wait_loadcnt 0xe
	s_delay_alu instid0(VALU_DEP_4) | instskip(SKIP_1) | instid1(VALU_DEP_4)
	v_fma_f64 v[6:7], v[26:27], v[38:39], v[6:7]
	s_wait_loadcnt 0xd
	;; [unrolled: 5-line block ×3, first 2 shown]
	v_fma_f64 v[9:10], v[56:57], v[38:39], v[9:10]
	s_delay_alu instid0(VALU_DEP_4) | instskip(SKIP_1) | instid1(VALU_DEP_4)
	v_fma_f64 v[6:7], v[28:29], v[40:41], v[6:7]
	s_wait_loadcnt 0xa
	v_fma_f64 v[13:14], v[64:65], v[40:41], v[13:14]
	s_wait_loadcnt 0x9
	s_delay_alu instid0(VALU_DEP_4) | instskip(SKIP_1) | instid1(VALU_DEP_4)
	v_fma_f64 v[11:12], v[66:67], v[40:41], v[11:12]
	s_wait_loadcnt 0x8
	v_fma_f64 v[9:10], v[62:63], v[40:41], v[9:10]
	s_wait_loadcnt 0x6
	;; [unrolled: 5-line block ×3, first 2 shown]
	s_delay_alu instid0(VALU_DEP_4) | instskip(SKIP_1) | instid1(VALU_DEP_4)
	v_fma_f64 v[11:12], v[70:71], v[46:47], v[11:12]
	s_wait_loadcnt 0x3
	v_fma_f64 v[9:10], v[72:73], v[46:47], v[9:10]
	s_delay_alu instid0(VALU_DEP_4) | instskip(SKIP_1) | instid1(VALU_DEP_4)
	v_fma_f64 v[6:7], v[44:45], v[48:49], v[6:7]
	s_wait_loadcnt 0x2
	v_fma_f64 v[14:15], v[76:77], v[48:49], v[13:14]
	s_wait_loadcnt 0x1
	s_delay_alu instid0(VALU_DEP_4) | instskip(SKIP_1) | instid1(VALU_DEP_4)
	v_fma_f64 v[12:13], v[78:79], v[48:49], v[11:12]
	s_wait_loadcnt 0x0
	v_fma_f64 v[10:11], v[74:75], v[48:49], v[9:10]
	s_wait_alu 0xfffe
	s_and_not1_b32 exec_lo, exec_lo, s2
	s_cbranch_execnz .LBB58_15
; %bb.16:
	s_or_b32 exec_lo, exec_lo, s2
.LBB58_17:
	s_wait_alu 0xfffe
	s_or_b32 exec_lo, exec_lo, s3
.LBB58_18:
	v_mbcnt_lo_u32_b32 v24, -1, 0
	s_delay_alu instid0(VALU_DEP_1) | instskip(NEXT) | instid1(VALU_DEP_1)
	v_xor_b32_e32 v8, 4, v24
	v_cmp_gt_i32_e32 vcc_lo, 32, v8
	s_wait_alu 0xfffd
	v_cndmask_b32_e32 v8, v24, v8, vcc_lo
	s_delay_alu instid0(VALU_DEP_1)
	v_lshlrev_b32_e32 v21, 2, v8
	ds_bpermute_b32 v8, v21, v6
	ds_bpermute_b32 v9, v21, v7
	;; [unrolled: 1-line block ×8, first 2 shown]
	s_wait_dscnt 0x6
	v_add_f64_e32 v[6:7], v[6:7], v[8:9]
	s_wait_dscnt 0x4
	v_add_f64_e32 v[8:9], v[14:15], v[16:17]
	s_wait_dscnt 0x2
	v_add_f64_e32 v[14:15], v[12:13], v[18:19]
	s_wait_dscnt 0x0
	v_add_f64_e32 v[16:17], v[10:11], v[20:21]
	v_xor_b32_e32 v10, 2, v24
	s_delay_alu instid0(VALU_DEP_1) | instskip(SKIP_2) | instid1(VALU_DEP_1)
	v_cmp_gt_i32_e32 vcc_lo, 32, v10
	s_wait_alu 0xfffd
	v_cndmask_b32_e32 v10, v24, v10, vcc_lo
	v_lshlrev_b32_e32 v12, 2, v10
	ds_bpermute_b32 v10, v12, v6
	ds_bpermute_b32 v11, v12, v7
	;; [unrolled: 1-line block ×8, first 2 shown]
	s_wait_dscnt 0x6
	v_add_f64_e32 v[12:13], v[6:7], v[10:11]
	s_wait_dscnt 0x4
	v_add_f64_e32 v[10:11], v[8:9], v[18:19]
	;; [unrolled: 2-line block ×3, first 2 shown]
	v_xor_b32_e32 v14, 1, v24
	s_wait_dscnt 0x0
	v_add_f64_e32 v[8:9], v[16:17], v[22:23]
	s_delay_alu instid0(VALU_DEP_2) | instskip(SKIP_3) | instid1(VALU_DEP_2)
	v_cmp_gt_i32_e32 vcc_lo, 32, v14
	s_wait_alu 0xfffd
	v_cndmask_b32_e32 v14, v24, v14, vcc_lo
	v_cmp_eq_u32_e32 vcc_lo, 7, v0
	v_lshlrev_b32_e32 v15, 2, v14
	ds_bpermute_b32 v20, v15, v12
	ds_bpermute_b32 v21, v15, v13
	;; [unrolled: 1-line block ×8, first 2 shown]
	s_and_b32 exec_lo, exec_lo, vcc_lo
	s_cbranch_execz .LBB58_23
; %bb.19:
	s_wait_dscnt 0x6
	v_add_f64_e32 v[12:13], v[12:13], v[20:21]
	s_wait_dscnt 0x4
	v_add_f64_e32 v[10:11], v[10:11], v[18:19]
	;; [unrolled: 2-line block ×4, first 2 shown]
	s_load_b64 s[0:1], s[0:1], 0x38
	s_mov_b32 s2, exec_lo
	v_cmpx_eq_f64_e32 0, v[3:4]
	s_wait_alu 0xfffe
	s_xor_b32 s2, exec_lo, s2
	s_cbranch_execz .LBB58_21
; %bb.20:
	v_mul_f64_e32 v[12:13], v[1:2], v[12:13]
	v_mul_f64_e32 v[14:15], v[1:2], v[10:11]
	;; [unrolled: 1-line block ×4, first 2 shown]
	v_lshlrev_b32_e32 v0, 2, v5
                                        ; implicit-def: $vgpr5
                                        ; implicit-def: $vgpr3_vgpr4
                                        ; implicit-def: $vgpr10_vgpr11
	s_delay_alu instid0(VALU_DEP_1) | instskip(NEXT) | instid1(VALU_DEP_1)
	v_ashrrev_i32_e32 v1, 31, v0
	v_lshlrev_b64_e32 v[0:1], 3, v[0:1]
	s_wait_kmcnt 0x0
	s_delay_alu instid0(VALU_DEP_1) | instskip(SKIP_1) | instid1(VALU_DEP_2)
	v_add_co_u32 v0, vcc_lo, s0, v0
	s_wait_alu 0xfffd
	v_add_co_ci_u32_e64 v1, null, s1, v1, vcc_lo
	s_clause 0x1
	global_store_b128 v[0:1], v[12:15], off
	global_store_b128 v[0:1], v[6:9], off offset:16
                                        ; implicit-def: $vgpr1_vgpr2
                                        ; implicit-def: $vgpr12_vgpr13
                                        ; implicit-def: $vgpr6_vgpr7
                                        ; implicit-def: $vgpr8_vgpr9
.LBB58_21:
	s_wait_alu 0xfffe
	s_and_not1_saveexec_b32 s2, s2
	s_cbranch_execz .LBB58_23
; %bb.22:
	v_lshlrev_b32_e32 v14, 2, v5
	v_mul_f64_e32 v[12:13], v[1:2], v[12:13]
	v_mul_f64_e32 v[10:11], v[1:2], v[10:11]
	;; [unrolled: 1-line block ×4, first 2 shown]
	v_ashrrev_i32_e32 v15, 31, v14
	s_delay_alu instid0(VALU_DEP_1) | instskip(SKIP_1) | instid1(VALU_DEP_1)
	v_lshlrev_b64_e32 v[14:15], 3, v[14:15]
	s_wait_kmcnt 0x0
	v_add_co_u32 v22, vcc_lo, s0, v14
	s_wait_alu 0xfffd
	s_delay_alu instid0(VALU_DEP_2)
	v_add_co_ci_u32_e64 v23, null, s1, v15, vcc_lo
	s_clause 0x1
	global_load_b128 v[14:17], v[22:23], off
	global_load_b128 v[18:21], v[22:23], off offset:16
	s_wait_loadcnt 0x1
	v_fma_f64 v[5:6], v[3:4], v[14:15], v[12:13]
	v_fma_f64 v[7:8], v[3:4], v[16:17], v[10:11]
	s_wait_loadcnt 0x0
	v_fma_f64 v[0:1], v[3:4], v[18:19], v[24:25]
	v_fma_f64 v[2:3], v[3:4], v[20:21], v[26:27]
	s_clause 0x1
	global_store_b128 v[22:23], v[5:8], off
	global_store_b128 v[22:23], v[0:3], off offset:16
.LBB58_23:
	s_endpgm
	.section	.rodata,"a",@progbits
	.p2align	6, 0x0
	.amdhsa_kernel _ZN9rocsparseL19gebsrmvn_4xn_kernelILj128ELj6ELj8EdEEvi20rocsparse_direction_NS_24const_host_device_scalarIT2_EEPKiS6_PKS3_S8_S4_PS3_21rocsparse_index_base_b
		.amdhsa_group_segment_fixed_size 0
		.amdhsa_private_segment_fixed_size 0
		.amdhsa_kernarg_size 72
		.amdhsa_user_sgpr_count 2
		.amdhsa_user_sgpr_dispatch_ptr 0
		.amdhsa_user_sgpr_queue_ptr 0
		.amdhsa_user_sgpr_kernarg_segment_ptr 1
		.amdhsa_user_sgpr_dispatch_id 0
		.amdhsa_user_sgpr_private_segment_size 0
		.amdhsa_wavefront_size32 1
		.amdhsa_uses_dynamic_stack 0
		.amdhsa_enable_private_segment 0
		.amdhsa_system_sgpr_workgroup_id_x 1
		.amdhsa_system_sgpr_workgroup_id_y 0
		.amdhsa_system_sgpr_workgroup_id_z 0
		.amdhsa_system_sgpr_workgroup_info 0
		.amdhsa_system_vgpr_workitem_id 0
		.amdhsa_next_free_vgpr 82
		.amdhsa_next_free_sgpr 14
		.amdhsa_reserve_vcc 1
		.amdhsa_float_round_mode_32 0
		.amdhsa_float_round_mode_16_64 0
		.amdhsa_float_denorm_mode_32 3
		.amdhsa_float_denorm_mode_16_64 3
		.amdhsa_fp16_overflow 0
		.amdhsa_workgroup_processor_mode 1
		.amdhsa_memory_ordered 1
		.amdhsa_forward_progress 1
		.amdhsa_inst_pref_size 26
		.amdhsa_round_robin_scheduling 0
		.amdhsa_exception_fp_ieee_invalid_op 0
		.amdhsa_exception_fp_denorm_src 0
		.amdhsa_exception_fp_ieee_div_zero 0
		.amdhsa_exception_fp_ieee_overflow 0
		.amdhsa_exception_fp_ieee_underflow 0
		.amdhsa_exception_fp_ieee_inexact 0
		.amdhsa_exception_int_div_zero 0
	.end_amdhsa_kernel
	.section	.text._ZN9rocsparseL19gebsrmvn_4xn_kernelILj128ELj6ELj8EdEEvi20rocsparse_direction_NS_24const_host_device_scalarIT2_EEPKiS6_PKS3_S8_S4_PS3_21rocsparse_index_base_b,"axG",@progbits,_ZN9rocsparseL19gebsrmvn_4xn_kernelILj128ELj6ELj8EdEEvi20rocsparse_direction_NS_24const_host_device_scalarIT2_EEPKiS6_PKS3_S8_S4_PS3_21rocsparse_index_base_b,comdat
.Lfunc_end58:
	.size	_ZN9rocsparseL19gebsrmvn_4xn_kernelILj128ELj6ELj8EdEEvi20rocsparse_direction_NS_24const_host_device_scalarIT2_EEPKiS6_PKS3_S8_S4_PS3_21rocsparse_index_base_b, .Lfunc_end58-_ZN9rocsparseL19gebsrmvn_4xn_kernelILj128ELj6ELj8EdEEvi20rocsparse_direction_NS_24const_host_device_scalarIT2_EEPKiS6_PKS3_S8_S4_PS3_21rocsparse_index_base_b
                                        ; -- End function
	.set _ZN9rocsparseL19gebsrmvn_4xn_kernelILj128ELj6ELj8EdEEvi20rocsparse_direction_NS_24const_host_device_scalarIT2_EEPKiS6_PKS3_S8_S4_PS3_21rocsparse_index_base_b.num_vgpr, 82
	.set _ZN9rocsparseL19gebsrmvn_4xn_kernelILj128ELj6ELj8EdEEvi20rocsparse_direction_NS_24const_host_device_scalarIT2_EEPKiS6_PKS3_S8_S4_PS3_21rocsparse_index_base_b.num_agpr, 0
	.set _ZN9rocsparseL19gebsrmvn_4xn_kernelILj128ELj6ELj8EdEEvi20rocsparse_direction_NS_24const_host_device_scalarIT2_EEPKiS6_PKS3_S8_S4_PS3_21rocsparse_index_base_b.numbered_sgpr, 14
	.set _ZN9rocsparseL19gebsrmvn_4xn_kernelILj128ELj6ELj8EdEEvi20rocsparse_direction_NS_24const_host_device_scalarIT2_EEPKiS6_PKS3_S8_S4_PS3_21rocsparse_index_base_b.num_named_barrier, 0
	.set _ZN9rocsparseL19gebsrmvn_4xn_kernelILj128ELj6ELj8EdEEvi20rocsparse_direction_NS_24const_host_device_scalarIT2_EEPKiS6_PKS3_S8_S4_PS3_21rocsparse_index_base_b.private_seg_size, 0
	.set _ZN9rocsparseL19gebsrmvn_4xn_kernelILj128ELj6ELj8EdEEvi20rocsparse_direction_NS_24const_host_device_scalarIT2_EEPKiS6_PKS3_S8_S4_PS3_21rocsparse_index_base_b.uses_vcc, 1
	.set _ZN9rocsparseL19gebsrmvn_4xn_kernelILj128ELj6ELj8EdEEvi20rocsparse_direction_NS_24const_host_device_scalarIT2_EEPKiS6_PKS3_S8_S4_PS3_21rocsparse_index_base_b.uses_flat_scratch, 0
	.set _ZN9rocsparseL19gebsrmvn_4xn_kernelILj128ELj6ELj8EdEEvi20rocsparse_direction_NS_24const_host_device_scalarIT2_EEPKiS6_PKS3_S8_S4_PS3_21rocsparse_index_base_b.has_dyn_sized_stack, 0
	.set _ZN9rocsparseL19gebsrmvn_4xn_kernelILj128ELj6ELj8EdEEvi20rocsparse_direction_NS_24const_host_device_scalarIT2_EEPKiS6_PKS3_S8_S4_PS3_21rocsparse_index_base_b.has_recursion, 0
	.set _ZN9rocsparseL19gebsrmvn_4xn_kernelILj128ELj6ELj8EdEEvi20rocsparse_direction_NS_24const_host_device_scalarIT2_EEPKiS6_PKS3_S8_S4_PS3_21rocsparse_index_base_b.has_indirect_call, 0
	.section	.AMDGPU.csdata,"",@progbits
; Kernel info:
; codeLenInByte = 3320
; TotalNumSgprs: 16
; NumVgprs: 82
; ScratchSize: 0
; MemoryBound: 1
; FloatMode: 240
; IeeeMode: 1
; LDSByteSize: 0 bytes/workgroup (compile time only)
; SGPRBlocks: 0
; VGPRBlocks: 10
; NumSGPRsForWavesPerEU: 16
; NumVGPRsForWavesPerEU: 82
; Occupancy: 16
; WaveLimiterHint : 1
; COMPUTE_PGM_RSRC2:SCRATCH_EN: 0
; COMPUTE_PGM_RSRC2:USER_SGPR: 2
; COMPUTE_PGM_RSRC2:TRAP_HANDLER: 0
; COMPUTE_PGM_RSRC2:TGID_X_EN: 1
; COMPUTE_PGM_RSRC2:TGID_Y_EN: 0
; COMPUTE_PGM_RSRC2:TGID_Z_EN: 0
; COMPUTE_PGM_RSRC2:TIDIG_COMP_CNT: 0
	.section	.text._ZN9rocsparseL19gebsrmvn_4xn_kernelILj128ELj6ELj16EdEEvi20rocsparse_direction_NS_24const_host_device_scalarIT2_EEPKiS6_PKS3_S8_S4_PS3_21rocsparse_index_base_b,"axG",@progbits,_ZN9rocsparseL19gebsrmvn_4xn_kernelILj128ELj6ELj16EdEEvi20rocsparse_direction_NS_24const_host_device_scalarIT2_EEPKiS6_PKS3_S8_S4_PS3_21rocsparse_index_base_b,comdat
	.globl	_ZN9rocsparseL19gebsrmvn_4xn_kernelILj128ELj6ELj16EdEEvi20rocsparse_direction_NS_24const_host_device_scalarIT2_EEPKiS6_PKS3_S8_S4_PS3_21rocsparse_index_base_b ; -- Begin function _ZN9rocsparseL19gebsrmvn_4xn_kernelILj128ELj6ELj16EdEEvi20rocsparse_direction_NS_24const_host_device_scalarIT2_EEPKiS6_PKS3_S8_S4_PS3_21rocsparse_index_base_b
	.p2align	8
	.type	_ZN9rocsparseL19gebsrmvn_4xn_kernelILj128ELj6ELj16EdEEvi20rocsparse_direction_NS_24const_host_device_scalarIT2_EEPKiS6_PKS3_S8_S4_PS3_21rocsparse_index_base_b,@function
_ZN9rocsparseL19gebsrmvn_4xn_kernelILj128ELj6ELj16EdEEvi20rocsparse_direction_NS_24const_host_device_scalarIT2_EEPKiS6_PKS3_S8_S4_PS3_21rocsparse_index_base_b: ; @_ZN9rocsparseL19gebsrmvn_4xn_kernelILj128ELj6ELj16EdEEvi20rocsparse_direction_NS_24const_host_device_scalarIT2_EEPKiS6_PKS3_S8_S4_PS3_21rocsparse_index_base_b
; %bb.0:
	s_clause 0x2
	s_load_b64 s[12:13], s[0:1], 0x40
	s_load_b64 s[4:5], s[0:1], 0x8
	;; [unrolled: 1-line block ×3, first 2 shown]
	s_wait_kmcnt 0x0
	s_bitcmp1_b32 s13, 0
	v_dual_mov_b32 v1, s4 :: v_dual_mov_b32 v2, s5
	s_cselect_b32 s6, -1, 0
	s_delay_alu instid0(SALU_CYCLE_1)
	s_and_b32 vcc_lo, exec_lo, s6
	s_xor_b32 s6, s6, -1
	s_cbranch_vccnz .LBB59_2
; %bb.1:
	v_dual_mov_b32 v1, s4 :: v_dual_mov_b32 v2, s5
	flat_load_b64 v[1:2], v[1:2]
.LBB59_2:
	v_dual_mov_b32 v4, s3 :: v_dual_mov_b32 v3, s2
	s_and_not1_b32 vcc_lo, exec_lo, s6
	s_cbranch_vccnz .LBB59_4
; %bb.3:
	v_dual_mov_b32 v4, s3 :: v_dual_mov_b32 v3, s2
	flat_load_b64 v[3:4], v[3:4]
.LBB59_4:
	s_wait_loadcnt_dscnt 0x0
	v_cmp_neq_f64_e32 vcc_lo, 0, v[1:2]
	v_cmp_neq_f64_e64 s2, 1.0, v[3:4]
	s_or_b32 s2, vcc_lo, s2
	s_wait_alu 0xfffe
	s_and_saveexec_b32 s3, s2
	s_cbranch_execz .LBB59_23
; %bb.5:
	s_load_b64 s[2:3], s[0:1], 0x0
	v_lshrrev_b32_e32 v5, 4, v0
	s_delay_alu instid0(VALU_DEP_1) | instskip(SKIP_1) | instid1(VALU_DEP_1)
	v_lshl_or_b32 v5, ttmp9, 3, v5
	s_wait_kmcnt 0x0
	v_cmp_gt_i32_e32 vcc_lo, s2, v5
	s_and_b32 exec_lo, exec_lo, vcc_lo
	s_cbranch_execz .LBB59_23
; %bb.6:
	s_load_b256 s[4:11], s[0:1], 0x10
	v_ashrrev_i32_e32 v6, 31, v5
	v_and_b32_e32 v0, 15, v0
	s_cmp_lg_u32 s3, 0
	s_delay_alu instid0(VALU_DEP_2) | instskip(SKIP_1) | instid1(VALU_DEP_1)
	v_lshlrev_b64_e32 v[6:7], 2, v[5:6]
	s_wait_kmcnt 0x0
	v_add_co_u32 v6, vcc_lo, s4, v6
	s_delay_alu instid0(VALU_DEP_1) | instskip(SKIP_4) | instid1(VALU_DEP_2)
	v_add_co_ci_u32_e64 v7, null, s5, v7, vcc_lo
	global_load_b64 v[6:7], v[6:7], off
	s_wait_loadcnt 0x0
	v_subrev_nc_u32_e32 v6, s12, v6
	v_subrev_nc_u32_e32 v20, s12, v7
	v_add_nc_u32_e32 v14, v6, v0
	s_delay_alu instid0(VALU_DEP_1)
	v_cmp_lt_i32_e64 s2, v14, v20
	s_cbranch_scc0 .LBB59_12
; %bb.7:
	v_mov_b32_e32 v6, 0
	v_dual_mov_b32 v10, 0 :: v_dual_mov_b32 v7, 0
	v_dual_mov_b32 v8, 0 :: v_dual_mov_b32 v11, 0
	;; [unrolled: 1-line block ×3, first 2 shown]
	v_mov_b32_e32 v13, 0
	s_and_saveexec_b32 s3, s2
	s_cbranch_execz .LBB59_11
; %bb.8:
	v_dual_mov_b32 v6, 0 :: v_dual_mov_b32 v17, 0
	v_mad_co_u64_u32 v[15:16], null, v14, 24, 20
	v_dual_mov_b32 v7, 0 :: v_dual_mov_b32 v8, 0
	v_dual_mov_b32 v9, 0 :: v_dual_mov_b32 v10, 0
	;; [unrolled: 1-line block ×4, first 2 shown]
	s_mov_b32 s4, 0
.LBB59_9:                               ; =>This Inner Loop Header: Depth=1
	s_delay_alu instid0(VALU_DEP_1) | instskip(SKIP_2) | instid1(VALU_DEP_3)
	v_ashrrev_i32_e32 v19, 31, v18
	v_subrev_nc_u32_e32 v16, 20, v15
	v_mov_b32_e32 v62, v17
	v_lshlrev_b64_e32 v[21:22], 2, v[18:19]
	v_add_nc_u32_e32 v18, 16, v18
	s_delay_alu instid0(VALU_DEP_2) | instskip(SKIP_1) | instid1(VALU_DEP_3)
	v_add_co_u32 v21, vcc_lo, s6, v21
	s_wait_alu 0xfffd
	v_add_co_ci_u32_e64 v22, null, s7, v22, vcc_lo
	global_load_b32 v19, v[21:22], off
	v_lshlrev_b64_e32 v[21:22], 3, v[16:17]
	s_delay_alu instid0(VALU_DEP_1) | instskip(SKIP_1) | instid1(VALU_DEP_2)
	v_add_co_u32 v37, vcc_lo, s8, v21
	s_wait_alu 0xfffd
	v_add_co_ci_u32_e64 v38, null, s9, v22, vcc_lo
	global_load_b128 v[21:24], v[37:38], off offset:16
	s_wait_loadcnt 0x1
	v_subrev_nc_u32_e32 v16, s12, v19
	s_delay_alu instid0(VALU_DEP_1) | instskip(SKIP_1) | instid1(VALU_DEP_1)
	v_mul_lo_u32 v61, v16, 6
	v_add_nc_u32_e32 v16, -12, v15
	v_lshlrev_b64_e32 v[41:42], 3, v[16:17]
	s_delay_alu instid0(VALU_DEP_3) | instskip(SKIP_1) | instid1(VALU_DEP_1)
	v_lshlrev_b64_e32 v[25:26], 3, v[61:62]
	v_add_nc_u32_e32 v16, 2, v61
	v_lshlrev_b64_e32 v[47:48], 3, v[16:17]
	s_delay_alu instid0(VALU_DEP_3) | instskip(SKIP_1) | instid1(VALU_DEP_4)
	v_add_co_u32 v29, vcc_lo, s10, v25
	s_wait_alu 0xfffd
	v_add_co_ci_u32_e64 v30, null, s11, v26, vcc_lo
	v_add_co_u32 v45, vcc_lo, s8, v41
	global_load_b128 v[25:28], v[37:38], off
	global_load_b128 v[29:32], v[29:30], off
	s_clause 0x1
	global_load_b128 v[33:36], v[37:38], off offset:48
	global_load_b128 v[37:40], v[37:38], off offset:32
	s_wait_alu 0xfffd
	v_add_co_ci_u32_e64 v46, null, s9, v42, vcc_lo
	v_add_co_u32 v49, vcc_lo, s10, v47
	s_wait_alu 0xfffd
	v_add_co_ci_u32_e64 v50, null, s11, v48, vcc_lo
	s_clause 0x1
	global_load_b128 v[41:44], v[45:46], off offset:16
	global_load_b128 v[45:48], v[45:46], off
	global_load_b128 v[49:52], v[49:50], off
	v_add_nc_u32_e32 v16, -8, v15
	s_delay_alu instid0(VALU_DEP_1) | instskip(SKIP_1) | instid1(VALU_DEP_2)
	v_lshlrev_b64_e32 v[53:54], 3, v[16:17]
	v_add_nc_u32_e32 v16, -4, v15
	v_add_co_u32 v57, vcc_lo, s8, v53
	s_wait_alu 0xfffd
	s_delay_alu instid0(VALU_DEP_3)
	v_add_co_ci_u32_e64 v58, null, s9, v54, vcc_lo
	s_clause 0x1
	global_load_b128 v[53:56], v[57:58], off
	global_load_b128 v[57:60], v[57:58], off offset:16
	v_lshlrev_b64_e32 v[62:63], 3, v[16:17]
	v_add_nc_u32_e32 v16, 4, v61
	s_delay_alu instid0(VALU_DEP_1) | instskip(NEXT) | instid1(VALU_DEP_3)
	v_lshlrev_b64_e32 v[64:65], 3, v[16:17]
	v_add_co_u32 v66, vcc_lo, s8, v62
	s_wait_alu 0xfffd
	s_delay_alu instid0(VALU_DEP_4) | instskip(SKIP_1) | instid1(VALU_DEP_4)
	v_add_co_ci_u32_e64 v67, null, s9, v63, vcc_lo
	v_mov_b32_e32 v16, v17
	v_add_co_u32 v69, vcc_lo, s10, v64
	s_wait_alu 0xfffd
	v_add_co_ci_u32_e64 v70, null, s11, v65, vcc_lo
	s_clause 0x1
	global_load_b128 v[61:64], v[66:67], off offset:16
	global_load_b128 v[65:68], v[66:67], off
	global_load_b128 v[69:72], v[69:70], off
	v_lshlrev_b64_e32 v[73:74], 3, v[15:16]
	v_add_nc_u32_e32 v15, 0x180, v15
	s_delay_alu instid0(VALU_DEP_2) | instskip(SKIP_1) | instid1(VALU_DEP_3)
	v_add_co_u32 v77, vcc_lo, s8, v73
	s_wait_alu 0xfffd
	v_add_co_ci_u32_e64 v78, null, s9, v74, vcc_lo
	s_clause 0x1
	global_load_b128 v[73:76], v[77:78], off
	global_load_b128 v[77:80], v[77:78], off offset:16
	v_cmp_ge_i32_e32 vcc_lo, v18, v20
	s_wait_alu 0xfffe
	s_or_b32 s4, vcc_lo, s4
	s_wait_loadcnt 0xc
	v_fma_f64 v[6:7], v[25:26], v[29:30], v[6:7]
	v_fma_f64 v[12:13], v[27:28], v[29:30], v[12:13]
	;; [unrolled: 1-line block ×4, first 2 shown]
	s_wait_loadcnt 0xa
	s_delay_alu instid0(VALU_DEP_4) | instskip(NEXT) | instid1(VALU_DEP_4)
	v_fma_f64 v[6:7], v[37:38], v[31:32], v[6:7]
	v_fma_f64 v[12:13], v[39:40], v[31:32], v[12:13]
	s_delay_alu instid0(VALU_DEP_4) | instskip(NEXT) | instid1(VALU_DEP_4)
	v_fma_f64 v[10:11], v[33:34], v[31:32], v[10:11]
	v_fma_f64 v[8:9], v[35:36], v[31:32], v[8:9]
	s_wait_loadcnt 0x7
	s_delay_alu instid0(VALU_DEP_4) | instskip(NEXT) | instid1(VALU_DEP_4)
	v_fma_f64 v[6:7], v[45:46], v[49:50], v[6:7]
	v_fma_f64 v[12:13], v[47:48], v[49:50], v[12:13]
	s_delay_alu instid0(VALU_DEP_4) | instskip(NEXT) | instid1(VALU_DEP_4)
	v_fma_f64 v[10:11], v[41:42], v[49:50], v[10:11]
	v_fma_f64 v[8:9], v[43:44], v[49:50], v[8:9]
	s_wait_loadcnt 0x6
	s_delay_alu instid0(VALU_DEP_4) | instskip(NEXT) | instid1(VALU_DEP_4)
	v_fma_f64 v[6:7], v[53:54], v[51:52], v[6:7]
	v_fma_f64 v[12:13], v[55:56], v[51:52], v[12:13]
	s_wait_loadcnt 0x5
	;; [unrolled: 4-line block ×3, first 2 shown]
	s_delay_alu instid0(VALU_DEP_4) | instskip(NEXT) | instid1(VALU_DEP_4)
	v_fma_f64 v[6:7], v[65:66], v[69:70], v[6:7]
	v_fma_f64 v[12:13], v[67:68], v[69:70], v[12:13]
	s_delay_alu instid0(VALU_DEP_4) | instskip(NEXT) | instid1(VALU_DEP_4)
	v_fma_f64 v[10:11], v[61:62], v[69:70], v[10:11]
	v_fma_f64 v[8:9], v[63:64], v[69:70], v[8:9]
	s_wait_loadcnt 0x1
	s_delay_alu instid0(VALU_DEP_4) | instskip(NEXT) | instid1(VALU_DEP_4)
	v_fma_f64 v[6:7], v[73:74], v[71:72], v[6:7]
	v_fma_f64 v[12:13], v[75:76], v[71:72], v[12:13]
	s_wait_loadcnt 0x0
	s_delay_alu instid0(VALU_DEP_4) | instskip(NEXT) | instid1(VALU_DEP_4)
	v_fma_f64 v[10:11], v[77:78], v[71:72], v[10:11]
	v_fma_f64 v[8:9], v[79:80], v[71:72], v[8:9]
	s_wait_alu 0xfffe
	s_and_not1_b32 exec_lo, exec_lo, s4
	s_cbranch_execnz .LBB59_9
; %bb.10:
	s_or_b32 exec_lo, exec_lo, s4
.LBB59_11:
	s_wait_alu 0xfffe
	s_or_b32 exec_lo, exec_lo, s3
	s_cbranch_execz .LBB59_13
	s_branch .LBB59_18
.LBB59_12:
                                        ; implicit-def: $vgpr6_vgpr7
                                        ; implicit-def: $vgpr8_vgpr9
                                        ; implicit-def: $vgpr10_vgpr11
                                        ; implicit-def: $vgpr12_vgpr13
.LBB59_13:
	v_mov_b32_e32 v6, 0
	v_dual_mov_b32 v10, 0 :: v_dual_mov_b32 v7, 0
	v_dual_mov_b32 v8, 0 :: v_dual_mov_b32 v11, 0
	v_dual_mov_b32 v12, 0 :: v_dual_mov_b32 v9, 0
	v_mov_b32_e32 v13, 0
	s_and_saveexec_b32 s3, s2
	s_cbranch_execz .LBB59_17
; %bb.14:
	v_mad_co_u64_u32 v[16:17], null, v14, 24, 23
	v_mov_b32_e32 v6, 0
	v_dual_mov_b32 v10, 0 :: v_dual_mov_b32 v7, 0
	v_dual_mov_b32 v8, 0 :: v_dual_mov_b32 v11, 0
	;; [unrolled: 1-line block ×4, first 2 shown]
	s_mov_b32 s2, 0
.LBB59_15:                              ; =>This Inner Loop Header: Depth=1
	v_ashrrev_i32_e32 v15, 31, v14
	v_subrev_nc_u32_e32 v17, 23, v16
	s_delay_alu instid0(VALU_DEP_3) | instskip(SKIP_1) | instid1(VALU_DEP_4)
	v_dual_mov_b32 v24, v18 :: v_dual_add_nc_u32 v23, -5, v16
	v_mov_b32_e32 v42, v18
	v_lshlrev_b64_e32 v[21:22], 2, v[14:15]
	s_delay_alu instid0(VALU_DEP_4) | instskip(SKIP_2) | instid1(VALU_DEP_4)
	v_lshlrev_b64_e32 v[25:26], 3, v[17:18]
	v_add_nc_u32_e32 v17, -10, v16
	v_add_nc_u32_e32 v14, 16, v14
	v_add_co_u32 v21, vcc_lo, s6, v21
	s_wait_alu 0xfffd
	v_add_co_ci_u32_e64 v22, null, s7, v22, vcc_lo
	v_add_co_u32 v43, vcc_lo, s8, v25
	s_wait_alu 0xfffd
	v_add_co_ci_u32_e64 v44, null, s9, v26, vcc_lo
	global_load_b32 v15, v[21:22], off
	v_dual_mov_b32 v22, v18 :: v_dual_add_nc_u32 v21, -11, v16
	v_lshlrev_b64_e32 v[23:24], 3, v[23:24]
	v_lshlrev_b64_e32 v[37:38], 3, v[17:18]
	v_add_nc_u32_e32 v17, -4, v16
	s_delay_alu instid0(VALU_DEP_4) | instskip(NEXT) | instid1(VALU_DEP_2)
	v_lshlrev_b64_e32 v[21:22], 3, v[21:22]
	v_lshlrev_b64_e32 v[39:40], 3, v[17:18]
	s_delay_alu instid0(VALU_DEP_2) | instskip(SKIP_1) | instid1(VALU_DEP_3)
	v_add_co_u32 v33, vcc_lo, s8, v21
	s_wait_alu 0xfffd
	v_add_co_ci_u32_e64 v34, null, s9, v22, vcc_lo
	v_add_co_u32 v35, vcc_lo, s8, v23
	s_wait_alu 0xfffd
	v_add_co_ci_u32_e64 v36, null, s9, v24, vcc_lo
	s_clause 0x3
	global_load_b128 v[21:24], v[43:44], off offset:48
	global_load_b128 v[25:28], v[43:44], off offset:16
	global_load_b128 v[29:32], v[43:44], off
	global_load_b64 v[49:50], v[33:34], off
	s_wait_loadcnt 0x4
	v_subrev_nc_u32_e32 v15, s12, v15
	s_delay_alu instid0(VALU_DEP_1) | instskip(NEXT) | instid1(VALU_DEP_1)
	v_mul_lo_u32 v41, v15, 6
	v_lshlrev_b64_e32 v[33:34], 3, v[41:42]
	v_add_nc_u32_e32 v17, 2, v41
	s_delay_alu instid0(VALU_DEP_2) | instskip(SKIP_1) | instid1(VALU_DEP_3)
	v_add_co_u32 v33, vcc_lo, s10, v33
	s_wait_alu 0xfffd
	v_add_co_ci_u32_e64 v34, null, s11, v34, vcc_lo
	global_load_b64 v[51:52], v[35:36], off
	global_load_b128 v[33:36], v[33:34], off
	v_add_co_u32 v37, vcc_lo, s8, v37
	s_wait_alu 0xfffd
	v_add_co_ci_u32_e64 v38, null, s9, v38, vcc_lo
	v_add_co_u32 v39, vcc_lo, s8, v39
	s_wait_alu 0xfffd
	v_add_co_ci_u32_e64 v40, null, s9, v40, vcc_lo
	s_clause 0x1
	global_load_b64 v[53:54], v[37:38], off
	global_load_b64 v[55:56], v[39:40], off
	v_lshlrev_b64_e32 v[37:38], 3, v[17:18]
	v_add_nc_u32_e32 v17, -15, v16
	s_delay_alu instid0(VALU_DEP_1) | instskip(SKIP_1) | instid1(VALU_DEP_4)
	v_lshlrev_b64_e32 v[39:40], 3, v[17:18]
	v_add_nc_u32_e32 v17, -9, v16
	v_add_co_u32 v37, vcc_lo, s10, v37
	s_wait_alu 0xfffd
	v_add_co_ci_u32_e64 v38, null, s11, v38, vcc_lo
	s_delay_alu instid0(VALU_DEP_3) | instskip(SKIP_4) | instid1(VALU_DEP_3)
	v_lshlrev_b64_e32 v[45:46], 3, v[17:18]
	v_add_nc_u32_e32 v17, -3, v16
	v_add_co_u32 v47, vcc_lo, s8, v39
	s_wait_alu 0xfffd
	v_add_co_ci_u32_e64 v48, null, s9, v40, vcc_lo
	v_lshlrev_b64_e32 v[39:40], 3, v[17:18]
	v_add_co_u32 v45, vcc_lo, s8, v45
	s_wait_alu 0xfffd
	v_add_co_ci_u32_e64 v46, null, s9, v46, vcc_lo
	v_add_nc_u32_e32 v17, -14, v16
	s_delay_alu instid0(VALU_DEP_4)
	v_add_co_u32 v57, vcc_lo, s8, v39
	s_wait_alu 0xfffd
	v_add_co_ci_u32_e64 v58, null, s9, v40, vcc_lo
	global_load_b128 v[37:40], v[37:38], off
	s_clause 0x2
	global_load_b64 v[59:60], v[47:48], off
	global_load_b64 v[61:62], v[45:46], off
	;; [unrolled: 1-line block ×3, first 2 shown]
	v_lshlrev_b64_e32 v[45:46], 3, v[17:18]
	v_add_nc_u32_e32 v17, -8, v16
	s_delay_alu instid0(VALU_DEP_1) | instskip(SKIP_1) | instid1(VALU_DEP_4)
	v_lshlrev_b64_e32 v[47:48], 3, v[17:18]
	v_add_nc_u32_e32 v17, -2, v16
	v_add_co_u32 v45, vcc_lo, s8, v45
	s_wait_alu 0xfffd
	v_add_co_ci_u32_e64 v46, null, s9, v46, vcc_lo
	s_delay_alu instid0(VALU_DEP_3) | instskip(SKIP_4) | instid1(VALU_DEP_4)
	v_lshlrev_b64_e32 v[63:64], 3, v[17:18]
	v_add_co_u32 v47, vcc_lo, s8, v47
	s_wait_alu 0xfffd
	v_add_co_ci_u32_e64 v48, null, s9, v48, vcc_lo
	v_add_nc_u32_e32 v17, 4, v41
	v_add_co_u32 v63, vcc_lo, s8, v63
	s_wait_alu 0xfffd
	v_add_co_ci_u32_e64 v64, null, s9, v64, vcc_lo
	s_clause 0x2
	global_load_b64 v[65:66], v[45:46], off
	global_load_b64 v[67:68], v[47:48], off
	global_load_b64 v[63:64], v[63:64], off
	v_lshlrev_b64_e32 v[41:42], 3, v[17:18]
	v_add_nc_u32_e32 v17, -13, v16
	s_delay_alu instid0(VALU_DEP_1) | instskip(SKIP_1) | instid1(VALU_DEP_4)
	v_lshlrev_b64_e32 v[45:46], 3, v[17:18]
	v_add_nc_u32_e32 v17, -7, v16
	v_add_co_u32 v47, vcc_lo, s10, v41
	s_wait_alu 0xfffd
	v_add_co_ci_u32_e64 v48, null, s11, v42, vcc_lo
	s_delay_alu instid0(VALU_DEP_3) | instskip(SKIP_4) | instid1(VALU_DEP_3)
	v_lshlrev_b64_e32 v[41:42], 3, v[17:18]
	v_add_nc_u32_e32 v17, -1, v16
	v_add_co_u32 v69, vcc_lo, s8, v45
	s_wait_alu 0xfffd
	v_add_co_ci_u32_e64 v70, null, s9, v46, vcc_lo
	v_lshlrev_b64_e32 v[45:46], 3, v[17:18]
	v_add_co_u32 v71, vcc_lo, s8, v41
	s_wait_alu 0xfffd
	v_add_co_ci_u32_e64 v72, null, s9, v42, vcc_lo
	v_mov_b32_e32 v17, v18
	s_delay_alu instid0(VALU_DEP_4)
	v_add_co_u32 v73, vcc_lo, s8, v45
	s_wait_alu 0xfffd
	v_add_co_ci_u32_e64 v74, null, s9, v46, vcc_lo
	global_load_b128 v[41:44], v[43:44], off offset:32
	global_load_b128 v[45:48], v[47:48], off
	s_clause 0x2
	global_load_b64 v[69:70], v[69:70], off
	global_load_b64 v[71:72], v[71:72], off
	;; [unrolled: 1-line block ×3, first 2 shown]
	v_lshlrev_b64_e32 v[75:76], 3, v[16:17]
	v_add_nc_u32_e32 v17, -12, v16
	s_delay_alu instid0(VALU_DEP_1) | instskip(SKIP_1) | instid1(VALU_DEP_4)
	v_lshlrev_b64_e32 v[77:78], 3, v[17:18]
	v_add_nc_u32_e32 v17, -6, v16
	v_add_co_u32 v75, vcc_lo, s8, v75
	s_wait_alu 0xfffd
	v_add_co_ci_u32_e64 v76, null, s9, v76, vcc_lo
	s_delay_alu instid0(VALU_DEP_3) | instskip(SKIP_4) | instid1(VALU_DEP_4)
	v_lshlrev_b64_e32 v[79:80], 3, v[17:18]
	v_add_co_u32 v77, vcc_lo, s8, v77
	s_wait_alu 0xfffd
	v_add_co_ci_u32_e64 v78, null, s9, v78, vcc_lo
	v_add_nc_u32_e32 v16, 0x180, v16
	v_add_co_u32 v79, vcc_lo, s8, v79
	s_wait_alu 0xfffd
	v_add_co_ci_u32_e64 v80, null, s9, v80, vcc_lo
	s_clause 0x2
	global_load_b64 v[77:78], v[77:78], off
	global_load_b64 v[79:80], v[79:80], off
	;; [unrolled: 1-line block ×3, first 2 shown]
	v_cmp_ge_i32_e32 vcc_lo, v14, v20
	s_wait_alu 0xfffe
	s_or_b32 s2, vcc_lo, s2
	s_wait_loadcnt 0x11
	v_fma_f64 v[6:7], v[29:30], v[33:34], v[6:7]
	v_fma_f64 v[12:13], v[21:22], v[33:34], v[12:13]
	;; [unrolled: 1-line block ×4, first 2 shown]
	s_delay_alu instid0(VALU_DEP_4) | instskip(NEXT) | instid1(VALU_DEP_4)
	v_fma_f64 v[6:7], v[31:32], v[35:36], v[6:7]
	v_fma_f64 v[12:13], v[23:24], v[35:36], v[12:13]
	s_wait_loadcnt 0x10
	s_delay_alu instid0(VALU_DEP_4) | instskip(SKIP_1) | instid1(VALU_DEP_4)
	v_fma_f64 v[10:11], v[53:54], v[35:36], v[10:11]
	s_wait_loadcnt 0xf
	v_fma_f64 v[8:9], v[55:56], v[35:36], v[8:9]
	s_wait_loadcnt 0xe
	s_delay_alu instid0(VALU_DEP_4) | instskip(SKIP_1) | instid1(VALU_DEP_4)
	v_fma_f64 v[6:7], v[25:26], v[37:38], v[6:7]
	s_wait_loadcnt 0xd
	;; [unrolled: 5-line block ×3, first 2 shown]
	v_fma_f64 v[8:9], v[57:58], v[37:38], v[8:9]
	s_delay_alu instid0(VALU_DEP_4) | instskip(SKIP_1) | instid1(VALU_DEP_4)
	v_fma_f64 v[6:7], v[27:28], v[39:40], v[6:7]
	s_wait_loadcnt 0xa
	v_fma_f64 v[12:13], v[65:66], v[39:40], v[12:13]
	s_wait_loadcnt 0x9
	s_delay_alu instid0(VALU_DEP_4) | instskip(SKIP_1) | instid1(VALU_DEP_4)
	v_fma_f64 v[10:11], v[67:68], v[39:40], v[10:11]
	s_wait_loadcnt 0x8
	v_fma_f64 v[8:9], v[63:64], v[39:40], v[8:9]
	s_wait_loadcnt 0x6
	;; [unrolled: 5-line block ×3, first 2 shown]
	s_delay_alu instid0(VALU_DEP_4) | instskip(SKIP_1) | instid1(VALU_DEP_4)
	v_fma_f64 v[10:11], v[71:72], v[45:46], v[10:11]
	s_wait_loadcnt 0x3
	v_fma_f64 v[8:9], v[73:74], v[45:46], v[8:9]
	s_delay_alu instid0(VALU_DEP_4) | instskip(SKIP_1) | instid1(VALU_DEP_4)
	v_fma_f64 v[6:7], v[43:44], v[47:48], v[6:7]
	s_wait_loadcnt 0x2
	v_fma_f64 v[12:13], v[77:78], v[47:48], v[12:13]
	s_wait_loadcnt 0x1
	s_delay_alu instid0(VALU_DEP_4) | instskip(SKIP_1) | instid1(VALU_DEP_4)
	v_fma_f64 v[10:11], v[79:80], v[47:48], v[10:11]
	s_wait_loadcnt 0x0
	v_fma_f64 v[8:9], v[75:76], v[47:48], v[8:9]
	s_wait_alu 0xfffe
	s_and_not1_b32 exec_lo, exec_lo, s2
	s_cbranch_execnz .LBB59_15
; %bb.16:
	s_or_b32 exec_lo, exec_lo, s2
.LBB59_17:
	s_wait_alu 0xfffe
	s_or_b32 exec_lo, exec_lo, s3
.LBB59_18:
	v_mbcnt_lo_u32_b32 v24, -1, 0
	s_delay_alu instid0(VALU_DEP_1) | instskip(NEXT) | instid1(VALU_DEP_1)
	v_xor_b32_e32 v14, 8, v24
	v_cmp_gt_i32_e32 vcc_lo, 32, v14
	s_wait_alu 0xfffd
	v_cndmask_b32_e32 v14, v24, v14, vcc_lo
	s_delay_alu instid0(VALU_DEP_1)
	v_lshlrev_b32_e32 v21, 2, v14
	ds_bpermute_b32 v14, v21, v6
	ds_bpermute_b32 v15, v21, v7
	;; [unrolled: 1-line block ×8, first 2 shown]
	s_wait_dscnt 0x6
	v_add_f64_e32 v[6:7], v[6:7], v[14:15]
	v_xor_b32_e32 v14, 4, v24
	s_wait_dscnt 0x4
	v_add_f64_e32 v[12:13], v[12:13], v[16:17]
	s_wait_dscnt 0x2
	v_add_f64_e32 v[10:11], v[10:11], v[18:19]
	;; [unrolled: 2-line block ×3, first 2 shown]
	v_cmp_gt_i32_e32 vcc_lo, 32, v14
	s_wait_alu 0xfffd
	v_cndmask_b32_e32 v14, v24, v14, vcc_lo
	s_delay_alu instid0(VALU_DEP_1)
	v_lshlrev_b32_e32 v21, 2, v14
	ds_bpermute_b32 v14, v21, v6
	ds_bpermute_b32 v15, v21, v7
	;; [unrolled: 1-line block ×8, first 2 shown]
	s_wait_dscnt 0x6
	v_add_f64_e32 v[6:7], v[6:7], v[14:15]
	s_wait_dscnt 0x4
	v_add_f64_e32 v[14:15], v[12:13], v[16:17]
	;; [unrolled: 2-line block ×3, first 2 shown]
	v_xor_b32_e32 v10, 2, v24
	s_wait_dscnt 0x0
	v_add_f64_e32 v[8:9], v[8:9], v[20:21]
	s_delay_alu instid0(VALU_DEP_2) | instskip(SKIP_2) | instid1(VALU_DEP_1)
	v_cmp_gt_i32_e32 vcc_lo, 32, v10
	s_wait_alu 0xfffd
	v_cndmask_b32_e32 v10, v24, v10, vcc_lo
	v_lshlrev_b32_e32 v12, 2, v10
	ds_bpermute_b32 v10, v12, v6
	ds_bpermute_b32 v11, v12, v7
	;; [unrolled: 1-line block ×8, first 2 shown]
	s_wait_dscnt 0x6
	v_add_f64_e32 v[12:13], v[6:7], v[10:11]
	s_wait_dscnt 0x4
	v_add_f64_e32 v[10:11], v[14:15], v[18:19]
	v_xor_b32_e32 v14, 1, v24
	s_wait_dscnt 0x2
	v_add_f64_e32 v[6:7], v[16:17], v[20:21]
	s_wait_dscnt 0x0
	v_add_f64_e32 v[8:9], v[8:9], v[22:23]
	v_cmp_gt_i32_e32 vcc_lo, 32, v14
	s_wait_alu 0xfffd
	v_cndmask_b32_e32 v14, v24, v14, vcc_lo
	v_cmp_eq_u32_e32 vcc_lo, 15, v0
	s_delay_alu instid0(VALU_DEP_2)
	v_lshlrev_b32_e32 v15, 2, v14
	ds_bpermute_b32 v20, v15, v12
	ds_bpermute_b32 v21, v15, v13
	;; [unrolled: 1-line block ×8, first 2 shown]
	s_and_b32 exec_lo, exec_lo, vcc_lo
	s_cbranch_execz .LBB59_23
; %bb.19:
	s_wait_dscnt 0x6
	v_add_f64_e32 v[12:13], v[12:13], v[20:21]
	s_wait_dscnt 0x4
	v_add_f64_e32 v[10:11], v[10:11], v[18:19]
	;; [unrolled: 2-line block ×4, first 2 shown]
	s_load_b64 s[0:1], s[0:1], 0x38
	s_mov_b32 s2, exec_lo
	v_cmpx_eq_f64_e32 0, v[3:4]
	s_wait_alu 0xfffe
	s_xor_b32 s2, exec_lo, s2
	s_cbranch_execz .LBB59_21
; %bb.20:
	v_mul_f64_e32 v[12:13], v[1:2], v[12:13]
	v_mul_f64_e32 v[14:15], v[1:2], v[10:11]
	v_mul_f64_e32 v[6:7], v[1:2], v[6:7]
	v_mul_f64_e32 v[8:9], v[1:2], v[8:9]
	v_lshlrev_b32_e32 v0, 2, v5
                                        ; implicit-def: $vgpr5
                                        ; implicit-def: $vgpr3_vgpr4
                                        ; implicit-def: $vgpr10_vgpr11
	s_delay_alu instid0(VALU_DEP_1) | instskip(NEXT) | instid1(VALU_DEP_1)
	v_ashrrev_i32_e32 v1, 31, v0
	v_lshlrev_b64_e32 v[0:1], 3, v[0:1]
	s_wait_kmcnt 0x0
	s_delay_alu instid0(VALU_DEP_1) | instskip(SKIP_1) | instid1(VALU_DEP_2)
	v_add_co_u32 v0, vcc_lo, s0, v0
	s_wait_alu 0xfffd
	v_add_co_ci_u32_e64 v1, null, s1, v1, vcc_lo
	s_clause 0x1
	global_store_b128 v[0:1], v[12:15], off
	global_store_b128 v[0:1], v[6:9], off offset:16
                                        ; implicit-def: $vgpr1_vgpr2
                                        ; implicit-def: $vgpr12_vgpr13
                                        ; implicit-def: $vgpr6_vgpr7
                                        ; implicit-def: $vgpr8_vgpr9
.LBB59_21:
	s_wait_alu 0xfffe
	s_and_not1_saveexec_b32 s2, s2
	s_cbranch_execz .LBB59_23
; %bb.22:
	v_lshlrev_b32_e32 v14, 2, v5
	v_mul_f64_e32 v[12:13], v[1:2], v[12:13]
	v_mul_f64_e32 v[10:11], v[1:2], v[10:11]
	v_mul_f64_e32 v[24:25], v[1:2], v[6:7]
	v_mul_f64_e32 v[26:27], v[1:2], v[8:9]
	v_ashrrev_i32_e32 v15, 31, v14
	s_delay_alu instid0(VALU_DEP_1) | instskip(SKIP_1) | instid1(VALU_DEP_1)
	v_lshlrev_b64_e32 v[14:15], 3, v[14:15]
	s_wait_kmcnt 0x0
	v_add_co_u32 v22, vcc_lo, s0, v14
	s_wait_alu 0xfffd
	s_delay_alu instid0(VALU_DEP_2)
	v_add_co_ci_u32_e64 v23, null, s1, v15, vcc_lo
	s_clause 0x1
	global_load_b128 v[14:17], v[22:23], off
	global_load_b128 v[18:21], v[22:23], off offset:16
	s_wait_loadcnt 0x1
	v_fma_f64 v[5:6], v[3:4], v[14:15], v[12:13]
	v_fma_f64 v[7:8], v[3:4], v[16:17], v[10:11]
	s_wait_loadcnt 0x0
	v_fma_f64 v[0:1], v[3:4], v[18:19], v[24:25]
	v_fma_f64 v[2:3], v[3:4], v[20:21], v[26:27]
	s_clause 0x1
	global_store_b128 v[22:23], v[5:8], off
	global_store_b128 v[22:23], v[0:3], off offset:16
.LBB59_23:
	s_endpgm
	.section	.rodata,"a",@progbits
	.p2align	6, 0x0
	.amdhsa_kernel _ZN9rocsparseL19gebsrmvn_4xn_kernelILj128ELj6ELj16EdEEvi20rocsparse_direction_NS_24const_host_device_scalarIT2_EEPKiS6_PKS3_S8_S4_PS3_21rocsparse_index_base_b
		.amdhsa_group_segment_fixed_size 0
		.amdhsa_private_segment_fixed_size 0
		.amdhsa_kernarg_size 72
		.amdhsa_user_sgpr_count 2
		.amdhsa_user_sgpr_dispatch_ptr 0
		.amdhsa_user_sgpr_queue_ptr 0
		.amdhsa_user_sgpr_kernarg_segment_ptr 1
		.amdhsa_user_sgpr_dispatch_id 0
		.amdhsa_user_sgpr_private_segment_size 0
		.amdhsa_wavefront_size32 1
		.amdhsa_uses_dynamic_stack 0
		.amdhsa_enable_private_segment 0
		.amdhsa_system_sgpr_workgroup_id_x 1
		.amdhsa_system_sgpr_workgroup_id_y 0
		.amdhsa_system_sgpr_workgroup_id_z 0
		.amdhsa_system_sgpr_workgroup_info 0
		.amdhsa_system_vgpr_workitem_id 0
		.amdhsa_next_free_vgpr 81
		.amdhsa_next_free_sgpr 14
		.amdhsa_reserve_vcc 1
		.amdhsa_float_round_mode_32 0
		.amdhsa_float_round_mode_16_64 0
		.amdhsa_float_denorm_mode_32 3
		.amdhsa_float_denorm_mode_16_64 3
		.amdhsa_fp16_overflow 0
		.amdhsa_workgroup_processor_mode 1
		.amdhsa_memory_ordered 1
		.amdhsa_forward_progress 1
		.amdhsa_inst_pref_size 27
		.amdhsa_round_robin_scheduling 0
		.amdhsa_exception_fp_ieee_invalid_op 0
		.amdhsa_exception_fp_denorm_src 0
		.amdhsa_exception_fp_ieee_div_zero 0
		.amdhsa_exception_fp_ieee_overflow 0
		.amdhsa_exception_fp_ieee_underflow 0
		.amdhsa_exception_fp_ieee_inexact 0
		.amdhsa_exception_int_div_zero 0
	.end_amdhsa_kernel
	.section	.text._ZN9rocsparseL19gebsrmvn_4xn_kernelILj128ELj6ELj16EdEEvi20rocsparse_direction_NS_24const_host_device_scalarIT2_EEPKiS6_PKS3_S8_S4_PS3_21rocsparse_index_base_b,"axG",@progbits,_ZN9rocsparseL19gebsrmvn_4xn_kernelILj128ELj6ELj16EdEEvi20rocsparse_direction_NS_24const_host_device_scalarIT2_EEPKiS6_PKS3_S8_S4_PS3_21rocsparse_index_base_b,comdat
.Lfunc_end59:
	.size	_ZN9rocsparseL19gebsrmvn_4xn_kernelILj128ELj6ELj16EdEEvi20rocsparse_direction_NS_24const_host_device_scalarIT2_EEPKiS6_PKS3_S8_S4_PS3_21rocsparse_index_base_b, .Lfunc_end59-_ZN9rocsparseL19gebsrmvn_4xn_kernelILj128ELj6ELj16EdEEvi20rocsparse_direction_NS_24const_host_device_scalarIT2_EEPKiS6_PKS3_S8_S4_PS3_21rocsparse_index_base_b
                                        ; -- End function
	.set _ZN9rocsparseL19gebsrmvn_4xn_kernelILj128ELj6ELj16EdEEvi20rocsparse_direction_NS_24const_host_device_scalarIT2_EEPKiS6_PKS3_S8_S4_PS3_21rocsparse_index_base_b.num_vgpr, 81
	.set _ZN9rocsparseL19gebsrmvn_4xn_kernelILj128ELj6ELj16EdEEvi20rocsparse_direction_NS_24const_host_device_scalarIT2_EEPKiS6_PKS3_S8_S4_PS3_21rocsparse_index_base_b.num_agpr, 0
	.set _ZN9rocsparseL19gebsrmvn_4xn_kernelILj128ELj6ELj16EdEEvi20rocsparse_direction_NS_24const_host_device_scalarIT2_EEPKiS6_PKS3_S8_S4_PS3_21rocsparse_index_base_b.numbered_sgpr, 14
	.set _ZN9rocsparseL19gebsrmvn_4xn_kernelILj128ELj6ELj16EdEEvi20rocsparse_direction_NS_24const_host_device_scalarIT2_EEPKiS6_PKS3_S8_S4_PS3_21rocsparse_index_base_b.num_named_barrier, 0
	.set _ZN9rocsparseL19gebsrmvn_4xn_kernelILj128ELj6ELj16EdEEvi20rocsparse_direction_NS_24const_host_device_scalarIT2_EEPKiS6_PKS3_S8_S4_PS3_21rocsparse_index_base_b.private_seg_size, 0
	.set _ZN9rocsparseL19gebsrmvn_4xn_kernelILj128ELj6ELj16EdEEvi20rocsparse_direction_NS_24const_host_device_scalarIT2_EEPKiS6_PKS3_S8_S4_PS3_21rocsparse_index_base_b.uses_vcc, 1
	.set _ZN9rocsparseL19gebsrmvn_4xn_kernelILj128ELj6ELj16EdEEvi20rocsparse_direction_NS_24const_host_device_scalarIT2_EEPKiS6_PKS3_S8_S4_PS3_21rocsparse_index_base_b.uses_flat_scratch, 0
	.set _ZN9rocsparseL19gebsrmvn_4xn_kernelILj128ELj6ELj16EdEEvi20rocsparse_direction_NS_24const_host_device_scalarIT2_EEPKiS6_PKS3_S8_S4_PS3_21rocsparse_index_base_b.has_dyn_sized_stack, 0
	.set _ZN9rocsparseL19gebsrmvn_4xn_kernelILj128ELj6ELj16EdEEvi20rocsparse_direction_NS_24const_host_device_scalarIT2_EEPKiS6_PKS3_S8_S4_PS3_21rocsparse_index_base_b.has_recursion, 0
	.set _ZN9rocsparseL19gebsrmvn_4xn_kernelILj128ELj6ELj16EdEEvi20rocsparse_direction_NS_24const_host_device_scalarIT2_EEPKiS6_PKS3_S8_S4_PS3_21rocsparse_index_base_b.has_indirect_call, 0
	.section	.AMDGPU.csdata,"",@progbits
; Kernel info:
; codeLenInByte = 3440
; TotalNumSgprs: 16
; NumVgprs: 81
; ScratchSize: 0
; MemoryBound: 1
; FloatMode: 240
; IeeeMode: 1
; LDSByteSize: 0 bytes/workgroup (compile time only)
; SGPRBlocks: 0
; VGPRBlocks: 10
; NumSGPRsForWavesPerEU: 16
; NumVGPRsForWavesPerEU: 81
; Occupancy: 16
; WaveLimiterHint : 1
; COMPUTE_PGM_RSRC2:SCRATCH_EN: 0
; COMPUTE_PGM_RSRC2:USER_SGPR: 2
; COMPUTE_PGM_RSRC2:TRAP_HANDLER: 0
; COMPUTE_PGM_RSRC2:TGID_X_EN: 1
; COMPUTE_PGM_RSRC2:TGID_Y_EN: 0
; COMPUTE_PGM_RSRC2:TGID_Z_EN: 0
; COMPUTE_PGM_RSRC2:TIDIG_COMP_CNT: 0
	.section	.text._ZN9rocsparseL19gebsrmvn_4xn_kernelILj128ELj6ELj32EdEEvi20rocsparse_direction_NS_24const_host_device_scalarIT2_EEPKiS6_PKS3_S8_S4_PS3_21rocsparse_index_base_b,"axG",@progbits,_ZN9rocsparseL19gebsrmvn_4xn_kernelILj128ELj6ELj32EdEEvi20rocsparse_direction_NS_24const_host_device_scalarIT2_EEPKiS6_PKS3_S8_S4_PS3_21rocsparse_index_base_b,comdat
	.globl	_ZN9rocsparseL19gebsrmvn_4xn_kernelILj128ELj6ELj32EdEEvi20rocsparse_direction_NS_24const_host_device_scalarIT2_EEPKiS6_PKS3_S8_S4_PS3_21rocsparse_index_base_b ; -- Begin function _ZN9rocsparseL19gebsrmvn_4xn_kernelILj128ELj6ELj32EdEEvi20rocsparse_direction_NS_24const_host_device_scalarIT2_EEPKiS6_PKS3_S8_S4_PS3_21rocsparse_index_base_b
	.p2align	8
	.type	_ZN9rocsparseL19gebsrmvn_4xn_kernelILj128ELj6ELj32EdEEvi20rocsparse_direction_NS_24const_host_device_scalarIT2_EEPKiS6_PKS3_S8_S4_PS3_21rocsparse_index_base_b,@function
_ZN9rocsparseL19gebsrmvn_4xn_kernelILj128ELj6ELj32EdEEvi20rocsparse_direction_NS_24const_host_device_scalarIT2_EEPKiS6_PKS3_S8_S4_PS3_21rocsparse_index_base_b: ; @_ZN9rocsparseL19gebsrmvn_4xn_kernelILj128ELj6ELj32EdEEvi20rocsparse_direction_NS_24const_host_device_scalarIT2_EEPKiS6_PKS3_S8_S4_PS3_21rocsparse_index_base_b
; %bb.0:
	s_clause 0x2
	s_load_b64 s[12:13], s[0:1], 0x40
	s_load_b64 s[4:5], s[0:1], 0x8
	;; [unrolled: 1-line block ×3, first 2 shown]
	s_wait_kmcnt 0x0
	s_bitcmp1_b32 s13, 0
	v_dual_mov_b32 v1, s4 :: v_dual_mov_b32 v2, s5
	s_cselect_b32 s6, -1, 0
	s_delay_alu instid0(SALU_CYCLE_1)
	s_and_b32 vcc_lo, exec_lo, s6
	s_xor_b32 s6, s6, -1
	s_cbranch_vccnz .LBB60_2
; %bb.1:
	v_dual_mov_b32 v1, s4 :: v_dual_mov_b32 v2, s5
	flat_load_b64 v[1:2], v[1:2]
.LBB60_2:
	v_dual_mov_b32 v4, s3 :: v_dual_mov_b32 v3, s2
	s_and_not1_b32 vcc_lo, exec_lo, s6
	s_cbranch_vccnz .LBB60_4
; %bb.3:
	v_dual_mov_b32 v4, s3 :: v_dual_mov_b32 v3, s2
	flat_load_b64 v[3:4], v[3:4]
.LBB60_4:
	s_wait_loadcnt_dscnt 0x0
	v_cmp_neq_f64_e32 vcc_lo, 0, v[1:2]
	v_cmp_neq_f64_e64 s2, 1.0, v[3:4]
	s_or_b32 s2, vcc_lo, s2
	s_wait_alu 0xfffe
	s_and_saveexec_b32 s3, s2
	s_cbranch_execz .LBB60_23
; %bb.5:
	s_load_b64 s[2:3], s[0:1], 0x0
	v_lshrrev_b32_e32 v5, 5, v0
	s_delay_alu instid0(VALU_DEP_1) | instskip(SKIP_1) | instid1(VALU_DEP_1)
	v_lshl_or_b32 v5, ttmp9, 2, v5
	s_wait_kmcnt 0x0
	v_cmp_gt_i32_e32 vcc_lo, s2, v5
	s_and_b32 exec_lo, exec_lo, vcc_lo
	s_cbranch_execz .LBB60_23
; %bb.6:
	s_load_b256 s[4:11], s[0:1], 0x10
	v_ashrrev_i32_e32 v6, 31, v5
	v_and_b32_e32 v0, 31, v0
	s_cmp_lg_u32 s3, 0
	s_delay_alu instid0(VALU_DEP_2) | instskip(SKIP_1) | instid1(VALU_DEP_1)
	v_lshlrev_b64_e32 v[6:7], 2, v[5:6]
	s_wait_kmcnt 0x0
	v_add_co_u32 v6, vcc_lo, s4, v6
	s_delay_alu instid0(VALU_DEP_1) | instskip(SKIP_4) | instid1(VALU_DEP_2)
	v_add_co_ci_u32_e64 v7, null, s5, v7, vcc_lo
	global_load_b64 v[6:7], v[6:7], off
	s_wait_loadcnt 0x0
	v_subrev_nc_u32_e32 v6, s12, v6
	v_subrev_nc_u32_e32 v20, s12, v7
	v_add_nc_u32_e32 v14, v6, v0
	s_delay_alu instid0(VALU_DEP_1)
	v_cmp_lt_i32_e64 s2, v14, v20
	s_cbranch_scc0 .LBB60_12
; %bb.7:
	v_mov_b32_e32 v6, 0
	v_dual_mov_b32 v10, 0 :: v_dual_mov_b32 v7, 0
	v_dual_mov_b32 v8, 0 :: v_dual_mov_b32 v11, 0
	;; [unrolled: 1-line block ×3, first 2 shown]
	v_mov_b32_e32 v13, 0
	s_and_saveexec_b32 s3, s2
	s_cbranch_execz .LBB60_11
; %bb.8:
	v_dual_mov_b32 v6, 0 :: v_dual_mov_b32 v17, 0
	v_mad_co_u64_u32 v[15:16], null, v14, 24, 20
	v_dual_mov_b32 v7, 0 :: v_dual_mov_b32 v8, 0
	v_dual_mov_b32 v9, 0 :: v_dual_mov_b32 v10, 0
	;; [unrolled: 1-line block ×4, first 2 shown]
	s_mov_b32 s4, 0
.LBB60_9:                               ; =>This Inner Loop Header: Depth=1
	s_delay_alu instid0(VALU_DEP_1) | instskip(SKIP_2) | instid1(VALU_DEP_3)
	v_ashrrev_i32_e32 v19, 31, v18
	v_subrev_nc_u32_e32 v16, 20, v15
	v_mov_b32_e32 v62, v17
	v_lshlrev_b64_e32 v[21:22], 2, v[18:19]
	v_add_nc_u32_e32 v18, 32, v18
	s_delay_alu instid0(VALU_DEP_2) | instskip(SKIP_1) | instid1(VALU_DEP_3)
	v_add_co_u32 v21, vcc_lo, s6, v21
	s_wait_alu 0xfffd
	v_add_co_ci_u32_e64 v22, null, s7, v22, vcc_lo
	global_load_b32 v19, v[21:22], off
	v_lshlrev_b64_e32 v[21:22], 3, v[16:17]
	s_delay_alu instid0(VALU_DEP_1) | instskip(SKIP_1) | instid1(VALU_DEP_2)
	v_add_co_u32 v37, vcc_lo, s8, v21
	s_wait_alu 0xfffd
	v_add_co_ci_u32_e64 v38, null, s9, v22, vcc_lo
	global_load_b128 v[21:24], v[37:38], off offset:16
	s_wait_loadcnt 0x1
	v_subrev_nc_u32_e32 v16, s12, v19
	s_delay_alu instid0(VALU_DEP_1) | instskip(SKIP_1) | instid1(VALU_DEP_1)
	v_mul_lo_u32 v61, v16, 6
	v_add_nc_u32_e32 v16, -12, v15
	v_lshlrev_b64_e32 v[41:42], 3, v[16:17]
	s_delay_alu instid0(VALU_DEP_3) | instskip(SKIP_1) | instid1(VALU_DEP_1)
	v_lshlrev_b64_e32 v[25:26], 3, v[61:62]
	v_add_nc_u32_e32 v16, 2, v61
	v_lshlrev_b64_e32 v[47:48], 3, v[16:17]
	s_delay_alu instid0(VALU_DEP_3) | instskip(SKIP_1) | instid1(VALU_DEP_4)
	v_add_co_u32 v29, vcc_lo, s10, v25
	s_wait_alu 0xfffd
	v_add_co_ci_u32_e64 v30, null, s11, v26, vcc_lo
	v_add_co_u32 v45, vcc_lo, s8, v41
	global_load_b128 v[25:28], v[37:38], off
	global_load_b128 v[29:32], v[29:30], off
	s_clause 0x1
	global_load_b128 v[33:36], v[37:38], off offset:48
	global_load_b128 v[37:40], v[37:38], off offset:32
	s_wait_alu 0xfffd
	v_add_co_ci_u32_e64 v46, null, s9, v42, vcc_lo
	v_add_co_u32 v49, vcc_lo, s10, v47
	s_wait_alu 0xfffd
	v_add_co_ci_u32_e64 v50, null, s11, v48, vcc_lo
	s_clause 0x1
	global_load_b128 v[41:44], v[45:46], off offset:16
	global_load_b128 v[45:48], v[45:46], off
	global_load_b128 v[49:52], v[49:50], off
	v_add_nc_u32_e32 v16, -8, v15
	s_delay_alu instid0(VALU_DEP_1) | instskip(SKIP_1) | instid1(VALU_DEP_2)
	v_lshlrev_b64_e32 v[53:54], 3, v[16:17]
	v_add_nc_u32_e32 v16, -4, v15
	v_add_co_u32 v57, vcc_lo, s8, v53
	s_wait_alu 0xfffd
	s_delay_alu instid0(VALU_DEP_3)
	v_add_co_ci_u32_e64 v58, null, s9, v54, vcc_lo
	s_clause 0x1
	global_load_b128 v[53:56], v[57:58], off
	global_load_b128 v[57:60], v[57:58], off offset:16
	v_lshlrev_b64_e32 v[62:63], 3, v[16:17]
	v_add_nc_u32_e32 v16, 4, v61
	s_delay_alu instid0(VALU_DEP_1) | instskip(NEXT) | instid1(VALU_DEP_3)
	v_lshlrev_b64_e32 v[64:65], 3, v[16:17]
	v_add_co_u32 v66, vcc_lo, s8, v62
	s_wait_alu 0xfffd
	s_delay_alu instid0(VALU_DEP_4) | instskip(SKIP_1) | instid1(VALU_DEP_4)
	v_add_co_ci_u32_e64 v67, null, s9, v63, vcc_lo
	v_mov_b32_e32 v16, v17
	v_add_co_u32 v69, vcc_lo, s10, v64
	s_wait_alu 0xfffd
	v_add_co_ci_u32_e64 v70, null, s11, v65, vcc_lo
	s_clause 0x1
	global_load_b128 v[61:64], v[66:67], off offset:16
	global_load_b128 v[65:68], v[66:67], off
	global_load_b128 v[69:72], v[69:70], off
	v_lshlrev_b64_e32 v[73:74], 3, v[15:16]
	v_add_nc_u32_e32 v15, 0x300, v15
	s_delay_alu instid0(VALU_DEP_2) | instskip(SKIP_1) | instid1(VALU_DEP_3)
	v_add_co_u32 v77, vcc_lo, s8, v73
	s_wait_alu 0xfffd
	v_add_co_ci_u32_e64 v78, null, s9, v74, vcc_lo
	s_clause 0x1
	global_load_b128 v[73:76], v[77:78], off
	global_load_b128 v[77:80], v[77:78], off offset:16
	v_cmp_ge_i32_e32 vcc_lo, v18, v20
	s_wait_alu 0xfffe
	s_or_b32 s4, vcc_lo, s4
	s_wait_loadcnt 0xc
	v_fma_f64 v[6:7], v[25:26], v[29:30], v[6:7]
	v_fma_f64 v[12:13], v[27:28], v[29:30], v[12:13]
	;; [unrolled: 1-line block ×4, first 2 shown]
	s_wait_loadcnt 0xa
	s_delay_alu instid0(VALU_DEP_4) | instskip(NEXT) | instid1(VALU_DEP_4)
	v_fma_f64 v[6:7], v[37:38], v[31:32], v[6:7]
	v_fma_f64 v[12:13], v[39:40], v[31:32], v[12:13]
	s_delay_alu instid0(VALU_DEP_4) | instskip(NEXT) | instid1(VALU_DEP_4)
	v_fma_f64 v[10:11], v[33:34], v[31:32], v[10:11]
	v_fma_f64 v[8:9], v[35:36], v[31:32], v[8:9]
	s_wait_loadcnt 0x7
	s_delay_alu instid0(VALU_DEP_4) | instskip(NEXT) | instid1(VALU_DEP_4)
	v_fma_f64 v[6:7], v[45:46], v[49:50], v[6:7]
	v_fma_f64 v[12:13], v[47:48], v[49:50], v[12:13]
	s_delay_alu instid0(VALU_DEP_4) | instskip(NEXT) | instid1(VALU_DEP_4)
	v_fma_f64 v[10:11], v[41:42], v[49:50], v[10:11]
	v_fma_f64 v[8:9], v[43:44], v[49:50], v[8:9]
	s_wait_loadcnt 0x6
	s_delay_alu instid0(VALU_DEP_4) | instskip(NEXT) | instid1(VALU_DEP_4)
	v_fma_f64 v[6:7], v[53:54], v[51:52], v[6:7]
	v_fma_f64 v[12:13], v[55:56], v[51:52], v[12:13]
	s_wait_loadcnt 0x5
	s_delay_alu instid0(VALU_DEP_4) | instskip(NEXT) | instid1(VALU_DEP_4)
	v_fma_f64 v[10:11], v[57:58], v[51:52], v[10:11]
	v_fma_f64 v[8:9], v[59:60], v[51:52], v[8:9]
	s_wait_loadcnt 0x2
	s_delay_alu instid0(VALU_DEP_4) | instskip(NEXT) | instid1(VALU_DEP_4)
	v_fma_f64 v[6:7], v[65:66], v[69:70], v[6:7]
	v_fma_f64 v[12:13], v[67:68], v[69:70], v[12:13]
	s_delay_alu instid0(VALU_DEP_4) | instskip(NEXT) | instid1(VALU_DEP_4)
	v_fma_f64 v[10:11], v[61:62], v[69:70], v[10:11]
	v_fma_f64 v[8:9], v[63:64], v[69:70], v[8:9]
	s_wait_loadcnt 0x1
	s_delay_alu instid0(VALU_DEP_4) | instskip(NEXT) | instid1(VALU_DEP_4)
	v_fma_f64 v[6:7], v[73:74], v[71:72], v[6:7]
	v_fma_f64 v[12:13], v[75:76], v[71:72], v[12:13]
	s_wait_loadcnt 0x0
	s_delay_alu instid0(VALU_DEP_4) | instskip(NEXT) | instid1(VALU_DEP_4)
	v_fma_f64 v[10:11], v[77:78], v[71:72], v[10:11]
	v_fma_f64 v[8:9], v[79:80], v[71:72], v[8:9]
	s_wait_alu 0xfffe
	s_and_not1_b32 exec_lo, exec_lo, s4
	s_cbranch_execnz .LBB60_9
; %bb.10:
	s_or_b32 exec_lo, exec_lo, s4
.LBB60_11:
	s_wait_alu 0xfffe
	s_or_b32 exec_lo, exec_lo, s3
	s_cbranch_execz .LBB60_13
	s_branch .LBB60_18
.LBB60_12:
                                        ; implicit-def: $vgpr6_vgpr7
                                        ; implicit-def: $vgpr8_vgpr9
                                        ; implicit-def: $vgpr10_vgpr11
                                        ; implicit-def: $vgpr12_vgpr13
.LBB60_13:
	v_mov_b32_e32 v6, 0
	v_dual_mov_b32 v10, 0 :: v_dual_mov_b32 v7, 0
	v_dual_mov_b32 v8, 0 :: v_dual_mov_b32 v11, 0
	;; [unrolled: 1-line block ×3, first 2 shown]
	v_mov_b32_e32 v13, 0
	s_and_saveexec_b32 s3, s2
	s_cbranch_execz .LBB60_17
; %bb.14:
	v_mad_co_u64_u32 v[16:17], null, v14, 24, 23
	v_mov_b32_e32 v6, 0
	v_dual_mov_b32 v10, 0 :: v_dual_mov_b32 v7, 0
	v_dual_mov_b32 v8, 0 :: v_dual_mov_b32 v11, 0
	;; [unrolled: 1-line block ×4, first 2 shown]
	s_mov_b32 s2, 0
.LBB60_15:                              ; =>This Inner Loop Header: Depth=1
	v_ashrrev_i32_e32 v15, 31, v14
	v_subrev_nc_u32_e32 v17, 23, v16
	s_delay_alu instid0(VALU_DEP_3) | instskip(SKIP_1) | instid1(VALU_DEP_4)
	v_dual_mov_b32 v24, v18 :: v_dual_add_nc_u32 v23, -5, v16
	v_mov_b32_e32 v42, v18
	v_lshlrev_b64_e32 v[21:22], 2, v[14:15]
	s_delay_alu instid0(VALU_DEP_4) | instskip(SKIP_2) | instid1(VALU_DEP_4)
	v_lshlrev_b64_e32 v[25:26], 3, v[17:18]
	v_add_nc_u32_e32 v17, -10, v16
	v_add_nc_u32_e32 v14, 32, v14
	v_add_co_u32 v21, vcc_lo, s6, v21
	s_wait_alu 0xfffd
	v_add_co_ci_u32_e64 v22, null, s7, v22, vcc_lo
	v_add_co_u32 v43, vcc_lo, s8, v25
	s_wait_alu 0xfffd
	v_add_co_ci_u32_e64 v44, null, s9, v26, vcc_lo
	global_load_b32 v15, v[21:22], off
	v_dual_mov_b32 v22, v18 :: v_dual_add_nc_u32 v21, -11, v16
	v_lshlrev_b64_e32 v[23:24], 3, v[23:24]
	v_lshlrev_b64_e32 v[37:38], 3, v[17:18]
	v_add_nc_u32_e32 v17, -4, v16
	s_delay_alu instid0(VALU_DEP_4) | instskip(NEXT) | instid1(VALU_DEP_2)
	v_lshlrev_b64_e32 v[21:22], 3, v[21:22]
	v_lshlrev_b64_e32 v[39:40], 3, v[17:18]
	s_delay_alu instid0(VALU_DEP_2) | instskip(SKIP_1) | instid1(VALU_DEP_3)
	v_add_co_u32 v33, vcc_lo, s8, v21
	s_wait_alu 0xfffd
	v_add_co_ci_u32_e64 v34, null, s9, v22, vcc_lo
	v_add_co_u32 v35, vcc_lo, s8, v23
	s_wait_alu 0xfffd
	v_add_co_ci_u32_e64 v36, null, s9, v24, vcc_lo
	s_clause 0x3
	global_load_b128 v[21:24], v[43:44], off offset:48
	global_load_b128 v[25:28], v[43:44], off offset:16
	global_load_b128 v[29:32], v[43:44], off
	global_load_b64 v[49:50], v[33:34], off
	s_wait_loadcnt 0x4
	v_subrev_nc_u32_e32 v15, s12, v15
	s_delay_alu instid0(VALU_DEP_1) | instskip(NEXT) | instid1(VALU_DEP_1)
	v_mul_lo_u32 v41, v15, 6
	v_lshlrev_b64_e32 v[33:34], 3, v[41:42]
	v_add_nc_u32_e32 v17, 2, v41
	s_delay_alu instid0(VALU_DEP_2) | instskip(SKIP_1) | instid1(VALU_DEP_3)
	v_add_co_u32 v33, vcc_lo, s10, v33
	s_wait_alu 0xfffd
	v_add_co_ci_u32_e64 v34, null, s11, v34, vcc_lo
	global_load_b64 v[51:52], v[35:36], off
	global_load_b128 v[33:36], v[33:34], off
	v_add_co_u32 v37, vcc_lo, s8, v37
	s_wait_alu 0xfffd
	v_add_co_ci_u32_e64 v38, null, s9, v38, vcc_lo
	v_add_co_u32 v39, vcc_lo, s8, v39
	s_wait_alu 0xfffd
	v_add_co_ci_u32_e64 v40, null, s9, v40, vcc_lo
	s_clause 0x1
	global_load_b64 v[53:54], v[37:38], off
	global_load_b64 v[55:56], v[39:40], off
	v_lshlrev_b64_e32 v[37:38], 3, v[17:18]
	v_add_nc_u32_e32 v17, -15, v16
	s_delay_alu instid0(VALU_DEP_1) | instskip(SKIP_1) | instid1(VALU_DEP_4)
	v_lshlrev_b64_e32 v[39:40], 3, v[17:18]
	v_add_nc_u32_e32 v17, -9, v16
	v_add_co_u32 v37, vcc_lo, s10, v37
	s_wait_alu 0xfffd
	v_add_co_ci_u32_e64 v38, null, s11, v38, vcc_lo
	s_delay_alu instid0(VALU_DEP_3) | instskip(SKIP_4) | instid1(VALU_DEP_3)
	v_lshlrev_b64_e32 v[45:46], 3, v[17:18]
	v_add_nc_u32_e32 v17, -3, v16
	v_add_co_u32 v47, vcc_lo, s8, v39
	s_wait_alu 0xfffd
	v_add_co_ci_u32_e64 v48, null, s9, v40, vcc_lo
	v_lshlrev_b64_e32 v[39:40], 3, v[17:18]
	v_add_co_u32 v45, vcc_lo, s8, v45
	s_wait_alu 0xfffd
	v_add_co_ci_u32_e64 v46, null, s9, v46, vcc_lo
	v_add_nc_u32_e32 v17, -14, v16
	s_delay_alu instid0(VALU_DEP_4)
	v_add_co_u32 v57, vcc_lo, s8, v39
	s_wait_alu 0xfffd
	v_add_co_ci_u32_e64 v58, null, s9, v40, vcc_lo
	global_load_b128 v[37:40], v[37:38], off
	s_clause 0x2
	global_load_b64 v[59:60], v[47:48], off
	global_load_b64 v[61:62], v[45:46], off
	;; [unrolled: 1-line block ×3, first 2 shown]
	v_lshlrev_b64_e32 v[45:46], 3, v[17:18]
	v_add_nc_u32_e32 v17, -8, v16
	s_delay_alu instid0(VALU_DEP_1) | instskip(SKIP_1) | instid1(VALU_DEP_4)
	v_lshlrev_b64_e32 v[47:48], 3, v[17:18]
	v_add_nc_u32_e32 v17, -2, v16
	v_add_co_u32 v45, vcc_lo, s8, v45
	s_wait_alu 0xfffd
	v_add_co_ci_u32_e64 v46, null, s9, v46, vcc_lo
	s_delay_alu instid0(VALU_DEP_3) | instskip(SKIP_4) | instid1(VALU_DEP_4)
	v_lshlrev_b64_e32 v[63:64], 3, v[17:18]
	v_add_co_u32 v47, vcc_lo, s8, v47
	s_wait_alu 0xfffd
	v_add_co_ci_u32_e64 v48, null, s9, v48, vcc_lo
	v_add_nc_u32_e32 v17, 4, v41
	v_add_co_u32 v63, vcc_lo, s8, v63
	s_wait_alu 0xfffd
	v_add_co_ci_u32_e64 v64, null, s9, v64, vcc_lo
	s_clause 0x2
	global_load_b64 v[65:66], v[45:46], off
	global_load_b64 v[67:68], v[47:48], off
	;; [unrolled: 1-line block ×3, first 2 shown]
	v_lshlrev_b64_e32 v[41:42], 3, v[17:18]
	v_add_nc_u32_e32 v17, -13, v16
	s_delay_alu instid0(VALU_DEP_1) | instskip(SKIP_1) | instid1(VALU_DEP_4)
	v_lshlrev_b64_e32 v[45:46], 3, v[17:18]
	v_add_nc_u32_e32 v17, -7, v16
	v_add_co_u32 v47, vcc_lo, s10, v41
	s_wait_alu 0xfffd
	v_add_co_ci_u32_e64 v48, null, s11, v42, vcc_lo
	s_delay_alu instid0(VALU_DEP_3) | instskip(SKIP_4) | instid1(VALU_DEP_3)
	v_lshlrev_b64_e32 v[41:42], 3, v[17:18]
	v_add_nc_u32_e32 v17, -1, v16
	v_add_co_u32 v69, vcc_lo, s8, v45
	s_wait_alu 0xfffd
	v_add_co_ci_u32_e64 v70, null, s9, v46, vcc_lo
	v_lshlrev_b64_e32 v[45:46], 3, v[17:18]
	v_add_co_u32 v71, vcc_lo, s8, v41
	s_wait_alu 0xfffd
	v_add_co_ci_u32_e64 v72, null, s9, v42, vcc_lo
	v_mov_b32_e32 v17, v18
	s_delay_alu instid0(VALU_DEP_4)
	v_add_co_u32 v73, vcc_lo, s8, v45
	s_wait_alu 0xfffd
	v_add_co_ci_u32_e64 v74, null, s9, v46, vcc_lo
	global_load_b128 v[41:44], v[43:44], off offset:32
	global_load_b128 v[45:48], v[47:48], off
	s_clause 0x2
	global_load_b64 v[69:70], v[69:70], off
	global_load_b64 v[71:72], v[71:72], off
	;; [unrolled: 1-line block ×3, first 2 shown]
	v_lshlrev_b64_e32 v[75:76], 3, v[16:17]
	v_add_nc_u32_e32 v17, -12, v16
	s_delay_alu instid0(VALU_DEP_1) | instskip(SKIP_1) | instid1(VALU_DEP_4)
	v_lshlrev_b64_e32 v[77:78], 3, v[17:18]
	v_add_nc_u32_e32 v17, -6, v16
	v_add_co_u32 v75, vcc_lo, s8, v75
	s_wait_alu 0xfffd
	v_add_co_ci_u32_e64 v76, null, s9, v76, vcc_lo
	s_delay_alu instid0(VALU_DEP_3) | instskip(SKIP_4) | instid1(VALU_DEP_4)
	v_lshlrev_b64_e32 v[79:80], 3, v[17:18]
	v_add_co_u32 v77, vcc_lo, s8, v77
	s_wait_alu 0xfffd
	v_add_co_ci_u32_e64 v78, null, s9, v78, vcc_lo
	v_add_nc_u32_e32 v16, 0x300, v16
	v_add_co_u32 v79, vcc_lo, s8, v79
	s_wait_alu 0xfffd
	v_add_co_ci_u32_e64 v80, null, s9, v80, vcc_lo
	s_clause 0x2
	global_load_b64 v[77:78], v[77:78], off
	global_load_b64 v[79:80], v[79:80], off
	;; [unrolled: 1-line block ×3, first 2 shown]
	v_cmp_ge_i32_e32 vcc_lo, v14, v20
	s_wait_alu 0xfffe
	s_or_b32 s2, vcc_lo, s2
	s_wait_loadcnt 0x11
	v_fma_f64 v[6:7], v[29:30], v[33:34], v[6:7]
	v_fma_f64 v[12:13], v[21:22], v[33:34], v[12:13]
	;; [unrolled: 1-line block ×4, first 2 shown]
	s_delay_alu instid0(VALU_DEP_4) | instskip(NEXT) | instid1(VALU_DEP_4)
	v_fma_f64 v[6:7], v[31:32], v[35:36], v[6:7]
	v_fma_f64 v[12:13], v[23:24], v[35:36], v[12:13]
	s_wait_loadcnt 0x10
	s_delay_alu instid0(VALU_DEP_4) | instskip(SKIP_1) | instid1(VALU_DEP_4)
	v_fma_f64 v[10:11], v[53:54], v[35:36], v[10:11]
	s_wait_loadcnt 0xf
	v_fma_f64 v[8:9], v[55:56], v[35:36], v[8:9]
	s_wait_loadcnt 0xe
	s_delay_alu instid0(VALU_DEP_4) | instskip(SKIP_1) | instid1(VALU_DEP_4)
	v_fma_f64 v[6:7], v[25:26], v[37:38], v[6:7]
	s_wait_loadcnt 0xd
	;; [unrolled: 5-line block ×3, first 2 shown]
	v_fma_f64 v[8:9], v[57:58], v[37:38], v[8:9]
	s_delay_alu instid0(VALU_DEP_4) | instskip(SKIP_1) | instid1(VALU_DEP_4)
	v_fma_f64 v[6:7], v[27:28], v[39:40], v[6:7]
	s_wait_loadcnt 0xa
	v_fma_f64 v[12:13], v[65:66], v[39:40], v[12:13]
	s_wait_loadcnt 0x9
	s_delay_alu instid0(VALU_DEP_4) | instskip(SKIP_1) | instid1(VALU_DEP_4)
	v_fma_f64 v[10:11], v[67:68], v[39:40], v[10:11]
	s_wait_loadcnt 0x8
	v_fma_f64 v[8:9], v[63:64], v[39:40], v[8:9]
	s_wait_loadcnt 0x6
	;; [unrolled: 5-line block ×3, first 2 shown]
	s_delay_alu instid0(VALU_DEP_4) | instskip(SKIP_1) | instid1(VALU_DEP_4)
	v_fma_f64 v[10:11], v[71:72], v[45:46], v[10:11]
	s_wait_loadcnt 0x3
	v_fma_f64 v[8:9], v[73:74], v[45:46], v[8:9]
	s_delay_alu instid0(VALU_DEP_4) | instskip(SKIP_1) | instid1(VALU_DEP_4)
	v_fma_f64 v[6:7], v[43:44], v[47:48], v[6:7]
	s_wait_loadcnt 0x2
	v_fma_f64 v[12:13], v[77:78], v[47:48], v[12:13]
	s_wait_loadcnt 0x1
	s_delay_alu instid0(VALU_DEP_4) | instskip(SKIP_1) | instid1(VALU_DEP_4)
	v_fma_f64 v[10:11], v[79:80], v[47:48], v[10:11]
	s_wait_loadcnt 0x0
	v_fma_f64 v[8:9], v[75:76], v[47:48], v[8:9]
	s_wait_alu 0xfffe
	s_and_not1_b32 exec_lo, exec_lo, s2
	s_cbranch_execnz .LBB60_15
; %bb.16:
	s_or_b32 exec_lo, exec_lo, s2
.LBB60_17:
	s_wait_alu 0xfffe
	s_or_b32 exec_lo, exec_lo, s3
.LBB60_18:
	v_mbcnt_lo_u32_b32 v24, -1, 0
	s_delay_alu instid0(VALU_DEP_1) | instskip(NEXT) | instid1(VALU_DEP_1)
	v_xor_b32_e32 v14, 16, v24
	v_cmp_gt_i32_e32 vcc_lo, 32, v14
	s_wait_alu 0xfffd
	v_cndmask_b32_e32 v14, v24, v14, vcc_lo
	s_delay_alu instid0(VALU_DEP_1)
	v_lshlrev_b32_e32 v21, 2, v14
	ds_bpermute_b32 v14, v21, v6
	ds_bpermute_b32 v15, v21, v7
	;; [unrolled: 1-line block ×8, first 2 shown]
	s_wait_dscnt 0x6
	v_add_f64_e32 v[6:7], v[6:7], v[14:15]
	v_xor_b32_e32 v14, 8, v24
	s_wait_dscnt 0x4
	v_add_f64_e32 v[12:13], v[12:13], v[16:17]
	s_wait_dscnt 0x2
	v_add_f64_e32 v[10:11], v[10:11], v[18:19]
	;; [unrolled: 2-line block ×3, first 2 shown]
	v_cmp_gt_i32_e32 vcc_lo, 32, v14
	s_wait_alu 0xfffd
	v_cndmask_b32_e32 v14, v24, v14, vcc_lo
	s_delay_alu instid0(VALU_DEP_1)
	v_lshlrev_b32_e32 v21, 2, v14
	ds_bpermute_b32 v14, v21, v6
	ds_bpermute_b32 v15, v21, v7
	;; [unrolled: 1-line block ×8, first 2 shown]
	s_wait_dscnt 0x6
	v_add_f64_e32 v[6:7], v[6:7], v[14:15]
	v_xor_b32_e32 v14, 4, v24
	s_wait_dscnt 0x4
	v_add_f64_e32 v[12:13], v[12:13], v[16:17]
	s_wait_dscnt 0x2
	v_add_f64_e32 v[10:11], v[10:11], v[18:19]
	;; [unrolled: 2-line block ×3, first 2 shown]
	v_cmp_gt_i32_e32 vcc_lo, 32, v14
	s_wait_alu 0xfffd
	v_cndmask_b32_e32 v14, v24, v14, vcc_lo
	s_delay_alu instid0(VALU_DEP_1)
	v_lshlrev_b32_e32 v21, 2, v14
	ds_bpermute_b32 v14, v21, v6
	ds_bpermute_b32 v15, v21, v7
	ds_bpermute_b32 v16, v21, v12
	ds_bpermute_b32 v17, v21, v13
	ds_bpermute_b32 v18, v21, v10
	ds_bpermute_b32 v19, v21, v11
	ds_bpermute_b32 v20, v21, v8
	ds_bpermute_b32 v21, v21, v9
	s_wait_dscnt 0x6
	v_add_f64_e32 v[6:7], v[6:7], v[14:15]
	s_wait_dscnt 0x4
	v_add_f64_e32 v[14:15], v[12:13], v[16:17]
	;; [unrolled: 2-line block ×3, first 2 shown]
	v_xor_b32_e32 v10, 2, v24
	s_wait_dscnt 0x0
	v_add_f64_e32 v[8:9], v[8:9], v[20:21]
	s_delay_alu instid0(VALU_DEP_2) | instskip(SKIP_2) | instid1(VALU_DEP_1)
	v_cmp_gt_i32_e32 vcc_lo, 32, v10
	s_wait_alu 0xfffd
	v_cndmask_b32_e32 v10, v24, v10, vcc_lo
	v_lshlrev_b32_e32 v12, 2, v10
	ds_bpermute_b32 v10, v12, v6
	ds_bpermute_b32 v11, v12, v7
	;; [unrolled: 1-line block ×8, first 2 shown]
	s_wait_dscnt 0x6
	v_add_f64_e32 v[12:13], v[6:7], v[10:11]
	s_wait_dscnt 0x4
	v_add_f64_e32 v[10:11], v[14:15], v[18:19]
	v_xor_b32_e32 v14, 1, v24
	s_wait_dscnt 0x2
	v_add_f64_e32 v[6:7], v[16:17], v[20:21]
	s_wait_dscnt 0x0
	v_add_f64_e32 v[8:9], v[8:9], v[22:23]
	v_cmp_gt_i32_e32 vcc_lo, 32, v14
	s_wait_alu 0xfffd
	v_cndmask_b32_e32 v14, v24, v14, vcc_lo
	v_cmp_eq_u32_e32 vcc_lo, 31, v0
	s_delay_alu instid0(VALU_DEP_2)
	v_lshlrev_b32_e32 v15, 2, v14
	ds_bpermute_b32 v20, v15, v12
	ds_bpermute_b32 v21, v15, v13
	;; [unrolled: 1-line block ×8, first 2 shown]
	s_and_b32 exec_lo, exec_lo, vcc_lo
	s_cbranch_execz .LBB60_23
; %bb.19:
	s_wait_dscnt 0x6
	v_add_f64_e32 v[12:13], v[12:13], v[20:21]
	s_wait_dscnt 0x4
	v_add_f64_e32 v[10:11], v[10:11], v[18:19]
	;; [unrolled: 2-line block ×4, first 2 shown]
	s_load_b64 s[0:1], s[0:1], 0x38
	s_mov_b32 s2, exec_lo
	v_cmpx_eq_f64_e32 0, v[3:4]
	s_wait_alu 0xfffe
	s_xor_b32 s2, exec_lo, s2
	s_cbranch_execz .LBB60_21
; %bb.20:
	v_mul_f64_e32 v[12:13], v[1:2], v[12:13]
	v_mul_f64_e32 v[14:15], v[1:2], v[10:11]
	;; [unrolled: 1-line block ×4, first 2 shown]
	v_lshlrev_b32_e32 v0, 2, v5
                                        ; implicit-def: $vgpr5
                                        ; implicit-def: $vgpr3_vgpr4
                                        ; implicit-def: $vgpr10_vgpr11
	s_delay_alu instid0(VALU_DEP_1) | instskip(NEXT) | instid1(VALU_DEP_1)
	v_ashrrev_i32_e32 v1, 31, v0
	v_lshlrev_b64_e32 v[0:1], 3, v[0:1]
	s_wait_kmcnt 0x0
	s_delay_alu instid0(VALU_DEP_1) | instskip(SKIP_1) | instid1(VALU_DEP_2)
	v_add_co_u32 v0, vcc_lo, s0, v0
	s_wait_alu 0xfffd
	v_add_co_ci_u32_e64 v1, null, s1, v1, vcc_lo
	s_clause 0x1
	global_store_b128 v[0:1], v[12:15], off
	global_store_b128 v[0:1], v[6:9], off offset:16
                                        ; implicit-def: $vgpr1_vgpr2
                                        ; implicit-def: $vgpr12_vgpr13
                                        ; implicit-def: $vgpr6_vgpr7
                                        ; implicit-def: $vgpr8_vgpr9
.LBB60_21:
	s_wait_alu 0xfffe
	s_and_not1_saveexec_b32 s2, s2
	s_cbranch_execz .LBB60_23
; %bb.22:
	v_lshlrev_b32_e32 v14, 2, v5
	v_mul_f64_e32 v[12:13], v[1:2], v[12:13]
	v_mul_f64_e32 v[10:11], v[1:2], v[10:11]
	;; [unrolled: 1-line block ×4, first 2 shown]
	v_ashrrev_i32_e32 v15, 31, v14
	s_delay_alu instid0(VALU_DEP_1) | instskip(SKIP_1) | instid1(VALU_DEP_1)
	v_lshlrev_b64_e32 v[14:15], 3, v[14:15]
	s_wait_kmcnt 0x0
	v_add_co_u32 v22, vcc_lo, s0, v14
	s_wait_alu 0xfffd
	s_delay_alu instid0(VALU_DEP_2)
	v_add_co_ci_u32_e64 v23, null, s1, v15, vcc_lo
	s_clause 0x1
	global_load_b128 v[14:17], v[22:23], off
	global_load_b128 v[18:21], v[22:23], off offset:16
	s_wait_loadcnt 0x1
	v_fma_f64 v[5:6], v[3:4], v[14:15], v[12:13]
	v_fma_f64 v[7:8], v[3:4], v[16:17], v[10:11]
	s_wait_loadcnt 0x0
	v_fma_f64 v[0:1], v[3:4], v[18:19], v[24:25]
	v_fma_f64 v[2:3], v[3:4], v[20:21], v[26:27]
	s_clause 0x1
	global_store_b128 v[22:23], v[5:8], off
	global_store_b128 v[22:23], v[0:3], off offset:16
.LBB60_23:
	s_endpgm
	.section	.rodata,"a",@progbits
	.p2align	6, 0x0
	.amdhsa_kernel _ZN9rocsparseL19gebsrmvn_4xn_kernelILj128ELj6ELj32EdEEvi20rocsparse_direction_NS_24const_host_device_scalarIT2_EEPKiS6_PKS3_S8_S4_PS3_21rocsparse_index_base_b
		.amdhsa_group_segment_fixed_size 0
		.amdhsa_private_segment_fixed_size 0
		.amdhsa_kernarg_size 72
		.amdhsa_user_sgpr_count 2
		.amdhsa_user_sgpr_dispatch_ptr 0
		.amdhsa_user_sgpr_queue_ptr 0
		.amdhsa_user_sgpr_kernarg_segment_ptr 1
		.amdhsa_user_sgpr_dispatch_id 0
		.amdhsa_user_sgpr_private_segment_size 0
		.amdhsa_wavefront_size32 1
		.amdhsa_uses_dynamic_stack 0
		.amdhsa_enable_private_segment 0
		.amdhsa_system_sgpr_workgroup_id_x 1
		.amdhsa_system_sgpr_workgroup_id_y 0
		.amdhsa_system_sgpr_workgroup_id_z 0
		.amdhsa_system_sgpr_workgroup_info 0
		.amdhsa_system_vgpr_workitem_id 0
		.amdhsa_next_free_vgpr 81
		.amdhsa_next_free_sgpr 14
		.amdhsa_reserve_vcc 1
		.amdhsa_float_round_mode_32 0
		.amdhsa_float_round_mode_16_64 0
		.amdhsa_float_denorm_mode_32 3
		.amdhsa_float_denorm_mode_16_64 3
		.amdhsa_fp16_overflow 0
		.amdhsa_workgroup_processor_mode 1
		.amdhsa_memory_ordered 1
		.amdhsa_forward_progress 1
		.amdhsa_inst_pref_size 28
		.amdhsa_round_robin_scheduling 0
		.amdhsa_exception_fp_ieee_invalid_op 0
		.amdhsa_exception_fp_denorm_src 0
		.amdhsa_exception_fp_ieee_div_zero 0
		.amdhsa_exception_fp_ieee_overflow 0
		.amdhsa_exception_fp_ieee_underflow 0
		.amdhsa_exception_fp_ieee_inexact 0
		.amdhsa_exception_int_div_zero 0
	.end_amdhsa_kernel
	.section	.text._ZN9rocsparseL19gebsrmvn_4xn_kernelILj128ELj6ELj32EdEEvi20rocsparse_direction_NS_24const_host_device_scalarIT2_EEPKiS6_PKS3_S8_S4_PS3_21rocsparse_index_base_b,"axG",@progbits,_ZN9rocsparseL19gebsrmvn_4xn_kernelILj128ELj6ELj32EdEEvi20rocsparse_direction_NS_24const_host_device_scalarIT2_EEPKiS6_PKS3_S8_S4_PS3_21rocsparse_index_base_b,comdat
.Lfunc_end60:
	.size	_ZN9rocsparseL19gebsrmvn_4xn_kernelILj128ELj6ELj32EdEEvi20rocsparse_direction_NS_24const_host_device_scalarIT2_EEPKiS6_PKS3_S8_S4_PS3_21rocsparse_index_base_b, .Lfunc_end60-_ZN9rocsparseL19gebsrmvn_4xn_kernelILj128ELj6ELj32EdEEvi20rocsparse_direction_NS_24const_host_device_scalarIT2_EEPKiS6_PKS3_S8_S4_PS3_21rocsparse_index_base_b
                                        ; -- End function
	.set _ZN9rocsparseL19gebsrmvn_4xn_kernelILj128ELj6ELj32EdEEvi20rocsparse_direction_NS_24const_host_device_scalarIT2_EEPKiS6_PKS3_S8_S4_PS3_21rocsparse_index_base_b.num_vgpr, 81
	.set _ZN9rocsparseL19gebsrmvn_4xn_kernelILj128ELj6ELj32EdEEvi20rocsparse_direction_NS_24const_host_device_scalarIT2_EEPKiS6_PKS3_S8_S4_PS3_21rocsparse_index_base_b.num_agpr, 0
	.set _ZN9rocsparseL19gebsrmvn_4xn_kernelILj128ELj6ELj32EdEEvi20rocsparse_direction_NS_24const_host_device_scalarIT2_EEPKiS6_PKS3_S8_S4_PS3_21rocsparse_index_base_b.numbered_sgpr, 14
	.set _ZN9rocsparseL19gebsrmvn_4xn_kernelILj128ELj6ELj32EdEEvi20rocsparse_direction_NS_24const_host_device_scalarIT2_EEPKiS6_PKS3_S8_S4_PS3_21rocsparse_index_base_b.num_named_barrier, 0
	.set _ZN9rocsparseL19gebsrmvn_4xn_kernelILj128ELj6ELj32EdEEvi20rocsparse_direction_NS_24const_host_device_scalarIT2_EEPKiS6_PKS3_S8_S4_PS3_21rocsparse_index_base_b.private_seg_size, 0
	.set _ZN9rocsparseL19gebsrmvn_4xn_kernelILj128ELj6ELj32EdEEvi20rocsparse_direction_NS_24const_host_device_scalarIT2_EEPKiS6_PKS3_S8_S4_PS3_21rocsparse_index_base_b.uses_vcc, 1
	.set _ZN9rocsparseL19gebsrmvn_4xn_kernelILj128ELj6ELj32EdEEvi20rocsparse_direction_NS_24const_host_device_scalarIT2_EEPKiS6_PKS3_S8_S4_PS3_21rocsparse_index_base_b.uses_flat_scratch, 0
	.set _ZN9rocsparseL19gebsrmvn_4xn_kernelILj128ELj6ELj32EdEEvi20rocsparse_direction_NS_24const_host_device_scalarIT2_EEPKiS6_PKS3_S8_S4_PS3_21rocsparse_index_base_b.has_dyn_sized_stack, 0
	.set _ZN9rocsparseL19gebsrmvn_4xn_kernelILj128ELj6ELj32EdEEvi20rocsparse_direction_NS_24const_host_device_scalarIT2_EEPKiS6_PKS3_S8_S4_PS3_21rocsparse_index_base_b.has_recursion, 0
	.set _ZN9rocsparseL19gebsrmvn_4xn_kernelILj128ELj6ELj32EdEEvi20rocsparse_direction_NS_24const_host_device_scalarIT2_EEPKiS6_PKS3_S8_S4_PS3_21rocsparse_index_base_b.has_indirect_call, 0
	.section	.AMDGPU.csdata,"",@progbits
; Kernel info:
; codeLenInByte = 3560
; TotalNumSgprs: 16
; NumVgprs: 81
; ScratchSize: 0
; MemoryBound: 1
; FloatMode: 240
; IeeeMode: 1
; LDSByteSize: 0 bytes/workgroup (compile time only)
; SGPRBlocks: 0
; VGPRBlocks: 10
; NumSGPRsForWavesPerEU: 16
; NumVGPRsForWavesPerEU: 81
; Occupancy: 16
; WaveLimiterHint : 1
; COMPUTE_PGM_RSRC2:SCRATCH_EN: 0
; COMPUTE_PGM_RSRC2:USER_SGPR: 2
; COMPUTE_PGM_RSRC2:TRAP_HANDLER: 0
; COMPUTE_PGM_RSRC2:TGID_X_EN: 1
; COMPUTE_PGM_RSRC2:TGID_Y_EN: 0
; COMPUTE_PGM_RSRC2:TGID_Z_EN: 0
; COMPUTE_PGM_RSRC2:TIDIG_COMP_CNT: 0
	.section	.text._ZN9rocsparseL19gebsrmvn_4xn_kernelILj128ELj6ELj64EdEEvi20rocsparse_direction_NS_24const_host_device_scalarIT2_EEPKiS6_PKS3_S8_S4_PS3_21rocsparse_index_base_b,"axG",@progbits,_ZN9rocsparseL19gebsrmvn_4xn_kernelILj128ELj6ELj64EdEEvi20rocsparse_direction_NS_24const_host_device_scalarIT2_EEPKiS6_PKS3_S8_S4_PS3_21rocsparse_index_base_b,comdat
	.globl	_ZN9rocsparseL19gebsrmvn_4xn_kernelILj128ELj6ELj64EdEEvi20rocsparse_direction_NS_24const_host_device_scalarIT2_EEPKiS6_PKS3_S8_S4_PS3_21rocsparse_index_base_b ; -- Begin function _ZN9rocsparseL19gebsrmvn_4xn_kernelILj128ELj6ELj64EdEEvi20rocsparse_direction_NS_24const_host_device_scalarIT2_EEPKiS6_PKS3_S8_S4_PS3_21rocsparse_index_base_b
	.p2align	8
	.type	_ZN9rocsparseL19gebsrmvn_4xn_kernelILj128ELj6ELj64EdEEvi20rocsparse_direction_NS_24const_host_device_scalarIT2_EEPKiS6_PKS3_S8_S4_PS3_21rocsparse_index_base_b,@function
_ZN9rocsparseL19gebsrmvn_4xn_kernelILj128ELj6ELj64EdEEvi20rocsparse_direction_NS_24const_host_device_scalarIT2_EEPKiS6_PKS3_S8_S4_PS3_21rocsparse_index_base_b: ; @_ZN9rocsparseL19gebsrmvn_4xn_kernelILj128ELj6ELj64EdEEvi20rocsparse_direction_NS_24const_host_device_scalarIT2_EEPKiS6_PKS3_S8_S4_PS3_21rocsparse_index_base_b
; %bb.0:
	s_clause 0x2
	s_load_b64 s[12:13], s[0:1], 0x40
	s_load_b64 s[4:5], s[0:1], 0x8
	;; [unrolled: 1-line block ×3, first 2 shown]
	s_wait_kmcnt 0x0
	s_bitcmp1_b32 s13, 0
	v_dual_mov_b32 v1, s4 :: v_dual_mov_b32 v2, s5
	s_cselect_b32 s6, -1, 0
	s_delay_alu instid0(SALU_CYCLE_1)
	s_and_b32 vcc_lo, exec_lo, s6
	s_xor_b32 s6, s6, -1
	s_cbranch_vccnz .LBB61_2
; %bb.1:
	v_dual_mov_b32 v1, s4 :: v_dual_mov_b32 v2, s5
	flat_load_b64 v[1:2], v[1:2]
.LBB61_2:
	v_dual_mov_b32 v4, s3 :: v_dual_mov_b32 v3, s2
	s_and_not1_b32 vcc_lo, exec_lo, s6
	s_cbranch_vccnz .LBB61_4
; %bb.3:
	v_dual_mov_b32 v4, s3 :: v_dual_mov_b32 v3, s2
	flat_load_b64 v[3:4], v[3:4]
.LBB61_4:
	s_wait_loadcnt_dscnt 0x0
	v_cmp_neq_f64_e32 vcc_lo, 0, v[1:2]
	v_cmp_neq_f64_e64 s2, 1.0, v[3:4]
	s_or_b32 s2, vcc_lo, s2
	s_wait_alu 0xfffe
	s_and_saveexec_b32 s3, s2
	s_cbranch_execz .LBB61_23
; %bb.5:
	s_load_b64 s[2:3], s[0:1], 0x0
	v_lshrrev_b32_e32 v5, 6, v0
	s_delay_alu instid0(VALU_DEP_1) | instskip(SKIP_1) | instid1(VALU_DEP_1)
	v_lshl_or_b32 v5, ttmp9, 1, v5
	s_wait_kmcnt 0x0
	v_cmp_gt_i32_e32 vcc_lo, s2, v5
	s_and_b32 exec_lo, exec_lo, vcc_lo
	s_cbranch_execz .LBB61_23
; %bb.6:
	s_load_b256 s[4:11], s[0:1], 0x10
	v_ashrrev_i32_e32 v6, 31, v5
	v_and_b32_e32 v0, 63, v0
	s_cmp_lg_u32 s3, 0
	s_delay_alu instid0(VALU_DEP_2) | instskip(SKIP_1) | instid1(VALU_DEP_1)
	v_lshlrev_b64_e32 v[6:7], 2, v[5:6]
	s_wait_kmcnt 0x0
	v_add_co_u32 v6, vcc_lo, s4, v6
	s_delay_alu instid0(VALU_DEP_1) | instskip(SKIP_4) | instid1(VALU_DEP_2)
	v_add_co_ci_u32_e64 v7, null, s5, v7, vcc_lo
	global_load_b64 v[6:7], v[6:7], off
	s_wait_loadcnt 0x0
	v_subrev_nc_u32_e32 v6, s12, v6
	v_subrev_nc_u32_e32 v20, s12, v7
	v_add_nc_u32_e32 v14, v6, v0
	s_delay_alu instid0(VALU_DEP_1)
	v_cmp_lt_i32_e64 s2, v14, v20
	s_cbranch_scc0 .LBB61_12
; %bb.7:
	v_mov_b32_e32 v6, 0
	v_dual_mov_b32 v10, 0 :: v_dual_mov_b32 v7, 0
	v_dual_mov_b32 v8, 0 :: v_dual_mov_b32 v11, 0
	;; [unrolled: 1-line block ×3, first 2 shown]
	v_mov_b32_e32 v13, 0
	s_and_saveexec_b32 s3, s2
	s_cbranch_execz .LBB61_11
; %bb.8:
	v_dual_mov_b32 v6, 0 :: v_dual_mov_b32 v17, 0
	v_mad_co_u64_u32 v[15:16], null, v14, 24, 20
	v_dual_mov_b32 v7, 0 :: v_dual_mov_b32 v8, 0
	v_dual_mov_b32 v9, 0 :: v_dual_mov_b32 v10, 0
	;; [unrolled: 1-line block ×4, first 2 shown]
	s_mov_b32 s4, 0
.LBB61_9:                               ; =>This Inner Loop Header: Depth=1
	s_delay_alu instid0(VALU_DEP_1) | instskip(SKIP_2) | instid1(VALU_DEP_3)
	v_ashrrev_i32_e32 v19, 31, v18
	v_subrev_nc_u32_e32 v16, 20, v15
	v_mov_b32_e32 v62, v17
	v_lshlrev_b64_e32 v[21:22], 2, v[18:19]
	v_add_nc_u32_e32 v18, 64, v18
	s_delay_alu instid0(VALU_DEP_2) | instskip(SKIP_1) | instid1(VALU_DEP_3)
	v_add_co_u32 v21, vcc_lo, s6, v21
	s_wait_alu 0xfffd
	v_add_co_ci_u32_e64 v22, null, s7, v22, vcc_lo
	global_load_b32 v19, v[21:22], off
	v_lshlrev_b64_e32 v[21:22], 3, v[16:17]
	s_delay_alu instid0(VALU_DEP_1) | instskip(SKIP_1) | instid1(VALU_DEP_2)
	v_add_co_u32 v37, vcc_lo, s8, v21
	s_wait_alu 0xfffd
	v_add_co_ci_u32_e64 v38, null, s9, v22, vcc_lo
	global_load_b128 v[21:24], v[37:38], off offset:16
	s_wait_loadcnt 0x1
	v_subrev_nc_u32_e32 v16, s12, v19
	s_delay_alu instid0(VALU_DEP_1) | instskip(SKIP_1) | instid1(VALU_DEP_1)
	v_mul_lo_u32 v61, v16, 6
	v_add_nc_u32_e32 v16, -12, v15
	v_lshlrev_b64_e32 v[41:42], 3, v[16:17]
	s_delay_alu instid0(VALU_DEP_3) | instskip(SKIP_1) | instid1(VALU_DEP_1)
	v_lshlrev_b64_e32 v[25:26], 3, v[61:62]
	v_add_nc_u32_e32 v16, 2, v61
	v_lshlrev_b64_e32 v[47:48], 3, v[16:17]
	s_delay_alu instid0(VALU_DEP_3) | instskip(SKIP_1) | instid1(VALU_DEP_4)
	v_add_co_u32 v29, vcc_lo, s10, v25
	s_wait_alu 0xfffd
	v_add_co_ci_u32_e64 v30, null, s11, v26, vcc_lo
	v_add_co_u32 v45, vcc_lo, s8, v41
	global_load_b128 v[25:28], v[37:38], off
	global_load_b128 v[29:32], v[29:30], off
	s_clause 0x1
	global_load_b128 v[33:36], v[37:38], off offset:48
	global_load_b128 v[37:40], v[37:38], off offset:32
	s_wait_alu 0xfffd
	v_add_co_ci_u32_e64 v46, null, s9, v42, vcc_lo
	v_add_co_u32 v49, vcc_lo, s10, v47
	s_wait_alu 0xfffd
	v_add_co_ci_u32_e64 v50, null, s11, v48, vcc_lo
	s_clause 0x1
	global_load_b128 v[41:44], v[45:46], off offset:16
	global_load_b128 v[45:48], v[45:46], off
	global_load_b128 v[49:52], v[49:50], off
	v_add_nc_u32_e32 v16, -8, v15
	s_delay_alu instid0(VALU_DEP_1) | instskip(SKIP_1) | instid1(VALU_DEP_2)
	v_lshlrev_b64_e32 v[53:54], 3, v[16:17]
	v_add_nc_u32_e32 v16, -4, v15
	v_add_co_u32 v57, vcc_lo, s8, v53
	s_wait_alu 0xfffd
	s_delay_alu instid0(VALU_DEP_3)
	v_add_co_ci_u32_e64 v58, null, s9, v54, vcc_lo
	s_clause 0x1
	global_load_b128 v[53:56], v[57:58], off
	global_load_b128 v[57:60], v[57:58], off offset:16
	v_lshlrev_b64_e32 v[62:63], 3, v[16:17]
	v_add_nc_u32_e32 v16, 4, v61
	s_delay_alu instid0(VALU_DEP_1) | instskip(NEXT) | instid1(VALU_DEP_3)
	v_lshlrev_b64_e32 v[64:65], 3, v[16:17]
	v_add_co_u32 v66, vcc_lo, s8, v62
	s_wait_alu 0xfffd
	s_delay_alu instid0(VALU_DEP_4) | instskip(SKIP_1) | instid1(VALU_DEP_4)
	v_add_co_ci_u32_e64 v67, null, s9, v63, vcc_lo
	v_mov_b32_e32 v16, v17
	v_add_co_u32 v69, vcc_lo, s10, v64
	s_wait_alu 0xfffd
	v_add_co_ci_u32_e64 v70, null, s11, v65, vcc_lo
	s_clause 0x1
	global_load_b128 v[61:64], v[66:67], off offset:16
	global_load_b128 v[65:68], v[66:67], off
	global_load_b128 v[69:72], v[69:70], off
	v_lshlrev_b64_e32 v[73:74], 3, v[15:16]
	v_add_nc_u32_e32 v15, 0x600, v15
	s_delay_alu instid0(VALU_DEP_2) | instskip(SKIP_1) | instid1(VALU_DEP_3)
	v_add_co_u32 v77, vcc_lo, s8, v73
	s_wait_alu 0xfffd
	v_add_co_ci_u32_e64 v78, null, s9, v74, vcc_lo
	s_clause 0x1
	global_load_b128 v[73:76], v[77:78], off
	global_load_b128 v[77:80], v[77:78], off offset:16
	v_cmp_ge_i32_e32 vcc_lo, v18, v20
	s_wait_alu 0xfffe
	s_or_b32 s4, vcc_lo, s4
	s_wait_loadcnt 0xc
	v_fma_f64 v[6:7], v[25:26], v[29:30], v[6:7]
	v_fma_f64 v[12:13], v[27:28], v[29:30], v[12:13]
	;; [unrolled: 1-line block ×4, first 2 shown]
	s_wait_loadcnt 0xa
	s_delay_alu instid0(VALU_DEP_4) | instskip(NEXT) | instid1(VALU_DEP_4)
	v_fma_f64 v[6:7], v[37:38], v[31:32], v[6:7]
	v_fma_f64 v[12:13], v[39:40], v[31:32], v[12:13]
	s_delay_alu instid0(VALU_DEP_4) | instskip(NEXT) | instid1(VALU_DEP_4)
	v_fma_f64 v[10:11], v[33:34], v[31:32], v[10:11]
	v_fma_f64 v[8:9], v[35:36], v[31:32], v[8:9]
	s_wait_loadcnt 0x7
	s_delay_alu instid0(VALU_DEP_4) | instskip(NEXT) | instid1(VALU_DEP_4)
	v_fma_f64 v[6:7], v[45:46], v[49:50], v[6:7]
	v_fma_f64 v[12:13], v[47:48], v[49:50], v[12:13]
	s_delay_alu instid0(VALU_DEP_4) | instskip(NEXT) | instid1(VALU_DEP_4)
	v_fma_f64 v[10:11], v[41:42], v[49:50], v[10:11]
	v_fma_f64 v[8:9], v[43:44], v[49:50], v[8:9]
	s_wait_loadcnt 0x6
	s_delay_alu instid0(VALU_DEP_4) | instskip(NEXT) | instid1(VALU_DEP_4)
	v_fma_f64 v[6:7], v[53:54], v[51:52], v[6:7]
	v_fma_f64 v[12:13], v[55:56], v[51:52], v[12:13]
	s_wait_loadcnt 0x5
	;; [unrolled: 4-line block ×3, first 2 shown]
	s_delay_alu instid0(VALU_DEP_4) | instskip(NEXT) | instid1(VALU_DEP_4)
	v_fma_f64 v[6:7], v[65:66], v[69:70], v[6:7]
	v_fma_f64 v[12:13], v[67:68], v[69:70], v[12:13]
	s_delay_alu instid0(VALU_DEP_4) | instskip(NEXT) | instid1(VALU_DEP_4)
	v_fma_f64 v[10:11], v[61:62], v[69:70], v[10:11]
	v_fma_f64 v[8:9], v[63:64], v[69:70], v[8:9]
	s_wait_loadcnt 0x1
	s_delay_alu instid0(VALU_DEP_4) | instskip(NEXT) | instid1(VALU_DEP_4)
	v_fma_f64 v[6:7], v[73:74], v[71:72], v[6:7]
	v_fma_f64 v[12:13], v[75:76], v[71:72], v[12:13]
	s_wait_loadcnt 0x0
	s_delay_alu instid0(VALU_DEP_4) | instskip(NEXT) | instid1(VALU_DEP_4)
	v_fma_f64 v[10:11], v[77:78], v[71:72], v[10:11]
	v_fma_f64 v[8:9], v[79:80], v[71:72], v[8:9]
	s_wait_alu 0xfffe
	s_and_not1_b32 exec_lo, exec_lo, s4
	s_cbranch_execnz .LBB61_9
; %bb.10:
	s_or_b32 exec_lo, exec_lo, s4
.LBB61_11:
	s_wait_alu 0xfffe
	s_or_b32 exec_lo, exec_lo, s3
	s_cbranch_execz .LBB61_13
	s_branch .LBB61_18
.LBB61_12:
                                        ; implicit-def: $vgpr6_vgpr7
                                        ; implicit-def: $vgpr8_vgpr9
                                        ; implicit-def: $vgpr10_vgpr11
                                        ; implicit-def: $vgpr12_vgpr13
.LBB61_13:
	v_mov_b32_e32 v6, 0
	v_dual_mov_b32 v10, 0 :: v_dual_mov_b32 v7, 0
	v_dual_mov_b32 v8, 0 :: v_dual_mov_b32 v11, 0
	;; [unrolled: 1-line block ×3, first 2 shown]
	v_mov_b32_e32 v13, 0
	s_and_saveexec_b32 s3, s2
	s_cbranch_execz .LBB61_17
; %bb.14:
	v_mad_co_u64_u32 v[16:17], null, v14, 24, 23
	v_mov_b32_e32 v6, 0
	v_dual_mov_b32 v10, 0 :: v_dual_mov_b32 v7, 0
	v_dual_mov_b32 v8, 0 :: v_dual_mov_b32 v11, 0
	;; [unrolled: 1-line block ×4, first 2 shown]
	s_mov_b32 s2, 0
.LBB61_15:                              ; =>This Inner Loop Header: Depth=1
	v_ashrrev_i32_e32 v15, 31, v14
	v_subrev_nc_u32_e32 v17, 23, v16
	s_delay_alu instid0(VALU_DEP_3) | instskip(SKIP_1) | instid1(VALU_DEP_4)
	v_dual_mov_b32 v24, v18 :: v_dual_add_nc_u32 v23, -5, v16
	v_mov_b32_e32 v42, v18
	v_lshlrev_b64_e32 v[21:22], 2, v[14:15]
	s_delay_alu instid0(VALU_DEP_4) | instskip(SKIP_2) | instid1(VALU_DEP_4)
	v_lshlrev_b64_e32 v[25:26], 3, v[17:18]
	v_add_nc_u32_e32 v17, -10, v16
	v_add_nc_u32_e32 v14, 64, v14
	v_add_co_u32 v21, vcc_lo, s6, v21
	s_wait_alu 0xfffd
	v_add_co_ci_u32_e64 v22, null, s7, v22, vcc_lo
	v_add_co_u32 v43, vcc_lo, s8, v25
	s_wait_alu 0xfffd
	v_add_co_ci_u32_e64 v44, null, s9, v26, vcc_lo
	global_load_b32 v15, v[21:22], off
	v_dual_mov_b32 v22, v18 :: v_dual_add_nc_u32 v21, -11, v16
	v_lshlrev_b64_e32 v[23:24], 3, v[23:24]
	v_lshlrev_b64_e32 v[37:38], 3, v[17:18]
	v_add_nc_u32_e32 v17, -4, v16
	s_delay_alu instid0(VALU_DEP_4) | instskip(NEXT) | instid1(VALU_DEP_2)
	v_lshlrev_b64_e32 v[21:22], 3, v[21:22]
	v_lshlrev_b64_e32 v[39:40], 3, v[17:18]
	s_delay_alu instid0(VALU_DEP_2) | instskip(SKIP_1) | instid1(VALU_DEP_3)
	v_add_co_u32 v33, vcc_lo, s8, v21
	s_wait_alu 0xfffd
	v_add_co_ci_u32_e64 v34, null, s9, v22, vcc_lo
	v_add_co_u32 v35, vcc_lo, s8, v23
	s_wait_alu 0xfffd
	v_add_co_ci_u32_e64 v36, null, s9, v24, vcc_lo
	s_clause 0x3
	global_load_b128 v[21:24], v[43:44], off offset:48
	global_load_b128 v[25:28], v[43:44], off offset:16
	global_load_b128 v[29:32], v[43:44], off
	global_load_b64 v[49:50], v[33:34], off
	s_wait_loadcnt 0x4
	v_subrev_nc_u32_e32 v15, s12, v15
	s_delay_alu instid0(VALU_DEP_1) | instskip(NEXT) | instid1(VALU_DEP_1)
	v_mul_lo_u32 v41, v15, 6
	v_lshlrev_b64_e32 v[33:34], 3, v[41:42]
	v_add_nc_u32_e32 v17, 2, v41
	s_delay_alu instid0(VALU_DEP_2) | instskip(SKIP_1) | instid1(VALU_DEP_3)
	v_add_co_u32 v33, vcc_lo, s10, v33
	s_wait_alu 0xfffd
	v_add_co_ci_u32_e64 v34, null, s11, v34, vcc_lo
	global_load_b64 v[51:52], v[35:36], off
	global_load_b128 v[33:36], v[33:34], off
	v_add_co_u32 v37, vcc_lo, s8, v37
	s_wait_alu 0xfffd
	v_add_co_ci_u32_e64 v38, null, s9, v38, vcc_lo
	v_add_co_u32 v39, vcc_lo, s8, v39
	s_wait_alu 0xfffd
	v_add_co_ci_u32_e64 v40, null, s9, v40, vcc_lo
	s_clause 0x1
	global_load_b64 v[53:54], v[37:38], off
	global_load_b64 v[55:56], v[39:40], off
	v_lshlrev_b64_e32 v[37:38], 3, v[17:18]
	v_add_nc_u32_e32 v17, -15, v16
	s_delay_alu instid0(VALU_DEP_1) | instskip(SKIP_1) | instid1(VALU_DEP_4)
	v_lshlrev_b64_e32 v[39:40], 3, v[17:18]
	v_add_nc_u32_e32 v17, -9, v16
	v_add_co_u32 v37, vcc_lo, s10, v37
	s_wait_alu 0xfffd
	v_add_co_ci_u32_e64 v38, null, s11, v38, vcc_lo
	s_delay_alu instid0(VALU_DEP_3) | instskip(SKIP_4) | instid1(VALU_DEP_3)
	v_lshlrev_b64_e32 v[45:46], 3, v[17:18]
	v_add_nc_u32_e32 v17, -3, v16
	v_add_co_u32 v47, vcc_lo, s8, v39
	s_wait_alu 0xfffd
	v_add_co_ci_u32_e64 v48, null, s9, v40, vcc_lo
	v_lshlrev_b64_e32 v[39:40], 3, v[17:18]
	v_add_co_u32 v45, vcc_lo, s8, v45
	s_wait_alu 0xfffd
	v_add_co_ci_u32_e64 v46, null, s9, v46, vcc_lo
	v_add_nc_u32_e32 v17, -14, v16
	s_delay_alu instid0(VALU_DEP_4)
	v_add_co_u32 v57, vcc_lo, s8, v39
	s_wait_alu 0xfffd
	v_add_co_ci_u32_e64 v58, null, s9, v40, vcc_lo
	global_load_b128 v[37:40], v[37:38], off
	s_clause 0x2
	global_load_b64 v[59:60], v[47:48], off
	global_load_b64 v[61:62], v[45:46], off
	;; [unrolled: 1-line block ×3, first 2 shown]
	v_lshlrev_b64_e32 v[45:46], 3, v[17:18]
	v_add_nc_u32_e32 v17, -8, v16
	s_delay_alu instid0(VALU_DEP_1) | instskip(SKIP_1) | instid1(VALU_DEP_4)
	v_lshlrev_b64_e32 v[47:48], 3, v[17:18]
	v_add_nc_u32_e32 v17, -2, v16
	v_add_co_u32 v45, vcc_lo, s8, v45
	s_wait_alu 0xfffd
	v_add_co_ci_u32_e64 v46, null, s9, v46, vcc_lo
	s_delay_alu instid0(VALU_DEP_3) | instskip(SKIP_4) | instid1(VALU_DEP_4)
	v_lshlrev_b64_e32 v[63:64], 3, v[17:18]
	v_add_co_u32 v47, vcc_lo, s8, v47
	s_wait_alu 0xfffd
	v_add_co_ci_u32_e64 v48, null, s9, v48, vcc_lo
	v_add_nc_u32_e32 v17, 4, v41
	v_add_co_u32 v63, vcc_lo, s8, v63
	s_wait_alu 0xfffd
	v_add_co_ci_u32_e64 v64, null, s9, v64, vcc_lo
	s_clause 0x2
	global_load_b64 v[65:66], v[45:46], off
	global_load_b64 v[67:68], v[47:48], off
	;; [unrolled: 1-line block ×3, first 2 shown]
	v_lshlrev_b64_e32 v[41:42], 3, v[17:18]
	v_add_nc_u32_e32 v17, -13, v16
	s_delay_alu instid0(VALU_DEP_1) | instskip(SKIP_1) | instid1(VALU_DEP_4)
	v_lshlrev_b64_e32 v[45:46], 3, v[17:18]
	v_add_nc_u32_e32 v17, -7, v16
	v_add_co_u32 v47, vcc_lo, s10, v41
	s_wait_alu 0xfffd
	v_add_co_ci_u32_e64 v48, null, s11, v42, vcc_lo
	s_delay_alu instid0(VALU_DEP_3) | instskip(SKIP_4) | instid1(VALU_DEP_3)
	v_lshlrev_b64_e32 v[41:42], 3, v[17:18]
	v_add_nc_u32_e32 v17, -1, v16
	v_add_co_u32 v69, vcc_lo, s8, v45
	s_wait_alu 0xfffd
	v_add_co_ci_u32_e64 v70, null, s9, v46, vcc_lo
	v_lshlrev_b64_e32 v[45:46], 3, v[17:18]
	v_add_co_u32 v71, vcc_lo, s8, v41
	s_wait_alu 0xfffd
	v_add_co_ci_u32_e64 v72, null, s9, v42, vcc_lo
	v_mov_b32_e32 v17, v18
	s_delay_alu instid0(VALU_DEP_4)
	v_add_co_u32 v73, vcc_lo, s8, v45
	s_wait_alu 0xfffd
	v_add_co_ci_u32_e64 v74, null, s9, v46, vcc_lo
	global_load_b128 v[41:44], v[43:44], off offset:32
	global_load_b128 v[45:48], v[47:48], off
	s_clause 0x2
	global_load_b64 v[69:70], v[69:70], off
	global_load_b64 v[71:72], v[71:72], off
	global_load_b64 v[73:74], v[73:74], off
	v_lshlrev_b64_e32 v[75:76], 3, v[16:17]
	v_add_nc_u32_e32 v17, -12, v16
	s_delay_alu instid0(VALU_DEP_1) | instskip(SKIP_1) | instid1(VALU_DEP_4)
	v_lshlrev_b64_e32 v[77:78], 3, v[17:18]
	v_add_nc_u32_e32 v17, -6, v16
	v_add_co_u32 v75, vcc_lo, s8, v75
	s_wait_alu 0xfffd
	v_add_co_ci_u32_e64 v76, null, s9, v76, vcc_lo
	s_delay_alu instid0(VALU_DEP_3) | instskip(SKIP_4) | instid1(VALU_DEP_4)
	v_lshlrev_b64_e32 v[79:80], 3, v[17:18]
	v_add_co_u32 v77, vcc_lo, s8, v77
	s_wait_alu 0xfffd
	v_add_co_ci_u32_e64 v78, null, s9, v78, vcc_lo
	v_add_nc_u32_e32 v16, 0x600, v16
	v_add_co_u32 v79, vcc_lo, s8, v79
	s_wait_alu 0xfffd
	v_add_co_ci_u32_e64 v80, null, s9, v80, vcc_lo
	s_clause 0x2
	global_load_b64 v[77:78], v[77:78], off
	global_load_b64 v[79:80], v[79:80], off
	;; [unrolled: 1-line block ×3, first 2 shown]
	v_cmp_ge_i32_e32 vcc_lo, v14, v20
	s_wait_alu 0xfffe
	s_or_b32 s2, vcc_lo, s2
	s_wait_loadcnt 0x11
	v_fma_f64 v[6:7], v[29:30], v[33:34], v[6:7]
	v_fma_f64 v[12:13], v[21:22], v[33:34], v[12:13]
	;; [unrolled: 1-line block ×4, first 2 shown]
	s_delay_alu instid0(VALU_DEP_4) | instskip(NEXT) | instid1(VALU_DEP_4)
	v_fma_f64 v[6:7], v[31:32], v[35:36], v[6:7]
	v_fma_f64 v[12:13], v[23:24], v[35:36], v[12:13]
	s_wait_loadcnt 0x10
	s_delay_alu instid0(VALU_DEP_4) | instskip(SKIP_1) | instid1(VALU_DEP_4)
	v_fma_f64 v[10:11], v[53:54], v[35:36], v[10:11]
	s_wait_loadcnt 0xf
	v_fma_f64 v[8:9], v[55:56], v[35:36], v[8:9]
	s_wait_loadcnt 0xe
	s_delay_alu instid0(VALU_DEP_4) | instskip(SKIP_1) | instid1(VALU_DEP_4)
	v_fma_f64 v[6:7], v[25:26], v[37:38], v[6:7]
	s_wait_loadcnt 0xd
	;; [unrolled: 5-line block ×3, first 2 shown]
	v_fma_f64 v[8:9], v[57:58], v[37:38], v[8:9]
	s_delay_alu instid0(VALU_DEP_4) | instskip(SKIP_1) | instid1(VALU_DEP_4)
	v_fma_f64 v[6:7], v[27:28], v[39:40], v[6:7]
	s_wait_loadcnt 0xa
	v_fma_f64 v[12:13], v[65:66], v[39:40], v[12:13]
	s_wait_loadcnt 0x9
	s_delay_alu instid0(VALU_DEP_4) | instskip(SKIP_1) | instid1(VALU_DEP_4)
	v_fma_f64 v[10:11], v[67:68], v[39:40], v[10:11]
	s_wait_loadcnt 0x8
	v_fma_f64 v[8:9], v[63:64], v[39:40], v[8:9]
	s_wait_loadcnt 0x6
	;; [unrolled: 5-line block ×3, first 2 shown]
	s_delay_alu instid0(VALU_DEP_4) | instskip(SKIP_1) | instid1(VALU_DEP_4)
	v_fma_f64 v[10:11], v[71:72], v[45:46], v[10:11]
	s_wait_loadcnt 0x3
	v_fma_f64 v[8:9], v[73:74], v[45:46], v[8:9]
	s_delay_alu instid0(VALU_DEP_4) | instskip(SKIP_1) | instid1(VALU_DEP_4)
	v_fma_f64 v[6:7], v[43:44], v[47:48], v[6:7]
	s_wait_loadcnt 0x2
	v_fma_f64 v[12:13], v[77:78], v[47:48], v[12:13]
	s_wait_loadcnt 0x1
	s_delay_alu instid0(VALU_DEP_4) | instskip(SKIP_1) | instid1(VALU_DEP_4)
	v_fma_f64 v[10:11], v[79:80], v[47:48], v[10:11]
	s_wait_loadcnt 0x0
	v_fma_f64 v[8:9], v[75:76], v[47:48], v[8:9]
	s_wait_alu 0xfffe
	s_and_not1_b32 exec_lo, exec_lo, s2
	s_cbranch_execnz .LBB61_15
; %bb.16:
	s_or_b32 exec_lo, exec_lo, s2
.LBB61_17:
	s_wait_alu 0xfffe
	s_or_b32 exec_lo, exec_lo, s3
.LBB61_18:
	v_mbcnt_lo_u32_b32 v24, -1, 0
	s_delay_alu instid0(VALU_DEP_1) | instskip(NEXT) | instid1(VALU_DEP_1)
	v_or_b32_e32 v14, 32, v24
	v_cmp_gt_i32_e32 vcc_lo, 32, v14
	s_wait_alu 0xfffd
	v_cndmask_b32_e32 v14, v24, v14, vcc_lo
	s_delay_alu instid0(VALU_DEP_1)
	v_lshlrev_b32_e32 v21, 2, v14
	ds_bpermute_b32 v14, v21, v6
	ds_bpermute_b32 v15, v21, v7
	ds_bpermute_b32 v16, v21, v12
	ds_bpermute_b32 v17, v21, v13
	ds_bpermute_b32 v18, v21, v10
	ds_bpermute_b32 v19, v21, v11
	ds_bpermute_b32 v20, v21, v8
	ds_bpermute_b32 v21, v21, v9
	s_wait_dscnt 0x6
	v_add_f64_e32 v[6:7], v[6:7], v[14:15]
	v_xor_b32_e32 v14, 16, v24
	s_wait_dscnt 0x4
	v_add_f64_e32 v[12:13], v[12:13], v[16:17]
	s_wait_dscnt 0x2
	v_add_f64_e32 v[10:11], v[10:11], v[18:19]
	s_wait_dscnt 0x0
	v_add_f64_e32 v[8:9], v[8:9], v[20:21]
	v_cmp_gt_i32_e32 vcc_lo, 32, v14
	s_wait_alu 0xfffd
	v_cndmask_b32_e32 v14, v24, v14, vcc_lo
	s_delay_alu instid0(VALU_DEP_1)
	v_lshlrev_b32_e32 v21, 2, v14
	ds_bpermute_b32 v14, v21, v6
	ds_bpermute_b32 v15, v21, v7
	ds_bpermute_b32 v16, v21, v12
	ds_bpermute_b32 v17, v21, v13
	ds_bpermute_b32 v18, v21, v10
	ds_bpermute_b32 v19, v21, v11
	ds_bpermute_b32 v20, v21, v8
	ds_bpermute_b32 v21, v21, v9
	s_wait_dscnt 0x6
	v_add_f64_e32 v[6:7], v[6:7], v[14:15]
	v_xor_b32_e32 v14, 8, v24
	s_wait_dscnt 0x4
	v_add_f64_e32 v[12:13], v[12:13], v[16:17]
	s_wait_dscnt 0x2
	v_add_f64_e32 v[10:11], v[10:11], v[18:19]
	s_wait_dscnt 0x0
	v_add_f64_e32 v[8:9], v[8:9], v[20:21]
	;; [unrolled: 22-line block ×3, first 2 shown]
	v_cmp_gt_i32_e32 vcc_lo, 32, v14
	s_wait_alu 0xfffd
	v_cndmask_b32_e32 v14, v24, v14, vcc_lo
	s_delay_alu instid0(VALU_DEP_1)
	v_lshlrev_b32_e32 v21, 2, v14
	ds_bpermute_b32 v14, v21, v6
	ds_bpermute_b32 v15, v21, v7
	;; [unrolled: 1-line block ×8, first 2 shown]
	s_wait_dscnt 0x6
	v_add_f64_e32 v[6:7], v[6:7], v[14:15]
	s_wait_dscnt 0x4
	v_add_f64_e32 v[14:15], v[12:13], v[16:17]
	;; [unrolled: 2-line block ×3, first 2 shown]
	v_xor_b32_e32 v10, 2, v24
	s_wait_dscnt 0x0
	v_add_f64_e32 v[8:9], v[8:9], v[20:21]
	s_delay_alu instid0(VALU_DEP_2) | instskip(SKIP_2) | instid1(VALU_DEP_1)
	v_cmp_gt_i32_e32 vcc_lo, 32, v10
	s_wait_alu 0xfffd
	v_cndmask_b32_e32 v10, v24, v10, vcc_lo
	v_lshlrev_b32_e32 v12, 2, v10
	ds_bpermute_b32 v10, v12, v6
	ds_bpermute_b32 v11, v12, v7
	;; [unrolled: 1-line block ×8, first 2 shown]
	s_wait_dscnt 0x6
	v_add_f64_e32 v[12:13], v[6:7], v[10:11]
	s_wait_dscnt 0x4
	v_add_f64_e32 v[10:11], v[14:15], v[18:19]
	v_xor_b32_e32 v14, 1, v24
	s_wait_dscnt 0x2
	v_add_f64_e32 v[6:7], v[16:17], v[20:21]
	s_wait_dscnt 0x0
	v_add_f64_e32 v[8:9], v[8:9], v[22:23]
	v_cmp_gt_i32_e32 vcc_lo, 32, v14
	s_wait_alu 0xfffd
	v_cndmask_b32_e32 v14, v24, v14, vcc_lo
	v_cmp_eq_u32_e32 vcc_lo, 63, v0
	s_delay_alu instid0(VALU_DEP_2)
	v_lshlrev_b32_e32 v15, 2, v14
	ds_bpermute_b32 v20, v15, v12
	ds_bpermute_b32 v21, v15, v13
	;; [unrolled: 1-line block ×8, first 2 shown]
	s_and_b32 exec_lo, exec_lo, vcc_lo
	s_cbranch_execz .LBB61_23
; %bb.19:
	s_wait_dscnt 0x6
	v_add_f64_e32 v[12:13], v[12:13], v[20:21]
	s_wait_dscnt 0x4
	v_add_f64_e32 v[10:11], v[10:11], v[18:19]
	s_wait_dscnt 0x2
	v_add_f64_e32 v[6:7], v[6:7], v[16:17]
	s_wait_dscnt 0x0
	v_add_f64_e32 v[8:9], v[8:9], v[14:15]
	s_load_b64 s[0:1], s[0:1], 0x38
	s_mov_b32 s2, exec_lo
	v_cmpx_eq_f64_e32 0, v[3:4]
	s_wait_alu 0xfffe
	s_xor_b32 s2, exec_lo, s2
	s_cbranch_execz .LBB61_21
; %bb.20:
	v_mul_f64_e32 v[12:13], v[1:2], v[12:13]
	v_mul_f64_e32 v[14:15], v[1:2], v[10:11]
	;; [unrolled: 1-line block ×4, first 2 shown]
	v_lshlrev_b32_e32 v0, 2, v5
                                        ; implicit-def: $vgpr5
                                        ; implicit-def: $vgpr3_vgpr4
                                        ; implicit-def: $vgpr10_vgpr11
	s_delay_alu instid0(VALU_DEP_1) | instskip(NEXT) | instid1(VALU_DEP_1)
	v_ashrrev_i32_e32 v1, 31, v0
	v_lshlrev_b64_e32 v[0:1], 3, v[0:1]
	s_wait_kmcnt 0x0
	s_delay_alu instid0(VALU_DEP_1) | instskip(SKIP_1) | instid1(VALU_DEP_2)
	v_add_co_u32 v0, vcc_lo, s0, v0
	s_wait_alu 0xfffd
	v_add_co_ci_u32_e64 v1, null, s1, v1, vcc_lo
	s_clause 0x1
	global_store_b128 v[0:1], v[12:15], off
	global_store_b128 v[0:1], v[6:9], off offset:16
                                        ; implicit-def: $vgpr1_vgpr2
                                        ; implicit-def: $vgpr12_vgpr13
                                        ; implicit-def: $vgpr6_vgpr7
                                        ; implicit-def: $vgpr8_vgpr9
.LBB61_21:
	s_wait_alu 0xfffe
	s_and_not1_saveexec_b32 s2, s2
	s_cbranch_execz .LBB61_23
; %bb.22:
	v_lshlrev_b32_e32 v14, 2, v5
	v_mul_f64_e32 v[12:13], v[1:2], v[12:13]
	v_mul_f64_e32 v[10:11], v[1:2], v[10:11]
	v_mul_f64_e32 v[24:25], v[1:2], v[6:7]
	v_mul_f64_e32 v[26:27], v[1:2], v[8:9]
	v_ashrrev_i32_e32 v15, 31, v14
	s_delay_alu instid0(VALU_DEP_1) | instskip(SKIP_1) | instid1(VALU_DEP_1)
	v_lshlrev_b64_e32 v[14:15], 3, v[14:15]
	s_wait_kmcnt 0x0
	v_add_co_u32 v22, vcc_lo, s0, v14
	s_wait_alu 0xfffd
	s_delay_alu instid0(VALU_DEP_2)
	v_add_co_ci_u32_e64 v23, null, s1, v15, vcc_lo
	s_clause 0x1
	global_load_b128 v[14:17], v[22:23], off
	global_load_b128 v[18:21], v[22:23], off offset:16
	s_wait_loadcnt 0x1
	v_fma_f64 v[5:6], v[3:4], v[14:15], v[12:13]
	v_fma_f64 v[7:8], v[3:4], v[16:17], v[10:11]
	s_wait_loadcnt 0x0
	v_fma_f64 v[0:1], v[3:4], v[18:19], v[24:25]
	v_fma_f64 v[2:3], v[3:4], v[20:21], v[26:27]
	s_clause 0x1
	global_store_b128 v[22:23], v[5:8], off
	global_store_b128 v[22:23], v[0:3], off offset:16
.LBB61_23:
	s_endpgm
	.section	.rodata,"a",@progbits
	.p2align	6, 0x0
	.amdhsa_kernel _ZN9rocsparseL19gebsrmvn_4xn_kernelILj128ELj6ELj64EdEEvi20rocsparse_direction_NS_24const_host_device_scalarIT2_EEPKiS6_PKS3_S8_S4_PS3_21rocsparse_index_base_b
		.amdhsa_group_segment_fixed_size 0
		.amdhsa_private_segment_fixed_size 0
		.amdhsa_kernarg_size 72
		.amdhsa_user_sgpr_count 2
		.amdhsa_user_sgpr_dispatch_ptr 0
		.amdhsa_user_sgpr_queue_ptr 0
		.amdhsa_user_sgpr_kernarg_segment_ptr 1
		.amdhsa_user_sgpr_dispatch_id 0
		.amdhsa_user_sgpr_private_segment_size 0
		.amdhsa_wavefront_size32 1
		.amdhsa_uses_dynamic_stack 0
		.amdhsa_enable_private_segment 0
		.amdhsa_system_sgpr_workgroup_id_x 1
		.amdhsa_system_sgpr_workgroup_id_y 0
		.amdhsa_system_sgpr_workgroup_id_z 0
		.amdhsa_system_sgpr_workgroup_info 0
		.amdhsa_system_vgpr_workitem_id 0
		.amdhsa_next_free_vgpr 81
		.amdhsa_next_free_sgpr 14
		.amdhsa_reserve_vcc 1
		.amdhsa_float_round_mode_32 0
		.amdhsa_float_round_mode_16_64 0
		.amdhsa_float_denorm_mode_32 3
		.amdhsa_float_denorm_mode_16_64 3
		.amdhsa_fp16_overflow 0
		.amdhsa_workgroup_processor_mode 1
		.amdhsa_memory_ordered 1
		.amdhsa_forward_progress 1
		.amdhsa_inst_pref_size 29
		.amdhsa_round_robin_scheduling 0
		.amdhsa_exception_fp_ieee_invalid_op 0
		.amdhsa_exception_fp_denorm_src 0
		.amdhsa_exception_fp_ieee_div_zero 0
		.amdhsa_exception_fp_ieee_overflow 0
		.amdhsa_exception_fp_ieee_underflow 0
		.amdhsa_exception_fp_ieee_inexact 0
		.amdhsa_exception_int_div_zero 0
	.end_amdhsa_kernel
	.section	.text._ZN9rocsparseL19gebsrmvn_4xn_kernelILj128ELj6ELj64EdEEvi20rocsparse_direction_NS_24const_host_device_scalarIT2_EEPKiS6_PKS3_S8_S4_PS3_21rocsparse_index_base_b,"axG",@progbits,_ZN9rocsparseL19gebsrmvn_4xn_kernelILj128ELj6ELj64EdEEvi20rocsparse_direction_NS_24const_host_device_scalarIT2_EEPKiS6_PKS3_S8_S4_PS3_21rocsparse_index_base_b,comdat
.Lfunc_end61:
	.size	_ZN9rocsparseL19gebsrmvn_4xn_kernelILj128ELj6ELj64EdEEvi20rocsparse_direction_NS_24const_host_device_scalarIT2_EEPKiS6_PKS3_S8_S4_PS3_21rocsparse_index_base_b, .Lfunc_end61-_ZN9rocsparseL19gebsrmvn_4xn_kernelILj128ELj6ELj64EdEEvi20rocsparse_direction_NS_24const_host_device_scalarIT2_EEPKiS6_PKS3_S8_S4_PS3_21rocsparse_index_base_b
                                        ; -- End function
	.set _ZN9rocsparseL19gebsrmvn_4xn_kernelILj128ELj6ELj64EdEEvi20rocsparse_direction_NS_24const_host_device_scalarIT2_EEPKiS6_PKS3_S8_S4_PS3_21rocsparse_index_base_b.num_vgpr, 81
	.set _ZN9rocsparseL19gebsrmvn_4xn_kernelILj128ELj6ELj64EdEEvi20rocsparse_direction_NS_24const_host_device_scalarIT2_EEPKiS6_PKS3_S8_S4_PS3_21rocsparse_index_base_b.num_agpr, 0
	.set _ZN9rocsparseL19gebsrmvn_4xn_kernelILj128ELj6ELj64EdEEvi20rocsparse_direction_NS_24const_host_device_scalarIT2_EEPKiS6_PKS3_S8_S4_PS3_21rocsparse_index_base_b.numbered_sgpr, 14
	.set _ZN9rocsparseL19gebsrmvn_4xn_kernelILj128ELj6ELj64EdEEvi20rocsparse_direction_NS_24const_host_device_scalarIT2_EEPKiS6_PKS3_S8_S4_PS3_21rocsparse_index_base_b.num_named_barrier, 0
	.set _ZN9rocsparseL19gebsrmvn_4xn_kernelILj128ELj6ELj64EdEEvi20rocsparse_direction_NS_24const_host_device_scalarIT2_EEPKiS6_PKS3_S8_S4_PS3_21rocsparse_index_base_b.private_seg_size, 0
	.set _ZN9rocsparseL19gebsrmvn_4xn_kernelILj128ELj6ELj64EdEEvi20rocsparse_direction_NS_24const_host_device_scalarIT2_EEPKiS6_PKS3_S8_S4_PS3_21rocsparse_index_base_b.uses_vcc, 1
	.set _ZN9rocsparseL19gebsrmvn_4xn_kernelILj128ELj6ELj64EdEEvi20rocsparse_direction_NS_24const_host_device_scalarIT2_EEPKiS6_PKS3_S8_S4_PS3_21rocsparse_index_base_b.uses_flat_scratch, 0
	.set _ZN9rocsparseL19gebsrmvn_4xn_kernelILj128ELj6ELj64EdEEvi20rocsparse_direction_NS_24const_host_device_scalarIT2_EEPKiS6_PKS3_S8_S4_PS3_21rocsparse_index_base_b.has_dyn_sized_stack, 0
	.set _ZN9rocsparseL19gebsrmvn_4xn_kernelILj128ELj6ELj64EdEEvi20rocsparse_direction_NS_24const_host_device_scalarIT2_EEPKiS6_PKS3_S8_S4_PS3_21rocsparse_index_base_b.has_recursion, 0
	.set _ZN9rocsparseL19gebsrmvn_4xn_kernelILj128ELj6ELj64EdEEvi20rocsparse_direction_NS_24const_host_device_scalarIT2_EEPKiS6_PKS3_S8_S4_PS3_21rocsparse_index_base_b.has_indirect_call, 0
	.section	.AMDGPU.csdata,"",@progbits
; Kernel info:
; codeLenInByte = 3680
; TotalNumSgprs: 16
; NumVgprs: 81
; ScratchSize: 0
; MemoryBound: 1
; FloatMode: 240
; IeeeMode: 1
; LDSByteSize: 0 bytes/workgroup (compile time only)
; SGPRBlocks: 0
; VGPRBlocks: 10
; NumSGPRsForWavesPerEU: 16
; NumVGPRsForWavesPerEU: 81
; Occupancy: 16
; WaveLimiterHint : 1
; COMPUTE_PGM_RSRC2:SCRATCH_EN: 0
; COMPUTE_PGM_RSRC2:USER_SGPR: 2
; COMPUTE_PGM_RSRC2:TRAP_HANDLER: 0
; COMPUTE_PGM_RSRC2:TGID_X_EN: 1
; COMPUTE_PGM_RSRC2:TGID_Y_EN: 0
; COMPUTE_PGM_RSRC2:TGID_Z_EN: 0
; COMPUTE_PGM_RSRC2:TIDIG_COMP_CNT: 0
	.section	.text._ZN9rocsparseL19gebsrmvn_4xn_kernelILj128ELj7ELj4EdEEvi20rocsparse_direction_NS_24const_host_device_scalarIT2_EEPKiS6_PKS3_S8_S4_PS3_21rocsparse_index_base_b,"axG",@progbits,_ZN9rocsparseL19gebsrmvn_4xn_kernelILj128ELj7ELj4EdEEvi20rocsparse_direction_NS_24const_host_device_scalarIT2_EEPKiS6_PKS3_S8_S4_PS3_21rocsparse_index_base_b,comdat
	.globl	_ZN9rocsparseL19gebsrmvn_4xn_kernelILj128ELj7ELj4EdEEvi20rocsparse_direction_NS_24const_host_device_scalarIT2_EEPKiS6_PKS3_S8_S4_PS3_21rocsparse_index_base_b ; -- Begin function _ZN9rocsparseL19gebsrmvn_4xn_kernelILj128ELj7ELj4EdEEvi20rocsparse_direction_NS_24const_host_device_scalarIT2_EEPKiS6_PKS3_S8_S4_PS3_21rocsparse_index_base_b
	.p2align	8
	.type	_ZN9rocsparseL19gebsrmvn_4xn_kernelILj128ELj7ELj4EdEEvi20rocsparse_direction_NS_24const_host_device_scalarIT2_EEPKiS6_PKS3_S8_S4_PS3_21rocsparse_index_base_b,@function
_ZN9rocsparseL19gebsrmvn_4xn_kernelILj128ELj7ELj4EdEEvi20rocsparse_direction_NS_24const_host_device_scalarIT2_EEPKiS6_PKS3_S8_S4_PS3_21rocsparse_index_base_b: ; @_ZN9rocsparseL19gebsrmvn_4xn_kernelILj128ELj7ELj4EdEEvi20rocsparse_direction_NS_24const_host_device_scalarIT2_EEPKiS6_PKS3_S8_S4_PS3_21rocsparse_index_base_b
; %bb.0:
	s_clause 0x2
	s_load_b64 s[12:13], s[0:1], 0x40
	s_load_b64 s[4:5], s[0:1], 0x8
	s_load_b64 s[2:3], s[0:1], 0x30
	s_wait_kmcnt 0x0
	s_bitcmp1_b32 s13, 0
	v_dual_mov_b32 v1, s4 :: v_dual_mov_b32 v2, s5
	s_cselect_b32 s6, -1, 0
	s_delay_alu instid0(SALU_CYCLE_1)
	s_and_b32 vcc_lo, exec_lo, s6
	s_xor_b32 s6, s6, -1
	s_cbranch_vccnz .LBB62_2
; %bb.1:
	v_dual_mov_b32 v1, s4 :: v_dual_mov_b32 v2, s5
	flat_load_b64 v[1:2], v[1:2]
.LBB62_2:
	v_dual_mov_b32 v4, s3 :: v_dual_mov_b32 v3, s2
	s_and_not1_b32 vcc_lo, exec_lo, s6
	s_cbranch_vccnz .LBB62_4
; %bb.3:
	v_dual_mov_b32 v4, s3 :: v_dual_mov_b32 v3, s2
	flat_load_b64 v[3:4], v[3:4]
.LBB62_4:
	s_wait_loadcnt_dscnt 0x0
	v_cmp_neq_f64_e32 vcc_lo, 0, v[1:2]
	v_cmp_neq_f64_e64 s2, 1.0, v[3:4]
	s_or_b32 s2, vcc_lo, s2
	s_wait_alu 0xfffe
	s_and_saveexec_b32 s3, s2
	s_cbranch_execz .LBB62_23
; %bb.5:
	s_load_b64 s[2:3], s[0:1], 0x0
	v_lshrrev_b32_e32 v5, 2, v0
	s_delay_alu instid0(VALU_DEP_1) | instskip(SKIP_1) | instid1(VALU_DEP_1)
	v_lshl_or_b32 v5, ttmp9, 5, v5
	s_wait_kmcnt 0x0
	v_cmp_gt_i32_e32 vcc_lo, s2, v5
	s_and_b32 exec_lo, exec_lo, vcc_lo
	s_cbranch_execz .LBB62_23
; %bb.6:
	s_load_b256 s[4:11], s[0:1], 0x10
	v_ashrrev_i32_e32 v6, 31, v5
	v_and_b32_e32 v0, 3, v0
	s_cmp_lg_u32 s3, 0
	s_delay_alu instid0(VALU_DEP_2) | instskip(SKIP_1) | instid1(VALU_DEP_1)
	v_lshlrev_b64_e32 v[6:7], 2, v[5:6]
	s_wait_kmcnt 0x0
	v_add_co_u32 v6, vcc_lo, s4, v6
	s_delay_alu instid0(VALU_DEP_1) | instskip(SKIP_4) | instid1(VALU_DEP_2)
	v_add_co_ci_u32_e64 v7, null, s5, v7, vcc_lo
	global_load_b64 v[6:7], v[6:7], off
	s_wait_loadcnt 0x0
	v_subrev_nc_u32_e32 v6, s12, v6
	v_subrev_nc_u32_e32 v21, s12, v7
	v_add_nc_u32_e32 v6, v6, v0
	s_delay_alu instid0(VALU_DEP_1)
	v_cmp_lt_i32_e64 s2, v6, v21
	s_cbranch_scc0 .LBB62_12
; %bb.7:
	v_mov_b32_e32 v8, 0
	v_dual_mov_b32 v12, 0 :: v_dual_mov_b32 v9, 0
	v_dual_mov_b32 v10, 0 :: v_dual_mov_b32 v13, 0
	;; [unrolled: 1-line block ×3, first 2 shown]
	v_mov_b32_e32 v15, 0
	s_and_saveexec_b32 s3, s2
	s_cbranch_execz .LBB62_11
; %bb.8:
	v_mad_co_u64_u32 v[16:17], null, v6, 28, 24
	v_mov_b32_e32 v8, 0
	v_mov_b32_e32 v10, 0
	;; [unrolled: 1-line block ×3, first 2 shown]
	v_dual_mov_b32 v14, 0 :: v_dual_mov_b32 v19, v6
	v_dual_mov_b32 v9, 0 :: v_dual_mov_b32 v18, 0
	v_mov_b32_e32 v11, 0
	v_mov_b32_e32 v13, 0
	;; [unrolled: 1-line block ×3, first 2 shown]
	s_mov_b32 s4, 0
.LBB62_9:                               ; =>This Inner Loop Header: Depth=1
	v_ashrrev_i32_e32 v20, 31, v19
	v_subrev_nc_u32_e32 v17, 24, v16
	v_mov_b32_e32 v75, v18
	s_delay_alu instid0(VALU_DEP_3) | instskip(SKIP_1) | instid1(VALU_DEP_2)
	v_lshlrev_b64_e32 v[22:23], 2, v[19:20]
	v_add_nc_u32_e32 v19, 4, v19
	v_add_co_u32 v22, vcc_lo, s6, v22
	s_wait_alu 0xfffd
	s_delay_alu instid0(VALU_DEP_3) | instskip(SKIP_3) | instid1(VALU_DEP_2)
	v_add_co_ci_u32_e64 v23, null, s7, v23, vcc_lo
	global_load_b32 v7, v[22:23], off
	v_lshlrev_b64_e32 v[22:23], 3, v[17:18]
	v_subrev_nc_u32_e32 v17, 20, v16
	v_add_co_u32 v26, vcc_lo, s8, v22
	s_wait_alu 0xfffd
	s_delay_alu instid0(VALU_DEP_3) | instskip(SKIP_3) | instid1(VALU_DEP_1)
	v_add_co_ci_u32_e64 v27, null, s9, v23, vcc_lo
	global_load_b128 v[22:25], v[26:27], off offset:16
	s_wait_loadcnt 0x1
	v_subrev_nc_u32_e32 v7, s12, v7
	v_mul_lo_u32 v74, v7, 7
	s_delay_alu instid0(VALU_DEP_1) | instskip(NEXT) | instid1(VALU_DEP_1)
	v_lshlrev_b64_e32 v[28:29], 3, v[74:75]
	v_add_co_u32 v30, vcc_lo, s10, v28
	s_wait_alu 0xfffd
	s_delay_alu instid0(VALU_DEP_2) | instskip(SKIP_4) | instid1(VALU_DEP_1)
	v_add_co_ci_u32_e64 v31, null, s11, v29, vcc_lo
	global_load_b128 v[26:29], v[26:27], off
	global_load_b64 v[78:79], v[30:31], off
	v_lshlrev_b64_e32 v[30:31], 3, v[17:18]
	v_add_nc_u32_e32 v17, 1, v74
	v_lshlrev_b64_e32 v[36:37], 3, v[17:18]
	s_delay_alu instid0(VALU_DEP_3) | instskip(SKIP_1) | instid1(VALU_DEP_4)
	v_add_co_u32 v34, vcc_lo, s8, v30
	s_wait_alu 0xfffd
	v_add_co_ci_u32_e64 v35, null, s9, v31, vcc_lo
	v_add_nc_u32_e32 v17, -16, v16
	s_delay_alu instid0(VALU_DEP_4)
	v_add_co_u32 v38, vcc_lo, s10, v36
	s_wait_alu 0xfffd
	v_add_co_ci_u32_e64 v39, null, s11, v37, vcc_lo
	s_clause 0x1
	global_load_b128 v[30:33], v[34:35], off offset:16
	global_load_b128 v[34:37], v[34:35], off
	global_load_b64 v[80:81], v[38:39], off
	v_lshlrev_b64_e32 v[38:39], 3, v[17:18]
	v_add_nc_u32_e32 v17, 2, v74
	s_delay_alu instid0(VALU_DEP_1) | instskip(NEXT) | instid1(VALU_DEP_3)
	v_lshlrev_b64_e32 v[40:41], 3, v[17:18]
	v_add_co_u32 v42, vcc_lo, s8, v38
	s_wait_alu 0xfffd
	s_delay_alu instid0(VALU_DEP_4) | instskip(SKIP_1) | instid1(VALU_DEP_4)
	v_add_co_ci_u32_e64 v43, null, s9, v39, vcc_lo
	v_add_nc_u32_e32 v17, -12, v16
	v_add_co_u32 v46, vcc_lo, s10, v40
	s_wait_alu 0xfffd
	v_add_co_ci_u32_e64 v47, null, s11, v41, vcc_lo
	s_clause 0x1
	global_load_b128 v[38:41], v[42:43], off offset:16
	global_load_b128 v[42:45], v[42:43], off
	global_load_b64 v[82:83], v[46:47], off
	v_lshlrev_b64_e32 v[46:47], 3, v[17:18]
	v_add_nc_u32_e32 v17, 3, v74
	s_delay_alu instid0(VALU_DEP_1) | instskip(NEXT) | instid1(VALU_DEP_3)
	v_lshlrev_b64_e32 v[48:49], 3, v[17:18]
	v_add_co_u32 v50, vcc_lo, s8, v46
	s_wait_alu 0xfffd
	s_delay_alu instid0(VALU_DEP_4) | instskip(SKIP_1) | instid1(VALU_DEP_4)
	v_add_co_ci_u32_e64 v51, null, s9, v47, vcc_lo
	v_add_nc_u32_e32 v17, -8, v16
	;; [unrolled: 16-line block ×3, first 2 shown]
	v_add_co_u32 v62, vcc_lo, s10, v56
	s_wait_alu 0xfffd
	v_add_co_ci_u32_e64 v63, null, s11, v57, vcc_lo
	s_clause 0x1
	global_load_b128 v[54:57], v[58:59], off offset:16
	global_load_b128 v[58:61], v[58:59], off
	global_load_b64 v[86:87], v[62:63], off
	v_lshlrev_b64_e32 v[62:63], 3, v[17:18]
	v_add_nc_u32_e32 v17, 5, v74
	s_delay_alu instid0(VALU_DEP_1) | instskip(NEXT) | instid1(VALU_DEP_3)
	v_lshlrev_b64_e32 v[64:65], 3, v[17:18]
	v_add_co_u32 v66, vcc_lo, s8, v62
	s_wait_alu 0xfffd
	s_delay_alu instid0(VALU_DEP_4) | instskip(SKIP_1) | instid1(VALU_DEP_4)
	v_add_co_ci_u32_e64 v67, null, s9, v63, vcc_lo
	v_mov_b32_e32 v17, v18
	v_add_co_u32 v70, vcc_lo, s10, v64
	s_wait_alu 0xfffd
	v_add_co_ci_u32_e64 v71, null, s11, v65, vcc_lo
	s_clause 0x1
	global_load_b128 v[62:65], v[66:67], off offset:16
	global_load_b128 v[66:69], v[66:67], off
	global_load_b64 v[88:89], v[70:71], off
	v_lshlrev_b64_e32 v[70:71], 3, v[16:17]
	v_add_nc_u32_e32 v17, 6, v74
	v_add_nc_u32_e32 v16, 0x70, v16
	s_delay_alu instid0(VALU_DEP_2) | instskip(NEXT) | instid1(VALU_DEP_4)
	v_lshlrev_b64_e32 v[90:91], 3, v[17:18]
	v_add_co_u32 v75, vcc_lo, s8, v70
	s_wait_alu 0xfffd
	v_add_co_ci_u32_e64 v76, null, s9, v71, vcc_lo
	s_delay_alu instid0(VALU_DEP_3)
	v_add_co_u32 v90, vcc_lo, s10, v90
	s_wait_alu 0xfffd
	v_add_co_ci_u32_e64 v91, null, s11, v91, vcc_lo
	s_clause 0x1
	global_load_b128 v[70:73], v[75:76], off offset:16
	global_load_b128 v[74:77], v[75:76], off
	global_load_b64 v[90:91], v[90:91], off
	v_cmp_ge_i32_e32 vcc_lo, v19, v21
	s_wait_alu 0xfffe
	s_or_b32 s4, vcc_lo, s4
	s_wait_loadcnt 0x12
	v_fma_f64 v[7:8], v[26:27], v[78:79], v[8:9]
	v_fma_f64 v[14:15], v[28:29], v[78:79], v[14:15]
	;; [unrolled: 1-line block ×4, first 2 shown]
	s_wait_loadcnt 0xf
	s_delay_alu instid0(VALU_DEP_4) | instskip(NEXT) | instid1(VALU_DEP_4)
	v_fma_f64 v[7:8], v[34:35], v[80:81], v[7:8]
	v_fma_f64 v[14:15], v[36:37], v[80:81], v[14:15]
	s_delay_alu instid0(VALU_DEP_4) | instskip(NEXT) | instid1(VALU_DEP_4)
	v_fma_f64 v[11:12], v[30:31], v[80:81], v[12:13]
	v_fma_f64 v[9:10], v[32:33], v[80:81], v[9:10]
	s_wait_loadcnt 0xc
	s_delay_alu instid0(VALU_DEP_4) | instskip(NEXT) | instid1(VALU_DEP_4)
	v_fma_f64 v[7:8], v[42:43], v[82:83], v[7:8]
	v_fma_f64 v[13:14], v[44:45], v[82:83], v[14:15]
	s_delay_alu instid0(VALU_DEP_4) | instskip(NEXT) | instid1(VALU_DEP_4)
	v_fma_f64 v[11:12], v[38:39], v[82:83], v[11:12]
	v_fma_f64 v[9:10], v[40:41], v[82:83], v[9:10]
	;; [unrolled: 7-line block ×6, first 2 shown]
	s_wait_alu 0xfffe
	s_and_not1_b32 exec_lo, exec_lo, s4
	s_cbranch_execnz .LBB62_9
; %bb.10:
	s_or_b32 exec_lo, exec_lo, s4
.LBB62_11:
	s_wait_alu 0xfffe
	s_or_b32 exec_lo, exec_lo, s3
	s_cbranch_execz .LBB62_13
	s_branch .LBB62_18
.LBB62_12:
                                        ; implicit-def: $vgpr8_vgpr9
                                        ; implicit-def: $vgpr10_vgpr11
                                        ; implicit-def: $vgpr12_vgpr13
                                        ; implicit-def: $vgpr14_vgpr15
.LBB62_13:
	v_mov_b32_e32 v8, 0
	v_dual_mov_b32 v12, 0 :: v_dual_mov_b32 v9, 0
	v_dual_mov_b32 v10, 0 :: v_dual_mov_b32 v13, 0
	;; [unrolled: 1-line block ×3, first 2 shown]
	v_mov_b32_e32 v15, 0
	s_and_saveexec_b32 s3, s2
	s_cbranch_execz .LBB62_17
; %bb.14:
	v_mad_co_u64_u32 v[16:17], null, v6, 28, 27
	v_mov_b32_e32 v8, 0
	v_dual_mov_b32 v12, 0 :: v_dual_mov_b32 v9, 0
	v_dual_mov_b32 v10, 0 :: v_dual_mov_b32 v13, 0
	;; [unrolled: 1-line block ×3, first 2 shown]
	v_mov_b32_e32 v15, 0
	v_mov_b32_e32 v19, 0
	s_mov_b32 s2, 0
.LBB62_15:                              ; =>This Inner Loop Header: Depth=1
	v_ashrrev_i32_e32 v7, 31, v6
	v_subrev_nc_u32_e32 v22, 20, v16
	s_delay_alu instid0(VALU_DEP_3) | instskip(SKIP_1) | instid1(VALU_DEP_4)
	v_dual_mov_b32 v23, v19 :: v_dual_add_nc_u32 v26, -6, v16
	v_dual_mov_b32 v31, v19 :: v_dual_add_nc_u32 v24, -13, v16
	v_lshlrev_b64_e32 v[17:18], 2, v[6:7]
	v_mov_b32_e32 v27, v19
	s_delay_alu instid0(VALU_DEP_4) | instskip(SKIP_1) | instid1(VALU_DEP_3)
	v_lshlrev_b64_e32 v[22:23], 3, v[22:23]
	v_add_nc_u32_e32 v6, 4, v6
	v_lshlrev_b64_e32 v[26:27], 3, v[26:27]
	v_add_co_u32 v17, vcc_lo, s6, v17
	s_wait_alu 0xfffd
	v_add_co_ci_u32_e64 v18, null, s7, v18, vcc_lo
	global_load_b32 v7, v[17:18], off
	v_subrev_nc_u32_e32 v18, 27, v16
	v_mov_b32_e32 v17, v19
	s_delay_alu instid0(VALU_DEP_2) | instskip(NEXT) | instid1(VALU_DEP_2)
	v_lshlrev_b64_e32 v[28:29], 3, v[18:19]
	v_lshlrev_b64_e32 v[17:18], 3, v[16:17]
	s_delay_alu instid0(VALU_DEP_2) | instskip(SKIP_1) | instid1(VALU_DEP_3)
	v_add_co_u32 v28, vcc_lo, s8, v28
	s_wait_alu 0xfffd
	v_add_co_ci_u32_e64 v29, null, s9, v29, vcc_lo
	v_add_co_u32 v32, vcc_lo, s8, v22
	s_wait_alu 0xfffd
	v_add_co_ci_u32_e64 v33, null, s9, v23, vcc_lo
	s_wait_loadcnt 0x0
	v_subrev_nc_u32_e32 v7, s12, v7
	s_delay_alu instid0(VALU_DEP_1) | instskip(SKIP_1) | instid1(VALU_DEP_1)
	v_mul_lo_u32 v30, v7, 7
	v_mov_b32_e32 v25, v19
	v_lshlrev_b64_e32 v[24:25], 3, v[24:25]
	s_delay_alu instid0(VALU_DEP_1) | instskip(SKIP_1) | instid1(VALU_DEP_2)
	v_add_co_u32 v34, vcc_lo, s8, v24
	s_wait_alu 0xfffd
	v_add_co_ci_u32_e64 v35, null, s9, v25, vcc_lo
	v_add_co_u32 v36, vcc_lo, s8, v26
	s_wait_alu 0xfffd
	v_add_co_ci_u32_e64 v37, null, s9, v27, vcc_lo
	;; [unrolled: 3-line block ×3, first 2 shown]
	v_lshlrev_b64_e32 v[17:18], 3, v[30:31]
	s_clause 0x4
	global_load_b128 v[22:25], v[28:29], off offset:16
	global_load_b128 v[26:29], v[28:29], off
	global_load_b64 v[32:33], v[32:33], off
	global_load_b64 v[34:35], v[34:35], off
	global_load_b64 v[36:37], v[36:37], off
	v_add_co_u32 v17, vcc_lo, s10, v17
	s_wait_alu 0xfffd
	v_add_co_ci_u32_e64 v18, null, s11, v18, vcc_lo
	global_load_b64 v[40:41], v[17:18], off
	v_add_nc_u32_e32 v18, 1, v30
	s_delay_alu instid0(VALU_DEP_1) | instskip(SKIP_1) | instid1(VALU_DEP_1)
	v_lshlrev_b64_e32 v[42:43], 3, v[18:19]
	v_subrev_nc_u32_e32 v18, 19, v16
	v_lshlrev_b64_e32 v[44:45], 3, v[18:19]
	v_add_nc_u32_e32 v18, -12, v16
	s_delay_alu instid0(VALU_DEP_4) | instskip(SKIP_2) | instid1(VALU_DEP_3)
	v_add_co_u32 v42, vcc_lo, s10, v42
	s_wait_alu 0xfffd
	v_add_co_ci_u32_e64 v43, null, s11, v43, vcc_lo
	v_lshlrev_b64_e32 v[46:47], 3, v[18:19]
	v_add_nc_u32_e32 v18, -5, v16
	v_add_co_u32 v44, vcc_lo, s8, v44
	s_wait_alu 0xfffd
	v_add_co_ci_u32_e64 v45, null, s9, v45, vcc_lo
	s_delay_alu instid0(VALU_DEP_3)
	v_lshlrev_b64_e32 v[17:18], 3, v[18:19]
	v_add_co_u32 v46, vcc_lo, s8, v46
	s_wait_alu 0xfffd
	v_add_co_ci_u32_e64 v47, null, s9, v47, vcc_lo
	global_load_b64 v[42:43], v[42:43], off
	v_add_co_u32 v17, vcc_lo, s8, v17
	s_wait_alu 0xfffd
	v_add_co_ci_u32_e64 v18, null, s9, v18, vcc_lo
	s_clause 0x2
	global_load_b64 v[44:45], v[44:45], off
	global_load_b64 v[46:47], v[46:47], off
	global_load_b64 v[48:49], v[17:18], off
	v_add_nc_u32_e32 v18, 2, v30
	s_delay_alu instid0(VALU_DEP_1) | instskip(SKIP_1) | instid1(VALU_DEP_1)
	v_lshlrev_b64_e32 v[50:51], 3, v[18:19]
	v_subrev_nc_u32_e32 v18, 18, v16
	v_lshlrev_b64_e32 v[52:53], 3, v[18:19]
	v_add_nc_u32_e32 v18, -11, v16
	s_delay_alu instid0(VALU_DEP_4) | instskip(SKIP_2) | instid1(VALU_DEP_3)
	v_add_co_u32 v50, vcc_lo, s10, v50
	s_wait_alu 0xfffd
	v_add_co_ci_u32_e64 v51, null, s11, v51, vcc_lo
	v_lshlrev_b64_e32 v[54:55], 3, v[18:19]
	v_add_nc_u32_e32 v18, -4, v16
	v_add_co_u32 v52, vcc_lo, s8, v52
	s_wait_alu 0xfffd
	v_add_co_ci_u32_e64 v53, null, s9, v53, vcc_lo
	s_delay_alu instid0(VALU_DEP_3)
	v_lshlrev_b64_e32 v[17:18], 3, v[18:19]
	v_add_co_u32 v54, vcc_lo, s8, v54
	s_wait_alu 0xfffd
	v_add_co_ci_u32_e64 v55, null, s9, v55, vcc_lo
	global_load_b64 v[50:51], v[50:51], off
	v_add_co_u32 v56, vcc_lo, s8, v17
	s_wait_alu 0xfffd
	v_add_co_ci_u32_e64 v57, null, s9, v18, vcc_lo
	s_clause 0x2
	global_load_b64 v[52:53], v[52:53], off
	global_load_b64 v[54:55], v[54:55], off
	;; [unrolled: 28-line block ×3, first 2 shown]
	global_load_b64 v[64:65], v[64:65], off
	v_subrev_nc_u32_e32 v18, 23, v16
	s_delay_alu instid0(VALU_DEP_1) | instskip(SKIP_1) | instid1(VALU_DEP_1)
	v_lshlrev_b64_e32 v[66:67], 3, v[18:19]
	v_add_nc_u32_e32 v18, 4, v30
	v_lshlrev_b64_e32 v[68:69], 3, v[18:19]
	v_add_nc_u32_e32 v18, -16, v16
	s_delay_alu instid0(VALU_DEP_4) | instskip(SKIP_2) | instid1(VALU_DEP_3)
	v_add_co_u32 v66, vcc_lo, s8, v66
	s_wait_alu 0xfffd
	v_add_co_ci_u32_e64 v67, null, s9, v67, vcc_lo
	v_lshlrev_b64_e32 v[70:71], 3, v[18:19]
	v_add_nc_u32_e32 v18, -9, v16
	v_add_co_u32 v68, vcc_lo, s10, v68
	s_wait_alu 0xfffd
	v_add_co_ci_u32_e64 v69, null, s11, v69, vcc_lo
	s_delay_alu instid0(VALU_DEP_3) | instskip(SKIP_4) | instid1(VALU_DEP_3)
	v_lshlrev_b64_e32 v[72:73], 3, v[18:19]
	v_add_nc_u32_e32 v18, -2, v16
	v_add_co_u32 v70, vcc_lo, s8, v70
	s_wait_alu 0xfffd
	v_add_co_ci_u32_e64 v71, null, s9, v71, vcc_lo
	v_lshlrev_b64_e32 v[17:18], 3, v[18:19]
	v_add_co_u32 v72, vcc_lo, s8, v72
	s_wait_alu 0xfffd
	v_add_co_ci_u32_e64 v73, null, s9, v73, vcc_lo
	global_load_b64 v[66:67], v[66:67], off
	v_add_co_u32 v74, vcc_lo, s8, v17
	s_wait_alu 0xfffd
	v_add_co_ci_u32_e64 v75, null, s9, v18, vcc_lo
	global_load_b64 v[68:69], v[68:69], off
	s_clause 0x2
	global_load_b64 v[70:71], v[70:71], off
	global_load_b64 v[72:73], v[72:73], off
	;; [unrolled: 1-line block ×3, first 2 shown]
	v_subrev_nc_u32_e32 v18, 22, v16
	s_delay_alu instid0(VALU_DEP_1) | instskip(SKIP_1) | instid1(VALU_DEP_1)
	v_lshlrev_b64_e32 v[76:77], 3, v[18:19]
	v_add_nc_u32_e32 v18, 5, v30
	v_lshlrev_b64_e32 v[78:79], 3, v[18:19]
	v_add_nc_u32_e32 v18, -15, v16
	s_delay_alu instid0(VALU_DEP_4) | instskip(SKIP_2) | instid1(VALU_DEP_3)
	v_add_co_u32 v76, vcc_lo, s8, v76
	s_wait_alu 0xfffd
	v_add_co_ci_u32_e64 v77, null, s9, v77, vcc_lo
	v_lshlrev_b64_e32 v[80:81], 3, v[18:19]
	v_add_nc_u32_e32 v18, -8, v16
	v_add_co_u32 v78, vcc_lo, s10, v78
	s_wait_alu 0xfffd
	v_add_co_ci_u32_e64 v79, null, s11, v79, vcc_lo
	s_delay_alu instid0(VALU_DEP_3) | instskip(SKIP_4) | instid1(VALU_DEP_3)
	v_lshlrev_b64_e32 v[82:83], 3, v[18:19]
	v_add_nc_u32_e32 v18, -1, v16
	v_add_co_u32 v80, vcc_lo, s8, v80
	s_wait_alu 0xfffd
	v_add_co_ci_u32_e64 v81, null, s9, v81, vcc_lo
	v_lshlrev_b64_e32 v[17:18], 3, v[18:19]
	v_add_co_u32 v82, vcc_lo, s8, v82
	s_wait_alu 0xfffd
	v_add_co_ci_u32_e64 v83, null, s9, v83, vcc_lo
	s_delay_alu instid0(VALU_DEP_3)
	v_add_co_u32 v17, vcc_lo, s8, v17
	s_wait_alu 0xfffd
	v_add_co_ci_u32_e64 v18, null, s9, v18, vcc_lo
	global_load_b64 v[76:77], v[76:77], off
	global_load_b64 v[78:79], v[78:79], off
	s_clause 0x2
	global_load_b64 v[80:81], v[80:81], off
	global_load_b64 v[82:83], v[82:83], off
	;; [unrolled: 1-line block ×3, first 2 shown]
	v_subrev_nc_u32_e32 v18, 21, v16
	s_delay_alu instid0(VALU_DEP_1) | instskip(SKIP_1) | instid1(VALU_DEP_1)
	v_lshlrev_b64_e32 v[86:87], 3, v[18:19]
	v_add_nc_u32_e32 v18, 6, v30
	v_lshlrev_b64_e32 v[30:31], 3, v[18:19]
	v_add_nc_u32_e32 v18, -14, v16
	s_delay_alu instid0(VALU_DEP_4) | instskip(SKIP_2) | instid1(VALU_DEP_3)
	v_add_co_u32 v86, vcc_lo, s8, v86
	s_wait_alu 0xfffd
	v_add_co_ci_u32_e64 v87, null, s9, v87, vcc_lo
	v_lshlrev_b64_e32 v[88:89], 3, v[18:19]
	v_add_nc_u32_e32 v18, -7, v16
	v_add_co_u32 v30, vcc_lo, s10, v30
	s_wait_alu 0xfffd
	v_add_co_ci_u32_e64 v31, null, s11, v31, vcc_lo
	s_delay_alu instid0(VALU_DEP_3) | instskip(SKIP_4) | instid1(VALU_DEP_4)
	v_lshlrev_b64_e32 v[17:18], 3, v[18:19]
	v_add_co_u32 v88, vcc_lo, s8, v88
	s_wait_alu 0xfffd
	v_add_co_ci_u32_e64 v89, null, s9, v89, vcc_lo
	v_add_nc_u32_e32 v16, 0x70, v16
	v_add_co_u32 v17, vcc_lo, s8, v17
	s_wait_alu 0xfffd
	v_add_co_ci_u32_e64 v18, null, s9, v18, vcc_lo
	global_load_b64 v[86:87], v[86:87], off
	global_load_b64 v[30:31], v[30:31], off
	s_clause 0x2
	global_load_b64 v[88:89], v[88:89], off
	global_load_b64 v[17:18], v[17:18], off
	;; [unrolled: 1-line block ×3, first 2 shown]
	v_cmp_ge_i32_e32 vcc_lo, v6, v21
	s_wait_alu 0xfffe
	s_or_b32 s2, vcc_lo, s2
	s_wait_loadcnt 0x1b
	v_fma_f64 v[7:8], v[26:27], v[40:41], v[8:9]
	v_fma_f64 v[14:15], v[32:33], v[40:41], v[14:15]
	;; [unrolled: 1-line block ×4, first 2 shown]
	s_wait_loadcnt 0x1a
	s_delay_alu instid0(VALU_DEP_4) | instskip(SKIP_1) | instid1(VALU_DEP_4)
	v_fma_f64 v[7:8], v[28:29], v[42:43], v[7:8]
	s_wait_loadcnt 0x19
	v_fma_f64 v[14:15], v[44:45], v[42:43], v[14:15]
	s_wait_loadcnt 0x18
	s_delay_alu instid0(VALU_DEP_4) | instskip(SKIP_1) | instid1(VALU_DEP_4)
	v_fma_f64 v[11:12], v[46:47], v[42:43], v[12:13]
	s_wait_loadcnt 0x17
	v_fma_f64 v[9:10], v[48:49], v[42:43], v[9:10]
	;; [unrolled: 5-line block ×12, first 2 shown]
	s_wait_alu 0xfffe
	s_and_not1_b32 exec_lo, exec_lo, s2
	s_cbranch_execnz .LBB62_15
; %bb.16:
	s_or_b32 exec_lo, exec_lo, s2
.LBB62_17:
	s_wait_alu 0xfffe
	s_or_b32 exec_lo, exec_lo, s3
.LBB62_18:
	v_mbcnt_lo_u32_b32 v24, -1, 0
	s_delay_alu instid0(VALU_DEP_1) | instskip(NEXT) | instid1(VALU_DEP_1)
	v_xor_b32_e32 v6, 2, v24
	v_cmp_gt_i32_e32 vcc_lo, 32, v6
	s_wait_alu 0xfffd
	v_cndmask_b32_e32 v6, v24, v6, vcc_lo
	s_delay_alu instid0(VALU_DEP_1)
	v_lshlrev_b32_e32 v16, 2, v6
	ds_bpermute_b32 v6, v16, v8
	ds_bpermute_b32 v7, v16, v9
	ds_bpermute_b32 v18, v16, v14
	ds_bpermute_b32 v19, v16, v15
	ds_bpermute_b32 v20, v16, v12
	ds_bpermute_b32 v21, v16, v13
	ds_bpermute_b32 v22, v16, v10
	ds_bpermute_b32 v23, v16, v11
	s_wait_dscnt 0x6
	v_add_f64_e32 v[16:17], v[8:9], v[6:7]
	s_wait_dscnt 0x4
	v_add_f64_e32 v[14:15], v[14:15], v[18:19]
	;; [unrolled: 2-line block ×4, first 2 shown]
	v_xor_b32_e32 v10, 1, v24
	s_delay_alu instid0(VALU_DEP_1) | instskip(SKIP_3) | instid1(VALU_DEP_2)
	v_cmp_gt_i32_e32 vcc_lo, 32, v10
	s_wait_alu 0xfffd
	v_cndmask_b32_e32 v10, v24, v10, vcc_lo
	v_cmp_eq_u32_e32 vcc_lo, 3, v0
	v_lshlrev_b32_e32 v19, 2, v10
	ds_bpermute_b32 v12, v19, v16
	ds_bpermute_b32 v13, v19, v17
	;; [unrolled: 1-line block ×8, first 2 shown]
	s_and_b32 exec_lo, exec_lo, vcc_lo
	s_cbranch_execz .LBB62_23
; %bb.19:
	s_wait_dscnt 0x6
	v_add_f64_e32 v[12:13], v[16:17], v[12:13]
	s_wait_dscnt 0x4
	v_add_f64_e32 v[10:11], v[14:15], v[10:11]
	;; [unrolled: 2-line block ×4, first 2 shown]
	s_load_b64 s[0:1], s[0:1], 0x38
	s_mov_b32 s2, exec_lo
	v_cmpx_eq_f64_e32 0, v[3:4]
	s_wait_alu 0xfffe
	s_xor_b32 s2, exec_lo, s2
	s_cbranch_execz .LBB62_21
; %bb.20:
	v_mul_f64_e32 v[12:13], v[1:2], v[12:13]
	v_mul_f64_e32 v[14:15], v[1:2], v[10:11]
	;; [unrolled: 1-line block ×4, first 2 shown]
	v_lshlrev_b32_e32 v0, 2, v5
                                        ; implicit-def: $vgpr5
                                        ; implicit-def: $vgpr3_vgpr4
                                        ; implicit-def: $vgpr10_vgpr11
	s_delay_alu instid0(VALU_DEP_1) | instskip(NEXT) | instid1(VALU_DEP_1)
	v_ashrrev_i32_e32 v1, 31, v0
	v_lshlrev_b64_e32 v[0:1], 3, v[0:1]
	s_wait_kmcnt 0x0
	s_delay_alu instid0(VALU_DEP_1) | instskip(SKIP_1) | instid1(VALU_DEP_2)
	v_add_co_u32 v0, vcc_lo, s0, v0
	s_wait_alu 0xfffd
	v_add_co_ci_u32_e64 v1, null, s1, v1, vcc_lo
	s_clause 0x1
	global_store_b128 v[0:1], v[12:15], off
	global_store_b128 v[0:1], v[6:9], off offset:16
                                        ; implicit-def: $vgpr1_vgpr2
                                        ; implicit-def: $vgpr12_vgpr13
                                        ; implicit-def: $vgpr6_vgpr7
                                        ; implicit-def: $vgpr8_vgpr9
.LBB62_21:
	s_wait_alu 0xfffe
	s_and_not1_saveexec_b32 s2, s2
	s_cbranch_execz .LBB62_23
; %bb.22:
	v_lshlrev_b32_e32 v14, 2, v5
	v_mul_f64_e32 v[12:13], v[1:2], v[12:13]
	v_mul_f64_e32 v[10:11], v[1:2], v[10:11]
	;; [unrolled: 1-line block ×4, first 2 shown]
	v_ashrrev_i32_e32 v15, 31, v14
	s_delay_alu instid0(VALU_DEP_1) | instskip(SKIP_1) | instid1(VALU_DEP_1)
	v_lshlrev_b64_e32 v[14:15], 3, v[14:15]
	s_wait_kmcnt 0x0
	v_add_co_u32 v22, vcc_lo, s0, v14
	s_wait_alu 0xfffd
	s_delay_alu instid0(VALU_DEP_2)
	v_add_co_ci_u32_e64 v23, null, s1, v15, vcc_lo
	s_clause 0x1
	global_load_b128 v[14:17], v[22:23], off
	global_load_b128 v[18:21], v[22:23], off offset:16
	s_wait_loadcnt 0x1
	v_fma_f64 v[5:6], v[3:4], v[14:15], v[12:13]
	v_fma_f64 v[7:8], v[3:4], v[16:17], v[10:11]
	s_wait_loadcnt 0x0
	v_fma_f64 v[0:1], v[3:4], v[18:19], v[24:25]
	v_fma_f64 v[2:3], v[3:4], v[20:21], v[26:27]
	s_clause 0x1
	global_store_b128 v[22:23], v[5:8], off
	global_store_b128 v[22:23], v[0:3], off offset:16
.LBB62_23:
	s_endpgm
	.section	.rodata,"a",@progbits
	.p2align	6, 0x0
	.amdhsa_kernel _ZN9rocsparseL19gebsrmvn_4xn_kernelILj128ELj7ELj4EdEEvi20rocsparse_direction_NS_24const_host_device_scalarIT2_EEPKiS6_PKS3_S8_S4_PS3_21rocsparse_index_base_b
		.amdhsa_group_segment_fixed_size 0
		.amdhsa_private_segment_fixed_size 0
		.amdhsa_kernarg_size 72
		.amdhsa_user_sgpr_count 2
		.amdhsa_user_sgpr_dispatch_ptr 0
		.amdhsa_user_sgpr_queue_ptr 0
		.amdhsa_user_sgpr_kernarg_segment_ptr 1
		.amdhsa_user_sgpr_dispatch_id 0
		.amdhsa_user_sgpr_private_segment_size 0
		.amdhsa_wavefront_size32 1
		.amdhsa_uses_dynamic_stack 0
		.amdhsa_enable_private_segment 0
		.amdhsa_system_sgpr_workgroup_id_x 1
		.amdhsa_system_sgpr_workgroup_id_y 0
		.amdhsa_system_sgpr_workgroup_id_z 0
		.amdhsa_system_sgpr_workgroup_info 0
		.amdhsa_system_vgpr_workitem_id 0
		.amdhsa_next_free_vgpr 92
		.amdhsa_next_free_sgpr 14
		.amdhsa_reserve_vcc 1
		.amdhsa_float_round_mode_32 0
		.amdhsa_float_round_mode_16_64 0
		.amdhsa_float_denorm_mode_32 3
		.amdhsa_float_denorm_mode_16_64 3
		.amdhsa_fp16_overflow 0
		.amdhsa_workgroup_processor_mode 1
		.amdhsa_memory_ordered 1
		.amdhsa_forward_progress 1
		.amdhsa_inst_pref_size 32
		.amdhsa_round_robin_scheduling 0
		.amdhsa_exception_fp_ieee_invalid_op 0
		.amdhsa_exception_fp_denorm_src 0
		.amdhsa_exception_fp_ieee_div_zero 0
		.amdhsa_exception_fp_ieee_overflow 0
		.amdhsa_exception_fp_ieee_underflow 0
		.amdhsa_exception_fp_ieee_inexact 0
		.amdhsa_exception_int_div_zero 0
	.end_amdhsa_kernel
	.section	.text._ZN9rocsparseL19gebsrmvn_4xn_kernelILj128ELj7ELj4EdEEvi20rocsparse_direction_NS_24const_host_device_scalarIT2_EEPKiS6_PKS3_S8_S4_PS3_21rocsparse_index_base_b,"axG",@progbits,_ZN9rocsparseL19gebsrmvn_4xn_kernelILj128ELj7ELj4EdEEvi20rocsparse_direction_NS_24const_host_device_scalarIT2_EEPKiS6_PKS3_S8_S4_PS3_21rocsparse_index_base_b,comdat
.Lfunc_end62:
	.size	_ZN9rocsparseL19gebsrmvn_4xn_kernelILj128ELj7ELj4EdEEvi20rocsparse_direction_NS_24const_host_device_scalarIT2_EEPKiS6_PKS3_S8_S4_PS3_21rocsparse_index_base_b, .Lfunc_end62-_ZN9rocsparseL19gebsrmvn_4xn_kernelILj128ELj7ELj4EdEEvi20rocsparse_direction_NS_24const_host_device_scalarIT2_EEPKiS6_PKS3_S8_S4_PS3_21rocsparse_index_base_b
                                        ; -- End function
	.set _ZN9rocsparseL19gebsrmvn_4xn_kernelILj128ELj7ELj4EdEEvi20rocsparse_direction_NS_24const_host_device_scalarIT2_EEPKiS6_PKS3_S8_S4_PS3_21rocsparse_index_base_b.num_vgpr, 92
	.set _ZN9rocsparseL19gebsrmvn_4xn_kernelILj128ELj7ELj4EdEEvi20rocsparse_direction_NS_24const_host_device_scalarIT2_EEPKiS6_PKS3_S8_S4_PS3_21rocsparse_index_base_b.num_agpr, 0
	.set _ZN9rocsparseL19gebsrmvn_4xn_kernelILj128ELj7ELj4EdEEvi20rocsparse_direction_NS_24const_host_device_scalarIT2_EEPKiS6_PKS3_S8_S4_PS3_21rocsparse_index_base_b.numbered_sgpr, 14
	.set _ZN9rocsparseL19gebsrmvn_4xn_kernelILj128ELj7ELj4EdEEvi20rocsparse_direction_NS_24const_host_device_scalarIT2_EEPKiS6_PKS3_S8_S4_PS3_21rocsparse_index_base_b.num_named_barrier, 0
	.set _ZN9rocsparseL19gebsrmvn_4xn_kernelILj128ELj7ELj4EdEEvi20rocsparse_direction_NS_24const_host_device_scalarIT2_EEPKiS6_PKS3_S8_S4_PS3_21rocsparse_index_base_b.private_seg_size, 0
	.set _ZN9rocsparseL19gebsrmvn_4xn_kernelILj128ELj7ELj4EdEEvi20rocsparse_direction_NS_24const_host_device_scalarIT2_EEPKiS6_PKS3_S8_S4_PS3_21rocsparse_index_base_b.uses_vcc, 1
	.set _ZN9rocsparseL19gebsrmvn_4xn_kernelILj128ELj7ELj4EdEEvi20rocsparse_direction_NS_24const_host_device_scalarIT2_EEPKiS6_PKS3_S8_S4_PS3_21rocsparse_index_base_b.uses_flat_scratch, 0
	.set _ZN9rocsparseL19gebsrmvn_4xn_kernelILj128ELj7ELj4EdEEvi20rocsparse_direction_NS_24const_host_device_scalarIT2_EEPKiS6_PKS3_S8_S4_PS3_21rocsparse_index_base_b.has_dyn_sized_stack, 0
	.set _ZN9rocsparseL19gebsrmvn_4xn_kernelILj128ELj7ELj4EdEEvi20rocsparse_direction_NS_24const_host_device_scalarIT2_EEPKiS6_PKS3_S8_S4_PS3_21rocsparse_index_base_b.has_recursion, 0
	.set _ZN9rocsparseL19gebsrmvn_4xn_kernelILj128ELj7ELj4EdEEvi20rocsparse_direction_NS_24const_host_device_scalarIT2_EEPKiS6_PKS3_S8_S4_PS3_21rocsparse_index_base_b.has_indirect_call, 0
	.section	.AMDGPU.csdata,"",@progbits
; Kernel info:
; codeLenInByte = 4076
; TotalNumSgprs: 16
; NumVgprs: 92
; ScratchSize: 0
; MemoryBound: 1
; FloatMode: 240
; IeeeMode: 1
; LDSByteSize: 0 bytes/workgroup (compile time only)
; SGPRBlocks: 0
; VGPRBlocks: 11
; NumSGPRsForWavesPerEU: 16
; NumVGPRsForWavesPerEU: 92
; Occupancy: 16
; WaveLimiterHint : 1
; COMPUTE_PGM_RSRC2:SCRATCH_EN: 0
; COMPUTE_PGM_RSRC2:USER_SGPR: 2
; COMPUTE_PGM_RSRC2:TRAP_HANDLER: 0
; COMPUTE_PGM_RSRC2:TGID_X_EN: 1
; COMPUTE_PGM_RSRC2:TGID_Y_EN: 0
; COMPUTE_PGM_RSRC2:TGID_Z_EN: 0
; COMPUTE_PGM_RSRC2:TIDIG_COMP_CNT: 0
	.section	.text._ZN9rocsparseL19gebsrmvn_4xn_kernelILj128ELj7ELj8EdEEvi20rocsparse_direction_NS_24const_host_device_scalarIT2_EEPKiS6_PKS3_S8_S4_PS3_21rocsparse_index_base_b,"axG",@progbits,_ZN9rocsparseL19gebsrmvn_4xn_kernelILj128ELj7ELj8EdEEvi20rocsparse_direction_NS_24const_host_device_scalarIT2_EEPKiS6_PKS3_S8_S4_PS3_21rocsparse_index_base_b,comdat
	.globl	_ZN9rocsparseL19gebsrmvn_4xn_kernelILj128ELj7ELj8EdEEvi20rocsparse_direction_NS_24const_host_device_scalarIT2_EEPKiS6_PKS3_S8_S4_PS3_21rocsparse_index_base_b ; -- Begin function _ZN9rocsparseL19gebsrmvn_4xn_kernelILj128ELj7ELj8EdEEvi20rocsparse_direction_NS_24const_host_device_scalarIT2_EEPKiS6_PKS3_S8_S4_PS3_21rocsparse_index_base_b
	.p2align	8
	.type	_ZN9rocsparseL19gebsrmvn_4xn_kernelILj128ELj7ELj8EdEEvi20rocsparse_direction_NS_24const_host_device_scalarIT2_EEPKiS6_PKS3_S8_S4_PS3_21rocsparse_index_base_b,@function
_ZN9rocsparseL19gebsrmvn_4xn_kernelILj128ELj7ELj8EdEEvi20rocsparse_direction_NS_24const_host_device_scalarIT2_EEPKiS6_PKS3_S8_S4_PS3_21rocsparse_index_base_b: ; @_ZN9rocsparseL19gebsrmvn_4xn_kernelILj128ELj7ELj8EdEEvi20rocsparse_direction_NS_24const_host_device_scalarIT2_EEPKiS6_PKS3_S8_S4_PS3_21rocsparse_index_base_b
; %bb.0:
	s_clause 0x2
	s_load_b64 s[12:13], s[0:1], 0x40
	s_load_b64 s[4:5], s[0:1], 0x8
	;; [unrolled: 1-line block ×3, first 2 shown]
	s_wait_kmcnt 0x0
	s_bitcmp1_b32 s13, 0
	v_dual_mov_b32 v1, s4 :: v_dual_mov_b32 v2, s5
	s_cselect_b32 s6, -1, 0
	s_delay_alu instid0(SALU_CYCLE_1)
	s_and_b32 vcc_lo, exec_lo, s6
	s_xor_b32 s6, s6, -1
	s_cbranch_vccnz .LBB63_2
; %bb.1:
	v_dual_mov_b32 v1, s4 :: v_dual_mov_b32 v2, s5
	flat_load_b64 v[1:2], v[1:2]
.LBB63_2:
	v_dual_mov_b32 v4, s3 :: v_dual_mov_b32 v3, s2
	s_and_not1_b32 vcc_lo, exec_lo, s6
	s_cbranch_vccnz .LBB63_4
; %bb.3:
	v_dual_mov_b32 v4, s3 :: v_dual_mov_b32 v3, s2
	flat_load_b64 v[3:4], v[3:4]
.LBB63_4:
	s_wait_loadcnt_dscnt 0x0
	v_cmp_neq_f64_e32 vcc_lo, 0, v[1:2]
	v_cmp_neq_f64_e64 s2, 1.0, v[3:4]
	s_or_b32 s2, vcc_lo, s2
	s_wait_alu 0xfffe
	s_and_saveexec_b32 s3, s2
	s_cbranch_execz .LBB63_23
; %bb.5:
	s_load_b64 s[2:3], s[0:1], 0x0
	v_lshrrev_b32_e32 v5, 3, v0
	s_delay_alu instid0(VALU_DEP_1) | instskip(SKIP_1) | instid1(VALU_DEP_1)
	v_lshl_or_b32 v5, ttmp9, 4, v5
	s_wait_kmcnt 0x0
	v_cmp_gt_i32_e32 vcc_lo, s2, v5
	s_and_b32 exec_lo, exec_lo, vcc_lo
	s_cbranch_execz .LBB63_23
; %bb.6:
	s_load_b256 s[4:11], s[0:1], 0x10
	v_ashrrev_i32_e32 v6, 31, v5
	v_and_b32_e32 v0, 7, v0
	s_cmp_lg_u32 s3, 0
	s_delay_alu instid0(VALU_DEP_2) | instskip(SKIP_1) | instid1(VALU_DEP_1)
	v_lshlrev_b64_e32 v[6:7], 2, v[5:6]
	s_wait_kmcnt 0x0
	v_add_co_u32 v6, vcc_lo, s4, v6
	s_delay_alu instid0(VALU_DEP_1) | instskip(SKIP_4) | instid1(VALU_DEP_2)
	v_add_co_ci_u32_e64 v7, null, s5, v7, vcc_lo
	global_load_b64 v[6:7], v[6:7], off
	s_wait_loadcnt 0x0
	v_subrev_nc_u32_e32 v6, s12, v6
	v_subrev_nc_u32_e32 v21, s12, v7
	v_add_nc_u32_e32 v8, v6, v0
	s_delay_alu instid0(VALU_DEP_1)
	v_cmp_lt_i32_e64 s2, v8, v21
	s_cbranch_scc0 .LBB63_12
; %bb.7:
	v_mov_b32_e32 v6, 0
	v_dual_mov_b32 v12, 0 :: v_dual_mov_b32 v7, 0
	v_dual_mov_b32 v10, 0 :: v_dual_mov_b32 v13, 0
	;; [unrolled: 1-line block ×3, first 2 shown]
	v_mov_b32_e32 v15, 0
	s_and_saveexec_b32 s3, s2
	s_cbranch_execz .LBB63_11
; %bb.8:
	v_mad_co_u64_u32 v[16:17], null, v8, 28, 24
	v_mov_b32_e32 v6, 0
	v_mov_b32_e32 v10, 0
	;; [unrolled: 1-line block ×3, first 2 shown]
	v_dual_mov_b32 v14, 0 :: v_dual_mov_b32 v19, v8
	v_dual_mov_b32 v7, 0 :: v_dual_mov_b32 v18, 0
	v_mov_b32_e32 v11, 0
	v_mov_b32_e32 v13, 0
	;; [unrolled: 1-line block ×3, first 2 shown]
	s_mov_b32 s4, 0
.LBB63_9:                               ; =>This Inner Loop Header: Depth=1
	v_ashrrev_i32_e32 v20, 31, v19
	v_subrev_nc_u32_e32 v17, 24, v16
	v_mov_b32_e32 v75, v18
	s_delay_alu instid0(VALU_DEP_3) | instskip(SKIP_1) | instid1(VALU_DEP_2)
	v_lshlrev_b64_e32 v[22:23], 2, v[19:20]
	v_add_nc_u32_e32 v19, 8, v19
	v_add_co_u32 v22, vcc_lo, s6, v22
	s_wait_alu 0xfffd
	s_delay_alu instid0(VALU_DEP_3) | instskip(SKIP_3) | instid1(VALU_DEP_2)
	v_add_co_ci_u32_e64 v23, null, s7, v23, vcc_lo
	global_load_b32 v9, v[22:23], off
	v_lshlrev_b64_e32 v[22:23], 3, v[17:18]
	v_subrev_nc_u32_e32 v17, 20, v16
	v_add_co_u32 v26, vcc_lo, s8, v22
	s_wait_alu 0xfffd
	s_delay_alu instid0(VALU_DEP_3) | instskip(SKIP_3) | instid1(VALU_DEP_1)
	v_add_co_ci_u32_e64 v27, null, s9, v23, vcc_lo
	global_load_b128 v[22:25], v[26:27], off offset:16
	s_wait_loadcnt 0x1
	v_subrev_nc_u32_e32 v9, s12, v9
	v_mul_lo_u32 v74, v9, 7
	s_delay_alu instid0(VALU_DEP_1) | instskip(NEXT) | instid1(VALU_DEP_1)
	v_lshlrev_b64_e32 v[28:29], 3, v[74:75]
	v_add_co_u32 v30, vcc_lo, s10, v28
	s_wait_alu 0xfffd
	s_delay_alu instid0(VALU_DEP_2) | instskip(SKIP_4) | instid1(VALU_DEP_1)
	v_add_co_ci_u32_e64 v31, null, s11, v29, vcc_lo
	global_load_b128 v[26:29], v[26:27], off
	global_load_b64 v[78:79], v[30:31], off
	v_lshlrev_b64_e32 v[30:31], 3, v[17:18]
	v_add_nc_u32_e32 v17, 1, v74
	v_lshlrev_b64_e32 v[36:37], 3, v[17:18]
	s_delay_alu instid0(VALU_DEP_3) | instskip(SKIP_1) | instid1(VALU_DEP_4)
	v_add_co_u32 v34, vcc_lo, s8, v30
	s_wait_alu 0xfffd
	v_add_co_ci_u32_e64 v35, null, s9, v31, vcc_lo
	v_add_nc_u32_e32 v17, -16, v16
	s_delay_alu instid0(VALU_DEP_4)
	v_add_co_u32 v38, vcc_lo, s10, v36
	s_wait_alu 0xfffd
	v_add_co_ci_u32_e64 v39, null, s11, v37, vcc_lo
	s_clause 0x1
	global_load_b128 v[30:33], v[34:35], off offset:16
	global_load_b128 v[34:37], v[34:35], off
	global_load_b64 v[80:81], v[38:39], off
	v_lshlrev_b64_e32 v[38:39], 3, v[17:18]
	v_add_nc_u32_e32 v17, 2, v74
	s_delay_alu instid0(VALU_DEP_1) | instskip(NEXT) | instid1(VALU_DEP_3)
	v_lshlrev_b64_e32 v[40:41], 3, v[17:18]
	v_add_co_u32 v42, vcc_lo, s8, v38
	s_wait_alu 0xfffd
	s_delay_alu instid0(VALU_DEP_4) | instskip(SKIP_1) | instid1(VALU_DEP_4)
	v_add_co_ci_u32_e64 v43, null, s9, v39, vcc_lo
	v_add_nc_u32_e32 v17, -12, v16
	v_add_co_u32 v46, vcc_lo, s10, v40
	s_wait_alu 0xfffd
	v_add_co_ci_u32_e64 v47, null, s11, v41, vcc_lo
	s_clause 0x1
	global_load_b128 v[38:41], v[42:43], off offset:16
	global_load_b128 v[42:45], v[42:43], off
	global_load_b64 v[82:83], v[46:47], off
	v_lshlrev_b64_e32 v[46:47], 3, v[17:18]
	v_add_nc_u32_e32 v17, 3, v74
	s_delay_alu instid0(VALU_DEP_1) | instskip(NEXT) | instid1(VALU_DEP_3)
	v_lshlrev_b64_e32 v[48:49], 3, v[17:18]
	v_add_co_u32 v50, vcc_lo, s8, v46
	s_wait_alu 0xfffd
	s_delay_alu instid0(VALU_DEP_4) | instskip(SKIP_1) | instid1(VALU_DEP_4)
	v_add_co_ci_u32_e64 v51, null, s9, v47, vcc_lo
	v_add_nc_u32_e32 v17, -8, v16
	;; [unrolled: 16-line block ×3, first 2 shown]
	v_add_co_u32 v62, vcc_lo, s10, v56
	s_wait_alu 0xfffd
	v_add_co_ci_u32_e64 v63, null, s11, v57, vcc_lo
	s_clause 0x1
	global_load_b128 v[54:57], v[58:59], off offset:16
	global_load_b128 v[58:61], v[58:59], off
	global_load_b64 v[86:87], v[62:63], off
	v_lshlrev_b64_e32 v[62:63], 3, v[17:18]
	v_add_nc_u32_e32 v17, 5, v74
	s_delay_alu instid0(VALU_DEP_1) | instskip(NEXT) | instid1(VALU_DEP_3)
	v_lshlrev_b64_e32 v[64:65], 3, v[17:18]
	v_add_co_u32 v66, vcc_lo, s8, v62
	s_wait_alu 0xfffd
	s_delay_alu instid0(VALU_DEP_4) | instskip(SKIP_1) | instid1(VALU_DEP_4)
	v_add_co_ci_u32_e64 v67, null, s9, v63, vcc_lo
	v_mov_b32_e32 v17, v18
	v_add_co_u32 v70, vcc_lo, s10, v64
	s_wait_alu 0xfffd
	v_add_co_ci_u32_e64 v71, null, s11, v65, vcc_lo
	s_clause 0x1
	global_load_b128 v[62:65], v[66:67], off offset:16
	global_load_b128 v[66:69], v[66:67], off
	global_load_b64 v[88:89], v[70:71], off
	v_lshlrev_b64_e32 v[70:71], 3, v[16:17]
	v_add_nc_u32_e32 v17, 6, v74
	v_add_nc_u32_e32 v16, 0xe0, v16
	s_delay_alu instid0(VALU_DEP_2) | instskip(NEXT) | instid1(VALU_DEP_4)
	v_lshlrev_b64_e32 v[90:91], 3, v[17:18]
	v_add_co_u32 v75, vcc_lo, s8, v70
	s_wait_alu 0xfffd
	v_add_co_ci_u32_e64 v76, null, s9, v71, vcc_lo
	s_delay_alu instid0(VALU_DEP_3)
	v_add_co_u32 v90, vcc_lo, s10, v90
	s_wait_alu 0xfffd
	v_add_co_ci_u32_e64 v91, null, s11, v91, vcc_lo
	s_clause 0x1
	global_load_b128 v[70:73], v[75:76], off offset:16
	global_load_b128 v[74:77], v[75:76], off
	global_load_b64 v[90:91], v[90:91], off
	v_cmp_ge_i32_e32 vcc_lo, v19, v21
	s_wait_alu 0xfffe
	s_or_b32 s4, vcc_lo, s4
	s_wait_loadcnt 0x12
	v_fma_f64 v[6:7], v[26:27], v[78:79], v[6:7]
	v_fma_f64 v[14:15], v[28:29], v[78:79], v[14:15]
	;; [unrolled: 1-line block ×4, first 2 shown]
	s_wait_loadcnt 0xf
	s_delay_alu instid0(VALU_DEP_4) | instskip(NEXT) | instid1(VALU_DEP_4)
	v_fma_f64 v[6:7], v[34:35], v[80:81], v[6:7]
	v_fma_f64 v[14:15], v[36:37], v[80:81], v[14:15]
	s_delay_alu instid0(VALU_DEP_4) | instskip(NEXT) | instid1(VALU_DEP_4)
	v_fma_f64 v[11:12], v[30:31], v[80:81], v[12:13]
	v_fma_f64 v[9:10], v[32:33], v[80:81], v[9:10]
	s_wait_loadcnt 0xc
	s_delay_alu instid0(VALU_DEP_4) | instskip(NEXT) | instid1(VALU_DEP_4)
	v_fma_f64 v[6:7], v[42:43], v[82:83], v[6:7]
	v_fma_f64 v[13:14], v[44:45], v[82:83], v[14:15]
	s_delay_alu instid0(VALU_DEP_4) | instskip(NEXT) | instid1(VALU_DEP_4)
	v_fma_f64 v[11:12], v[38:39], v[82:83], v[11:12]
	v_fma_f64 v[9:10], v[40:41], v[82:83], v[9:10]
	;; [unrolled: 7-line block ×6, first 2 shown]
	s_wait_alu 0xfffe
	s_and_not1_b32 exec_lo, exec_lo, s4
	s_cbranch_execnz .LBB63_9
; %bb.10:
	s_or_b32 exec_lo, exec_lo, s4
.LBB63_11:
	s_wait_alu 0xfffe
	s_or_b32 exec_lo, exec_lo, s3
	s_cbranch_execz .LBB63_13
	s_branch .LBB63_18
.LBB63_12:
                                        ; implicit-def: $vgpr6_vgpr7
                                        ; implicit-def: $vgpr10_vgpr11
                                        ; implicit-def: $vgpr12_vgpr13
                                        ; implicit-def: $vgpr14_vgpr15
.LBB63_13:
	v_mov_b32_e32 v6, 0
	v_dual_mov_b32 v12, 0 :: v_dual_mov_b32 v7, 0
	v_dual_mov_b32 v10, 0 :: v_dual_mov_b32 v13, 0
	;; [unrolled: 1-line block ×3, first 2 shown]
	v_mov_b32_e32 v15, 0
	s_and_saveexec_b32 s3, s2
	s_cbranch_execz .LBB63_17
; %bb.14:
	v_mad_co_u64_u32 v[16:17], null, v8, 28, 27
	v_mov_b32_e32 v6, 0
	v_dual_mov_b32 v12, 0 :: v_dual_mov_b32 v7, 0
	v_dual_mov_b32 v10, 0 :: v_dual_mov_b32 v13, 0
	;; [unrolled: 1-line block ×3, first 2 shown]
	v_mov_b32_e32 v15, 0
	v_mov_b32_e32 v19, 0
	s_mov_b32 s2, 0
.LBB63_15:                              ; =>This Inner Loop Header: Depth=1
	v_ashrrev_i32_e32 v9, 31, v8
	v_subrev_nc_u32_e32 v22, 20, v16
	s_delay_alu instid0(VALU_DEP_3) | instskip(SKIP_1) | instid1(VALU_DEP_4)
	v_dual_mov_b32 v23, v19 :: v_dual_add_nc_u32 v26, -6, v16
	v_dual_mov_b32 v31, v19 :: v_dual_add_nc_u32 v24, -13, v16
	v_lshlrev_b64_e32 v[17:18], 2, v[8:9]
	v_mov_b32_e32 v27, v19
	s_delay_alu instid0(VALU_DEP_4) | instskip(SKIP_1) | instid1(VALU_DEP_3)
	v_lshlrev_b64_e32 v[22:23], 3, v[22:23]
	v_add_nc_u32_e32 v8, 8, v8
	v_lshlrev_b64_e32 v[26:27], 3, v[26:27]
	v_add_co_u32 v17, vcc_lo, s6, v17
	s_wait_alu 0xfffd
	v_add_co_ci_u32_e64 v18, null, s7, v18, vcc_lo
	global_load_b32 v9, v[17:18], off
	v_subrev_nc_u32_e32 v18, 27, v16
	v_mov_b32_e32 v17, v19
	s_delay_alu instid0(VALU_DEP_2) | instskip(NEXT) | instid1(VALU_DEP_2)
	v_lshlrev_b64_e32 v[28:29], 3, v[18:19]
	v_lshlrev_b64_e32 v[17:18], 3, v[16:17]
	s_delay_alu instid0(VALU_DEP_2) | instskip(SKIP_1) | instid1(VALU_DEP_3)
	v_add_co_u32 v28, vcc_lo, s8, v28
	s_wait_alu 0xfffd
	v_add_co_ci_u32_e64 v29, null, s9, v29, vcc_lo
	v_add_co_u32 v32, vcc_lo, s8, v22
	s_wait_alu 0xfffd
	v_add_co_ci_u32_e64 v33, null, s9, v23, vcc_lo
	s_wait_loadcnt 0x0
	v_subrev_nc_u32_e32 v9, s12, v9
	s_delay_alu instid0(VALU_DEP_1) | instskip(SKIP_1) | instid1(VALU_DEP_1)
	v_mul_lo_u32 v30, v9, 7
	v_mov_b32_e32 v25, v19
	v_lshlrev_b64_e32 v[24:25], 3, v[24:25]
	s_delay_alu instid0(VALU_DEP_1) | instskip(SKIP_1) | instid1(VALU_DEP_2)
	v_add_co_u32 v34, vcc_lo, s8, v24
	s_wait_alu 0xfffd
	v_add_co_ci_u32_e64 v35, null, s9, v25, vcc_lo
	v_add_co_u32 v36, vcc_lo, s8, v26
	s_wait_alu 0xfffd
	v_add_co_ci_u32_e64 v37, null, s9, v27, vcc_lo
	;; [unrolled: 3-line block ×3, first 2 shown]
	v_lshlrev_b64_e32 v[17:18], 3, v[30:31]
	s_clause 0x4
	global_load_b128 v[22:25], v[28:29], off offset:16
	global_load_b128 v[26:29], v[28:29], off
	global_load_b64 v[32:33], v[32:33], off
	global_load_b64 v[34:35], v[34:35], off
	;; [unrolled: 1-line block ×3, first 2 shown]
	v_add_co_u32 v17, vcc_lo, s10, v17
	s_wait_alu 0xfffd
	v_add_co_ci_u32_e64 v18, null, s11, v18, vcc_lo
	global_load_b64 v[40:41], v[17:18], off
	v_add_nc_u32_e32 v18, 1, v30
	s_delay_alu instid0(VALU_DEP_1) | instskip(SKIP_1) | instid1(VALU_DEP_1)
	v_lshlrev_b64_e32 v[42:43], 3, v[18:19]
	v_subrev_nc_u32_e32 v18, 19, v16
	v_lshlrev_b64_e32 v[44:45], 3, v[18:19]
	v_add_nc_u32_e32 v18, -12, v16
	s_delay_alu instid0(VALU_DEP_4) | instskip(SKIP_2) | instid1(VALU_DEP_3)
	v_add_co_u32 v42, vcc_lo, s10, v42
	s_wait_alu 0xfffd
	v_add_co_ci_u32_e64 v43, null, s11, v43, vcc_lo
	v_lshlrev_b64_e32 v[46:47], 3, v[18:19]
	v_add_nc_u32_e32 v18, -5, v16
	v_add_co_u32 v44, vcc_lo, s8, v44
	s_wait_alu 0xfffd
	v_add_co_ci_u32_e64 v45, null, s9, v45, vcc_lo
	s_delay_alu instid0(VALU_DEP_3)
	v_lshlrev_b64_e32 v[17:18], 3, v[18:19]
	v_add_co_u32 v46, vcc_lo, s8, v46
	s_wait_alu 0xfffd
	v_add_co_ci_u32_e64 v47, null, s9, v47, vcc_lo
	global_load_b64 v[42:43], v[42:43], off
	v_add_co_u32 v17, vcc_lo, s8, v17
	s_wait_alu 0xfffd
	v_add_co_ci_u32_e64 v18, null, s9, v18, vcc_lo
	s_clause 0x2
	global_load_b64 v[44:45], v[44:45], off
	global_load_b64 v[46:47], v[46:47], off
	global_load_b64 v[48:49], v[17:18], off
	v_add_nc_u32_e32 v18, 2, v30
	s_delay_alu instid0(VALU_DEP_1) | instskip(SKIP_1) | instid1(VALU_DEP_1)
	v_lshlrev_b64_e32 v[50:51], 3, v[18:19]
	v_subrev_nc_u32_e32 v18, 18, v16
	v_lshlrev_b64_e32 v[52:53], 3, v[18:19]
	v_add_nc_u32_e32 v18, -11, v16
	s_delay_alu instid0(VALU_DEP_4) | instskip(SKIP_2) | instid1(VALU_DEP_3)
	v_add_co_u32 v50, vcc_lo, s10, v50
	s_wait_alu 0xfffd
	v_add_co_ci_u32_e64 v51, null, s11, v51, vcc_lo
	v_lshlrev_b64_e32 v[54:55], 3, v[18:19]
	v_add_nc_u32_e32 v18, -4, v16
	v_add_co_u32 v52, vcc_lo, s8, v52
	s_wait_alu 0xfffd
	v_add_co_ci_u32_e64 v53, null, s9, v53, vcc_lo
	s_delay_alu instid0(VALU_DEP_3)
	v_lshlrev_b64_e32 v[17:18], 3, v[18:19]
	v_add_co_u32 v54, vcc_lo, s8, v54
	s_wait_alu 0xfffd
	v_add_co_ci_u32_e64 v55, null, s9, v55, vcc_lo
	global_load_b64 v[50:51], v[50:51], off
	v_add_co_u32 v56, vcc_lo, s8, v17
	s_wait_alu 0xfffd
	v_add_co_ci_u32_e64 v57, null, s9, v18, vcc_lo
	s_clause 0x2
	global_load_b64 v[52:53], v[52:53], off
	global_load_b64 v[54:55], v[54:55], off
	;; [unrolled: 28-line block ×3, first 2 shown]
	global_load_b64 v[64:65], v[64:65], off
	v_subrev_nc_u32_e32 v18, 23, v16
	s_delay_alu instid0(VALU_DEP_1) | instskip(SKIP_1) | instid1(VALU_DEP_1)
	v_lshlrev_b64_e32 v[66:67], 3, v[18:19]
	v_add_nc_u32_e32 v18, 4, v30
	v_lshlrev_b64_e32 v[68:69], 3, v[18:19]
	v_add_nc_u32_e32 v18, -16, v16
	s_delay_alu instid0(VALU_DEP_4) | instskip(SKIP_2) | instid1(VALU_DEP_3)
	v_add_co_u32 v66, vcc_lo, s8, v66
	s_wait_alu 0xfffd
	v_add_co_ci_u32_e64 v67, null, s9, v67, vcc_lo
	v_lshlrev_b64_e32 v[70:71], 3, v[18:19]
	v_add_nc_u32_e32 v18, -9, v16
	v_add_co_u32 v68, vcc_lo, s10, v68
	s_wait_alu 0xfffd
	v_add_co_ci_u32_e64 v69, null, s11, v69, vcc_lo
	s_delay_alu instid0(VALU_DEP_3) | instskip(SKIP_4) | instid1(VALU_DEP_3)
	v_lshlrev_b64_e32 v[72:73], 3, v[18:19]
	v_add_nc_u32_e32 v18, -2, v16
	v_add_co_u32 v70, vcc_lo, s8, v70
	s_wait_alu 0xfffd
	v_add_co_ci_u32_e64 v71, null, s9, v71, vcc_lo
	v_lshlrev_b64_e32 v[17:18], 3, v[18:19]
	v_add_co_u32 v72, vcc_lo, s8, v72
	s_wait_alu 0xfffd
	v_add_co_ci_u32_e64 v73, null, s9, v73, vcc_lo
	global_load_b64 v[66:67], v[66:67], off
	v_add_co_u32 v74, vcc_lo, s8, v17
	s_wait_alu 0xfffd
	v_add_co_ci_u32_e64 v75, null, s9, v18, vcc_lo
	global_load_b64 v[68:69], v[68:69], off
	s_clause 0x2
	global_load_b64 v[70:71], v[70:71], off
	global_load_b64 v[72:73], v[72:73], off
	;; [unrolled: 1-line block ×3, first 2 shown]
	v_subrev_nc_u32_e32 v18, 22, v16
	s_delay_alu instid0(VALU_DEP_1) | instskip(SKIP_1) | instid1(VALU_DEP_1)
	v_lshlrev_b64_e32 v[76:77], 3, v[18:19]
	v_add_nc_u32_e32 v18, 5, v30
	v_lshlrev_b64_e32 v[78:79], 3, v[18:19]
	v_add_nc_u32_e32 v18, -15, v16
	s_delay_alu instid0(VALU_DEP_4) | instskip(SKIP_2) | instid1(VALU_DEP_3)
	v_add_co_u32 v76, vcc_lo, s8, v76
	s_wait_alu 0xfffd
	v_add_co_ci_u32_e64 v77, null, s9, v77, vcc_lo
	v_lshlrev_b64_e32 v[80:81], 3, v[18:19]
	v_add_nc_u32_e32 v18, -8, v16
	v_add_co_u32 v78, vcc_lo, s10, v78
	s_wait_alu 0xfffd
	v_add_co_ci_u32_e64 v79, null, s11, v79, vcc_lo
	s_delay_alu instid0(VALU_DEP_3) | instskip(SKIP_4) | instid1(VALU_DEP_3)
	v_lshlrev_b64_e32 v[82:83], 3, v[18:19]
	v_add_nc_u32_e32 v18, -1, v16
	v_add_co_u32 v80, vcc_lo, s8, v80
	s_wait_alu 0xfffd
	v_add_co_ci_u32_e64 v81, null, s9, v81, vcc_lo
	v_lshlrev_b64_e32 v[17:18], 3, v[18:19]
	v_add_co_u32 v82, vcc_lo, s8, v82
	s_wait_alu 0xfffd
	v_add_co_ci_u32_e64 v83, null, s9, v83, vcc_lo
	s_delay_alu instid0(VALU_DEP_3)
	v_add_co_u32 v17, vcc_lo, s8, v17
	s_wait_alu 0xfffd
	v_add_co_ci_u32_e64 v18, null, s9, v18, vcc_lo
	global_load_b64 v[76:77], v[76:77], off
	global_load_b64 v[78:79], v[78:79], off
	s_clause 0x2
	global_load_b64 v[80:81], v[80:81], off
	global_load_b64 v[82:83], v[82:83], off
	global_load_b64 v[84:85], v[17:18], off
	v_subrev_nc_u32_e32 v18, 21, v16
	s_delay_alu instid0(VALU_DEP_1) | instskip(SKIP_1) | instid1(VALU_DEP_1)
	v_lshlrev_b64_e32 v[86:87], 3, v[18:19]
	v_add_nc_u32_e32 v18, 6, v30
	v_lshlrev_b64_e32 v[30:31], 3, v[18:19]
	v_add_nc_u32_e32 v18, -14, v16
	s_delay_alu instid0(VALU_DEP_4) | instskip(SKIP_2) | instid1(VALU_DEP_3)
	v_add_co_u32 v86, vcc_lo, s8, v86
	s_wait_alu 0xfffd
	v_add_co_ci_u32_e64 v87, null, s9, v87, vcc_lo
	v_lshlrev_b64_e32 v[88:89], 3, v[18:19]
	v_add_nc_u32_e32 v18, -7, v16
	v_add_co_u32 v30, vcc_lo, s10, v30
	s_wait_alu 0xfffd
	v_add_co_ci_u32_e64 v31, null, s11, v31, vcc_lo
	s_delay_alu instid0(VALU_DEP_3) | instskip(SKIP_4) | instid1(VALU_DEP_4)
	v_lshlrev_b64_e32 v[17:18], 3, v[18:19]
	v_add_co_u32 v88, vcc_lo, s8, v88
	s_wait_alu 0xfffd
	v_add_co_ci_u32_e64 v89, null, s9, v89, vcc_lo
	v_add_nc_u32_e32 v16, 0xe0, v16
	v_add_co_u32 v17, vcc_lo, s8, v17
	s_wait_alu 0xfffd
	v_add_co_ci_u32_e64 v18, null, s9, v18, vcc_lo
	global_load_b64 v[86:87], v[86:87], off
	global_load_b64 v[30:31], v[30:31], off
	s_clause 0x2
	global_load_b64 v[88:89], v[88:89], off
	global_load_b64 v[17:18], v[17:18], off
	;; [unrolled: 1-line block ×3, first 2 shown]
	v_cmp_ge_i32_e32 vcc_lo, v8, v21
	s_wait_alu 0xfffe
	s_or_b32 s2, vcc_lo, s2
	s_wait_loadcnt 0x1b
	v_fma_f64 v[6:7], v[26:27], v[40:41], v[6:7]
	v_fma_f64 v[14:15], v[32:33], v[40:41], v[14:15]
	;; [unrolled: 1-line block ×4, first 2 shown]
	s_wait_loadcnt 0x1a
	s_delay_alu instid0(VALU_DEP_4) | instskip(SKIP_1) | instid1(VALU_DEP_4)
	v_fma_f64 v[6:7], v[28:29], v[42:43], v[6:7]
	s_wait_loadcnt 0x19
	v_fma_f64 v[14:15], v[44:45], v[42:43], v[14:15]
	s_wait_loadcnt 0x18
	s_delay_alu instid0(VALU_DEP_4) | instskip(SKIP_1) | instid1(VALU_DEP_4)
	v_fma_f64 v[11:12], v[46:47], v[42:43], v[12:13]
	s_wait_loadcnt 0x17
	v_fma_f64 v[9:10], v[48:49], v[42:43], v[9:10]
	;; [unrolled: 5-line block ×12, first 2 shown]
	s_wait_alu 0xfffe
	s_and_not1_b32 exec_lo, exec_lo, s2
	s_cbranch_execnz .LBB63_15
; %bb.16:
	s_or_b32 exec_lo, exec_lo, s2
.LBB63_17:
	s_wait_alu 0xfffe
	s_or_b32 exec_lo, exec_lo, s3
.LBB63_18:
	v_mbcnt_lo_u32_b32 v24, -1, 0
	s_delay_alu instid0(VALU_DEP_1) | instskip(NEXT) | instid1(VALU_DEP_1)
	v_xor_b32_e32 v8, 4, v24
	v_cmp_gt_i32_e32 vcc_lo, 32, v8
	s_wait_alu 0xfffd
	v_cndmask_b32_e32 v8, v24, v8, vcc_lo
	s_delay_alu instid0(VALU_DEP_1)
	v_lshlrev_b32_e32 v21, 2, v8
	ds_bpermute_b32 v8, v21, v6
	ds_bpermute_b32 v9, v21, v7
	;; [unrolled: 1-line block ×8, first 2 shown]
	s_wait_dscnt 0x6
	v_add_f64_e32 v[6:7], v[6:7], v[8:9]
	s_wait_dscnt 0x4
	v_add_f64_e32 v[8:9], v[14:15], v[16:17]
	;; [unrolled: 2-line block ×4, first 2 shown]
	v_xor_b32_e32 v10, 2, v24
	s_delay_alu instid0(VALU_DEP_1) | instskip(SKIP_2) | instid1(VALU_DEP_1)
	v_cmp_gt_i32_e32 vcc_lo, 32, v10
	s_wait_alu 0xfffd
	v_cndmask_b32_e32 v10, v24, v10, vcc_lo
	v_lshlrev_b32_e32 v12, 2, v10
	ds_bpermute_b32 v10, v12, v6
	ds_bpermute_b32 v11, v12, v7
	;; [unrolled: 1-line block ×8, first 2 shown]
	s_wait_dscnt 0x6
	v_add_f64_e32 v[12:13], v[6:7], v[10:11]
	s_wait_dscnt 0x4
	v_add_f64_e32 v[10:11], v[8:9], v[18:19]
	;; [unrolled: 2-line block ×3, first 2 shown]
	v_xor_b32_e32 v14, 1, v24
	s_wait_dscnt 0x0
	v_add_f64_e32 v[8:9], v[16:17], v[22:23]
	s_delay_alu instid0(VALU_DEP_2) | instskip(SKIP_3) | instid1(VALU_DEP_2)
	v_cmp_gt_i32_e32 vcc_lo, 32, v14
	s_wait_alu 0xfffd
	v_cndmask_b32_e32 v14, v24, v14, vcc_lo
	v_cmp_eq_u32_e32 vcc_lo, 7, v0
	v_lshlrev_b32_e32 v15, 2, v14
	ds_bpermute_b32 v20, v15, v12
	ds_bpermute_b32 v21, v15, v13
	;; [unrolled: 1-line block ×8, first 2 shown]
	s_and_b32 exec_lo, exec_lo, vcc_lo
	s_cbranch_execz .LBB63_23
; %bb.19:
	s_wait_dscnt 0x6
	v_add_f64_e32 v[12:13], v[12:13], v[20:21]
	s_wait_dscnt 0x4
	v_add_f64_e32 v[10:11], v[10:11], v[18:19]
	;; [unrolled: 2-line block ×4, first 2 shown]
	s_load_b64 s[0:1], s[0:1], 0x38
	s_mov_b32 s2, exec_lo
	v_cmpx_eq_f64_e32 0, v[3:4]
	s_wait_alu 0xfffe
	s_xor_b32 s2, exec_lo, s2
	s_cbranch_execz .LBB63_21
; %bb.20:
	v_mul_f64_e32 v[12:13], v[1:2], v[12:13]
	v_mul_f64_e32 v[14:15], v[1:2], v[10:11]
	;; [unrolled: 1-line block ×4, first 2 shown]
	v_lshlrev_b32_e32 v0, 2, v5
                                        ; implicit-def: $vgpr5
                                        ; implicit-def: $vgpr3_vgpr4
                                        ; implicit-def: $vgpr10_vgpr11
	s_delay_alu instid0(VALU_DEP_1) | instskip(NEXT) | instid1(VALU_DEP_1)
	v_ashrrev_i32_e32 v1, 31, v0
	v_lshlrev_b64_e32 v[0:1], 3, v[0:1]
	s_wait_kmcnt 0x0
	s_delay_alu instid0(VALU_DEP_1) | instskip(SKIP_1) | instid1(VALU_DEP_2)
	v_add_co_u32 v0, vcc_lo, s0, v0
	s_wait_alu 0xfffd
	v_add_co_ci_u32_e64 v1, null, s1, v1, vcc_lo
	s_clause 0x1
	global_store_b128 v[0:1], v[12:15], off
	global_store_b128 v[0:1], v[6:9], off offset:16
                                        ; implicit-def: $vgpr1_vgpr2
                                        ; implicit-def: $vgpr12_vgpr13
                                        ; implicit-def: $vgpr6_vgpr7
                                        ; implicit-def: $vgpr8_vgpr9
.LBB63_21:
	s_wait_alu 0xfffe
	s_and_not1_saveexec_b32 s2, s2
	s_cbranch_execz .LBB63_23
; %bb.22:
	v_lshlrev_b32_e32 v14, 2, v5
	v_mul_f64_e32 v[12:13], v[1:2], v[12:13]
	v_mul_f64_e32 v[10:11], v[1:2], v[10:11]
	;; [unrolled: 1-line block ×4, first 2 shown]
	v_ashrrev_i32_e32 v15, 31, v14
	s_delay_alu instid0(VALU_DEP_1) | instskip(SKIP_1) | instid1(VALU_DEP_1)
	v_lshlrev_b64_e32 v[14:15], 3, v[14:15]
	s_wait_kmcnt 0x0
	v_add_co_u32 v22, vcc_lo, s0, v14
	s_wait_alu 0xfffd
	s_delay_alu instid0(VALU_DEP_2)
	v_add_co_ci_u32_e64 v23, null, s1, v15, vcc_lo
	s_clause 0x1
	global_load_b128 v[14:17], v[22:23], off
	global_load_b128 v[18:21], v[22:23], off offset:16
	s_wait_loadcnt 0x1
	v_fma_f64 v[5:6], v[3:4], v[14:15], v[12:13]
	v_fma_f64 v[7:8], v[3:4], v[16:17], v[10:11]
	s_wait_loadcnt 0x0
	v_fma_f64 v[0:1], v[3:4], v[18:19], v[24:25]
	v_fma_f64 v[2:3], v[3:4], v[20:21], v[26:27]
	s_clause 0x1
	global_store_b128 v[22:23], v[5:8], off
	global_store_b128 v[22:23], v[0:3], off offset:16
.LBB63_23:
	s_endpgm
	.section	.rodata,"a",@progbits
	.p2align	6, 0x0
	.amdhsa_kernel _ZN9rocsparseL19gebsrmvn_4xn_kernelILj128ELj7ELj8EdEEvi20rocsparse_direction_NS_24const_host_device_scalarIT2_EEPKiS6_PKS3_S8_S4_PS3_21rocsparse_index_base_b
		.amdhsa_group_segment_fixed_size 0
		.amdhsa_private_segment_fixed_size 0
		.amdhsa_kernarg_size 72
		.amdhsa_user_sgpr_count 2
		.amdhsa_user_sgpr_dispatch_ptr 0
		.amdhsa_user_sgpr_queue_ptr 0
		.amdhsa_user_sgpr_kernarg_segment_ptr 1
		.amdhsa_user_sgpr_dispatch_id 0
		.amdhsa_user_sgpr_private_segment_size 0
		.amdhsa_wavefront_size32 1
		.amdhsa_uses_dynamic_stack 0
		.amdhsa_enable_private_segment 0
		.amdhsa_system_sgpr_workgroup_id_x 1
		.amdhsa_system_sgpr_workgroup_id_y 0
		.amdhsa_system_sgpr_workgroup_id_z 0
		.amdhsa_system_sgpr_workgroup_info 0
		.amdhsa_system_vgpr_workitem_id 0
		.amdhsa_next_free_vgpr 92
		.amdhsa_next_free_sgpr 14
		.amdhsa_reserve_vcc 1
		.amdhsa_float_round_mode_32 0
		.amdhsa_float_round_mode_16_64 0
		.amdhsa_float_denorm_mode_32 3
		.amdhsa_float_denorm_mode_16_64 3
		.amdhsa_fp16_overflow 0
		.amdhsa_workgroup_processor_mode 1
		.amdhsa_memory_ordered 1
		.amdhsa_forward_progress 1
		.amdhsa_inst_pref_size 33
		.amdhsa_round_robin_scheduling 0
		.amdhsa_exception_fp_ieee_invalid_op 0
		.amdhsa_exception_fp_denorm_src 0
		.amdhsa_exception_fp_ieee_div_zero 0
		.amdhsa_exception_fp_ieee_overflow 0
		.amdhsa_exception_fp_ieee_underflow 0
		.amdhsa_exception_fp_ieee_inexact 0
		.amdhsa_exception_int_div_zero 0
	.end_amdhsa_kernel
	.section	.text._ZN9rocsparseL19gebsrmvn_4xn_kernelILj128ELj7ELj8EdEEvi20rocsparse_direction_NS_24const_host_device_scalarIT2_EEPKiS6_PKS3_S8_S4_PS3_21rocsparse_index_base_b,"axG",@progbits,_ZN9rocsparseL19gebsrmvn_4xn_kernelILj128ELj7ELj8EdEEvi20rocsparse_direction_NS_24const_host_device_scalarIT2_EEPKiS6_PKS3_S8_S4_PS3_21rocsparse_index_base_b,comdat
.Lfunc_end63:
	.size	_ZN9rocsparseL19gebsrmvn_4xn_kernelILj128ELj7ELj8EdEEvi20rocsparse_direction_NS_24const_host_device_scalarIT2_EEPKiS6_PKS3_S8_S4_PS3_21rocsparse_index_base_b, .Lfunc_end63-_ZN9rocsparseL19gebsrmvn_4xn_kernelILj128ELj7ELj8EdEEvi20rocsparse_direction_NS_24const_host_device_scalarIT2_EEPKiS6_PKS3_S8_S4_PS3_21rocsparse_index_base_b
                                        ; -- End function
	.set _ZN9rocsparseL19gebsrmvn_4xn_kernelILj128ELj7ELj8EdEEvi20rocsparse_direction_NS_24const_host_device_scalarIT2_EEPKiS6_PKS3_S8_S4_PS3_21rocsparse_index_base_b.num_vgpr, 92
	.set _ZN9rocsparseL19gebsrmvn_4xn_kernelILj128ELj7ELj8EdEEvi20rocsparse_direction_NS_24const_host_device_scalarIT2_EEPKiS6_PKS3_S8_S4_PS3_21rocsparse_index_base_b.num_agpr, 0
	.set _ZN9rocsparseL19gebsrmvn_4xn_kernelILj128ELj7ELj8EdEEvi20rocsparse_direction_NS_24const_host_device_scalarIT2_EEPKiS6_PKS3_S8_S4_PS3_21rocsparse_index_base_b.numbered_sgpr, 14
	.set _ZN9rocsparseL19gebsrmvn_4xn_kernelILj128ELj7ELj8EdEEvi20rocsparse_direction_NS_24const_host_device_scalarIT2_EEPKiS6_PKS3_S8_S4_PS3_21rocsparse_index_base_b.num_named_barrier, 0
	.set _ZN9rocsparseL19gebsrmvn_4xn_kernelILj128ELj7ELj8EdEEvi20rocsparse_direction_NS_24const_host_device_scalarIT2_EEPKiS6_PKS3_S8_S4_PS3_21rocsparse_index_base_b.private_seg_size, 0
	.set _ZN9rocsparseL19gebsrmvn_4xn_kernelILj128ELj7ELj8EdEEvi20rocsparse_direction_NS_24const_host_device_scalarIT2_EEPKiS6_PKS3_S8_S4_PS3_21rocsparse_index_base_b.uses_vcc, 1
	.set _ZN9rocsparseL19gebsrmvn_4xn_kernelILj128ELj7ELj8EdEEvi20rocsparse_direction_NS_24const_host_device_scalarIT2_EEPKiS6_PKS3_S8_S4_PS3_21rocsparse_index_base_b.uses_flat_scratch, 0
	.set _ZN9rocsparseL19gebsrmvn_4xn_kernelILj128ELj7ELj8EdEEvi20rocsparse_direction_NS_24const_host_device_scalarIT2_EEPKiS6_PKS3_S8_S4_PS3_21rocsparse_index_base_b.has_dyn_sized_stack, 0
	.set _ZN9rocsparseL19gebsrmvn_4xn_kernelILj128ELj7ELj8EdEEvi20rocsparse_direction_NS_24const_host_device_scalarIT2_EEPKiS6_PKS3_S8_S4_PS3_21rocsparse_index_base_b.has_recursion, 0
	.set _ZN9rocsparseL19gebsrmvn_4xn_kernelILj128ELj7ELj8EdEEvi20rocsparse_direction_NS_24const_host_device_scalarIT2_EEPKiS6_PKS3_S8_S4_PS3_21rocsparse_index_base_b.has_indirect_call, 0
	.section	.AMDGPU.csdata,"",@progbits
; Kernel info:
; codeLenInByte = 4196
; TotalNumSgprs: 16
; NumVgprs: 92
; ScratchSize: 0
; MemoryBound: 1
; FloatMode: 240
; IeeeMode: 1
; LDSByteSize: 0 bytes/workgroup (compile time only)
; SGPRBlocks: 0
; VGPRBlocks: 11
; NumSGPRsForWavesPerEU: 16
; NumVGPRsForWavesPerEU: 92
; Occupancy: 16
; WaveLimiterHint : 1
; COMPUTE_PGM_RSRC2:SCRATCH_EN: 0
; COMPUTE_PGM_RSRC2:USER_SGPR: 2
; COMPUTE_PGM_RSRC2:TRAP_HANDLER: 0
; COMPUTE_PGM_RSRC2:TGID_X_EN: 1
; COMPUTE_PGM_RSRC2:TGID_Y_EN: 0
; COMPUTE_PGM_RSRC2:TGID_Z_EN: 0
; COMPUTE_PGM_RSRC2:TIDIG_COMP_CNT: 0
	.section	.text._ZN9rocsparseL19gebsrmvn_4xn_kernelILj128ELj7ELj16EdEEvi20rocsparse_direction_NS_24const_host_device_scalarIT2_EEPKiS6_PKS3_S8_S4_PS3_21rocsparse_index_base_b,"axG",@progbits,_ZN9rocsparseL19gebsrmvn_4xn_kernelILj128ELj7ELj16EdEEvi20rocsparse_direction_NS_24const_host_device_scalarIT2_EEPKiS6_PKS3_S8_S4_PS3_21rocsparse_index_base_b,comdat
	.globl	_ZN9rocsparseL19gebsrmvn_4xn_kernelILj128ELj7ELj16EdEEvi20rocsparse_direction_NS_24const_host_device_scalarIT2_EEPKiS6_PKS3_S8_S4_PS3_21rocsparse_index_base_b ; -- Begin function _ZN9rocsparseL19gebsrmvn_4xn_kernelILj128ELj7ELj16EdEEvi20rocsparse_direction_NS_24const_host_device_scalarIT2_EEPKiS6_PKS3_S8_S4_PS3_21rocsparse_index_base_b
	.p2align	8
	.type	_ZN9rocsparseL19gebsrmvn_4xn_kernelILj128ELj7ELj16EdEEvi20rocsparse_direction_NS_24const_host_device_scalarIT2_EEPKiS6_PKS3_S8_S4_PS3_21rocsparse_index_base_b,@function
_ZN9rocsparseL19gebsrmvn_4xn_kernelILj128ELj7ELj16EdEEvi20rocsparse_direction_NS_24const_host_device_scalarIT2_EEPKiS6_PKS3_S8_S4_PS3_21rocsparse_index_base_b: ; @_ZN9rocsparseL19gebsrmvn_4xn_kernelILj128ELj7ELj16EdEEvi20rocsparse_direction_NS_24const_host_device_scalarIT2_EEPKiS6_PKS3_S8_S4_PS3_21rocsparse_index_base_b
; %bb.0:
	s_clause 0x2
	s_load_b64 s[12:13], s[0:1], 0x40
	s_load_b64 s[4:5], s[0:1], 0x8
	;; [unrolled: 1-line block ×3, first 2 shown]
	s_wait_kmcnt 0x0
	s_bitcmp1_b32 s13, 0
	v_dual_mov_b32 v1, s4 :: v_dual_mov_b32 v2, s5
	s_cselect_b32 s6, -1, 0
	s_delay_alu instid0(SALU_CYCLE_1)
	s_and_b32 vcc_lo, exec_lo, s6
	s_xor_b32 s6, s6, -1
	s_cbranch_vccnz .LBB64_2
; %bb.1:
	v_dual_mov_b32 v1, s4 :: v_dual_mov_b32 v2, s5
	flat_load_b64 v[1:2], v[1:2]
.LBB64_2:
	v_dual_mov_b32 v4, s3 :: v_dual_mov_b32 v3, s2
	s_and_not1_b32 vcc_lo, exec_lo, s6
	s_cbranch_vccnz .LBB64_4
; %bb.3:
	v_dual_mov_b32 v4, s3 :: v_dual_mov_b32 v3, s2
	flat_load_b64 v[3:4], v[3:4]
.LBB64_4:
	s_wait_loadcnt_dscnt 0x0
	v_cmp_neq_f64_e32 vcc_lo, 0, v[1:2]
	v_cmp_neq_f64_e64 s2, 1.0, v[3:4]
	s_or_b32 s2, vcc_lo, s2
	s_wait_alu 0xfffe
	s_and_saveexec_b32 s3, s2
	s_cbranch_execz .LBB64_23
; %bb.5:
	s_load_b64 s[2:3], s[0:1], 0x0
	v_lshrrev_b32_e32 v5, 4, v0
	s_delay_alu instid0(VALU_DEP_1) | instskip(SKIP_1) | instid1(VALU_DEP_1)
	v_lshl_or_b32 v5, ttmp9, 3, v5
	s_wait_kmcnt 0x0
	v_cmp_gt_i32_e32 vcc_lo, s2, v5
	s_and_b32 exec_lo, exec_lo, vcc_lo
	s_cbranch_execz .LBB64_23
; %bb.6:
	s_load_b256 s[4:11], s[0:1], 0x10
	v_ashrrev_i32_e32 v6, 31, v5
	v_and_b32_e32 v0, 15, v0
	s_cmp_lg_u32 s3, 0
	s_delay_alu instid0(VALU_DEP_2) | instskip(SKIP_1) | instid1(VALU_DEP_1)
	v_lshlrev_b64_e32 v[6:7], 2, v[5:6]
	s_wait_kmcnt 0x0
	v_add_co_u32 v6, vcc_lo, s4, v6
	s_delay_alu instid0(VALU_DEP_1) | instskip(SKIP_4) | instid1(VALU_DEP_2)
	v_add_co_ci_u32_e64 v7, null, s5, v7, vcc_lo
	global_load_b64 v[6:7], v[6:7], off
	s_wait_loadcnt 0x0
	v_subrev_nc_u32_e32 v6, s12, v6
	v_subrev_nc_u32_e32 v20, s12, v7
	v_add_nc_u32_e32 v14, v6, v0
	s_delay_alu instid0(VALU_DEP_1)
	v_cmp_lt_i32_e64 s2, v14, v20
	s_cbranch_scc0 .LBB64_12
; %bb.7:
	v_mov_b32_e32 v6, 0
	v_dual_mov_b32 v10, 0 :: v_dual_mov_b32 v7, 0
	v_dual_mov_b32 v8, 0 :: v_dual_mov_b32 v11, 0
	;; [unrolled: 1-line block ×3, first 2 shown]
	v_mov_b32_e32 v13, 0
	s_and_saveexec_b32 s3, s2
	s_cbranch_execz .LBB64_11
; %bb.8:
	v_dual_mov_b32 v6, 0 :: v_dual_mov_b32 v17, 0
	v_mad_co_u64_u32 v[15:16], null, v14, 28, 24
	v_dual_mov_b32 v7, 0 :: v_dual_mov_b32 v8, 0
	v_dual_mov_b32 v9, 0 :: v_dual_mov_b32 v10, 0
	v_dual_mov_b32 v11, 0 :: v_dual_mov_b32 v12, 0
	v_dual_mov_b32 v13, 0 :: v_dual_mov_b32 v18, v14
	s_mov_b32 s4, 0
.LBB64_9:                               ; =>This Inner Loop Header: Depth=1
	s_delay_alu instid0(VALU_DEP_1) | instskip(SKIP_2) | instid1(VALU_DEP_3)
	v_ashrrev_i32_e32 v19, 31, v18
	v_subrev_nc_u32_e32 v16, 24, v15
	v_mov_b32_e32 v74, v17
	v_lshlrev_b64_e32 v[21:22], 2, v[18:19]
	v_add_nc_u32_e32 v18, 16, v18
	s_delay_alu instid0(VALU_DEP_2) | instskip(SKIP_1) | instid1(VALU_DEP_3)
	v_add_co_u32 v21, vcc_lo, s6, v21
	s_wait_alu 0xfffd
	v_add_co_ci_u32_e64 v22, null, s7, v22, vcc_lo
	global_load_b32 v19, v[21:22], off
	v_lshlrev_b64_e32 v[21:22], 3, v[16:17]
	s_delay_alu instid0(VALU_DEP_1) | instskip(SKIP_1) | instid1(VALU_DEP_2)
	v_add_co_u32 v25, vcc_lo, s8, v21
	s_wait_alu 0xfffd
	v_add_co_ci_u32_e64 v26, null, s9, v22, vcc_lo
	global_load_b128 v[21:24], v[25:26], off offset:16
	s_wait_loadcnt 0x1
	v_subrev_nc_u32_e32 v16, s12, v19
	s_delay_alu instid0(VALU_DEP_1) | instskip(SKIP_1) | instid1(VALU_DEP_2)
	v_mul_lo_u32 v73, v16, 7
	v_subrev_nc_u32_e32 v16, 20, v15
	v_lshlrev_b64_e32 v[27:28], 3, v[73:74]
	s_delay_alu instid0(VALU_DEP_1) | instskip(SKIP_1) | instid1(VALU_DEP_2)
	v_add_co_u32 v29, vcc_lo, s10, v27
	s_wait_alu 0xfffd
	v_add_co_ci_u32_e64 v30, null, s11, v28, vcc_lo
	global_load_b128 v[25:28], v[25:26], off
	global_load_b64 v[77:78], v[29:30], off
	v_lshlrev_b64_e32 v[29:30], 3, v[16:17]
	v_add_nc_u32_e32 v16, 1, v73
	s_delay_alu instid0(VALU_DEP_1) | instskip(NEXT) | instid1(VALU_DEP_3)
	v_lshlrev_b64_e32 v[35:36], 3, v[16:17]
	v_add_co_u32 v33, vcc_lo, s8, v29
	s_wait_alu 0xfffd
	s_delay_alu instid0(VALU_DEP_4) | instskip(SKIP_1) | instid1(VALU_DEP_4)
	v_add_co_ci_u32_e64 v34, null, s9, v30, vcc_lo
	v_add_nc_u32_e32 v16, -16, v15
	v_add_co_u32 v37, vcc_lo, s10, v35
	s_wait_alu 0xfffd
	v_add_co_ci_u32_e64 v38, null, s11, v36, vcc_lo
	s_clause 0x1
	global_load_b128 v[29:32], v[33:34], off offset:16
	global_load_b128 v[33:36], v[33:34], off
	global_load_b64 v[79:80], v[37:38], off
	v_lshlrev_b64_e32 v[37:38], 3, v[16:17]
	v_add_nc_u32_e32 v16, 2, v73
	s_delay_alu instid0(VALU_DEP_1) | instskip(NEXT) | instid1(VALU_DEP_3)
	v_lshlrev_b64_e32 v[39:40], 3, v[16:17]
	v_add_co_u32 v41, vcc_lo, s8, v37
	s_wait_alu 0xfffd
	s_delay_alu instid0(VALU_DEP_4) | instskip(SKIP_1) | instid1(VALU_DEP_4)
	v_add_co_ci_u32_e64 v42, null, s9, v38, vcc_lo
	v_add_nc_u32_e32 v16, -12, v15
	v_add_co_u32 v45, vcc_lo, s10, v39
	s_wait_alu 0xfffd
	v_add_co_ci_u32_e64 v46, null, s11, v40, vcc_lo
	s_clause 0x1
	global_load_b128 v[37:40], v[41:42], off offset:16
	global_load_b128 v[41:44], v[41:42], off
	global_load_b64 v[81:82], v[45:46], off
	v_lshlrev_b64_e32 v[45:46], 3, v[16:17]
	v_add_nc_u32_e32 v16, 3, v73
	s_delay_alu instid0(VALU_DEP_1) | instskip(NEXT) | instid1(VALU_DEP_3)
	v_lshlrev_b64_e32 v[47:48], 3, v[16:17]
	v_add_co_u32 v49, vcc_lo, s8, v45
	s_wait_alu 0xfffd
	s_delay_alu instid0(VALU_DEP_4) | instskip(SKIP_1) | instid1(VALU_DEP_4)
	v_add_co_ci_u32_e64 v50, null, s9, v46, vcc_lo
	v_add_nc_u32_e32 v16, -8, v15
	v_add_co_u32 v53, vcc_lo, s10, v47
	s_wait_alu 0xfffd
	v_add_co_ci_u32_e64 v54, null, s11, v48, vcc_lo
	s_clause 0x1
	global_load_b128 v[45:48], v[49:50], off offset:16
	global_load_b128 v[49:52], v[49:50], off
	global_load_b64 v[83:84], v[53:54], off
	v_lshlrev_b64_e32 v[53:54], 3, v[16:17]
	v_add_nc_u32_e32 v16, 4, v73
	s_delay_alu instid0(VALU_DEP_1) | instskip(NEXT) | instid1(VALU_DEP_3)
	v_lshlrev_b64_e32 v[55:56], 3, v[16:17]
	v_add_co_u32 v57, vcc_lo, s8, v53
	s_wait_alu 0xfffd
	s_delay_alu instid0(VALU_DEP_4) | instskip(SKIP_1) | instid1(VALU_DEP_4)
	v_add_co_ci_u32_e64 v58, null, s9, v54, vcc_lo
	v_add_nc_u32_e32 v16, -4, v15
	v_add_co_u32 v61, vcc_lo, s10, v55
	s_wait_alu 0xfffd
	v_add_co_ci_u32_e64 v62, null, s11, v56, vcc_lo
	s_clause 0x1
	global_load_b128 v[53:56], v[57:58], off offset:16
	global_load_b128 v[57:60], v[57:58], off
	global_load_b64 v[85:86], v[61:62], off
	v_lshlrev_b64_e32 v[61:62], 3, v[16:17]
	v_add_nc_u32_e32 v16, 5, v73
	s_delay_alu instid0(VALU_DEP_1) | instskip(NEXT) | instid1(VALU_DEP_3)
	v_lshlrev_b64_e32 v[63:64], 3, v[16:17]
	v_add_co_u32 v65, vcc_lo, s8, v61
	s_wait_alu 0xfffd
	s_delay_alu instid0(VALU_DEP_4) | instskip(SKIP_1) | instid1(VALU_DEP_4)
	v_add_co_ci_u32_e64 v66, null, s9, v62, vcc_lo
	v_mov_b32_e32 v16, v17
	v_add_co_u32 v69, vcc_lo, s10, v63
	s_wait_alu 0xfffd
	v_add_co_ci_u32_e64 v70, null, s11, v64, vcc_lo
	s_clause 0x1
	global_load_b128 v[61:64], v[65:66], off offset:16
	global_load_b128 v[65:68], v[65:66], off
	global_load_b64 v[87:88], v[69:70], off
	v_lshlrev_b64_e32 v[69:70], 3, v[15:16]
	v_add_nc_u32_e32 v16, 6, v73
	v_add_nc_u32_e32 v15, 0x1c0, v15
	s_delay_alu instid0(VALU_DEP_2) | instskip(NEXT) | instid1(VALU_DEP_4)
	v_lshlrev_b64_e32 v[89:90], 3, v[16:17]
	v_add_co_u32 v74, vcc_lo, s8, v69
	s_wait_alu 0xfffd
	v_add_co_ci_u32_e64 v75, null, s9, v70, vcc_lo
	s_delay_alu instid0(VALU_DEP_3)
	v_add_co_u32 v89, vcc_lo, s10, v89
	s_wait_alu 0xfffd
	v_add_co_ci_u32_e64 v90, null, s11, v90, vcc_lo
	s_clause 0x1
	global_load_b128 v[69:72], v[74:75], off offset:16
	global_load_b128 v[73:76], v[74:75], off
	global_load_b64 v[89:90], v[89:90], off
	v_cmp_ge_i32_e32 vcc_lo, v18, v20
	s_wait_alu 0xfffe
	s_or_b32 s4, vcc_lo, s4
	s_wait_loadcnt 0x12
	v_fma_f64 v[6:7], v[25:26], v[77:78], v[6:7]
	v_fma_f64 v[12:13], v[27:28], v[77:78], v[12:13]
	;; [unrolled: 1-line block ×4, first 2 shown]
	s_wait_loadcnt 0xf
	s_delay_alu instid0(VALU_DEP_4) | instskip(NEXT) | instid1(VALU_DEP_4)
	v_fma_f64 v[6:7], v[33:34], v[79:80], v[6:7]
	v_fma_f64 v[12:13], v[35:36], v[79:80], v[12:13]
	s_delay_alu instid0(VALU_DEP_4) | instskip(NEXT) | instid1(VALU_DEP_4)
	v_fma_f64 v[10:11], v[29:30], v[79:80], v[10:11]
	v_fma_f64 v[8:9], v[31:32], v[79:80], v[8:9]
	s_wait_loadcnt 0xc
	s_delay_alu instid0(VALU_DEP_4) | instskip(NEXT) | instid1(VALU_DEP_4)
	v_fma_f64 v[6:7], v[41:42], v[81:82], v[6:7]
	v_fma_f64 v[12:13], v[43:44], v[81:82], v[12:13]
	s_delay_alu instid0(VALU_DEP_4) | instskip(NEXT) | instid1(VALU_DEP_4)
	v_fma_f64 v[10:11], v[37:38], v[81:82], v[10:11]
	v_fma_f64 v[8:9], v[39:40], v[81:82], v[8:9]
	;; [unrolled: 7-line block ×6, first 2 shown]
	s_wait_alu 0xfffe
	s_and_not1_b32 exec_lo, exec_lo, s4
	s_cbranch_execnz .LBB64_9
; %bb.10:
	s_or_b32 exec_lo, exec_lo, s4
.LBB64_11:
	s_wait_alu 0xfffe
	s_or_b32 exec_lo, exec_lo, s3
	s_cbranch_execz .LBB64_13
	s_branch .LBB64_18
.LBB64_12:
                                        ; implicit-def: $vgpr6_vgpr7
                                        ; implicit-def: $vgpr8_vgpr9
                                        ; implicit-def: $vgpr10_vgpr11
                                        ; implicit-def: $vgpr12_vgpr13
.LBB64_13:
	v_mov_b32_e32 v6, 0
	v_dual_mov_b32 v10, 0 :: v_dual_mov_b32 v7, 0
	v_dual_mov_b32 v8, 0 :: v_dual_mov_b32 v11, 0
	v_dual_mov_b32 v12, 0 :: v_dual_mov_b32 v9, 0
	v_mov_b32_e32 v13, 0
	s_and_saveexec_b32 s3, s2
	s_cbranch_execz .LBB64_17
; %bb.14:
	v_mad_co_u64_u32 v[16:17], null, v14, 28, 27
	v_mov_b32_e32 v6, 0
	v_dual_mov_b32 v10, 0 :: v_dual_mov_b32 v7, 0
	v_dual_mov_b32 v8, 0 :: v_dual_mov_b32 v11, 0
	;; [unrolled: 1-line block ×3, first 2 shown]
	v_mov_b32_e32 v13, 0
	v_mov_b32_e32 v19, 0
	s_mov_b32 s2, 0
.LBB64_15:                              ; =>This Inner Loop Header: Depth=1
	v_ashrrev_i32_e32 v15, 31, v14
	v_subrev_nc_u32_e32 v21, 20, v16
	s_delay_alu instid0(VALU_DEP_3) | instskip(SKIP_1) | instid1(VALU_DEP_4)
	v_dual_mov_b32 v22, v19 :: v_dual_add_nc_u32 v25, -6, v16
	v_dual_mov_b32 v30, v19 :: v_dual_add_nc_u32 v23, -13, v16
	v_lshlrev_b64_e32 v[17:18], 2, v[14:15]
	v_mov_b32_e32 v24, v19
	v_mov_b32_e32 v26, v19
	v_lshlrev_b64_e32 v[21:22], 3, v[21:22]
	v_add_nc_u32_e32 v14, 16, v14
	v_add_co_u32 v17, vcc_lo, s6, v17
	s_wait_alu 0xfffd
	v_add_co_ci_u32_e64 v18, null, s7, v18, vcc_lo
	v_lshlrev_b64_e32 v[25:26], 3, v[25:26]
	global_load_b32 v15, v[17:18], off
	v_subrev_nc_u32_e32 v18, 27, v16
	v_mov_b32_e32 v17, v19
	v_lshlrev_b64_e32 v[23:24], 3, v[23:24]
	s_delay_alu instid0(VALU_DEP_3) | instskip(NEXT) | instid1(VALU_DEP_3)
	v_lshlrev_b64_e32 v[27:28], 3, v[18:19]
	v_lshlrev_b64_e32 v[17:18], 3, v[16:17]
	s_delay_alu instid0(VALU_DEP_2) | instskip(SKIP_1) | instid1(VALU_DEP_3)
	v_add_co_u32 v27, vcc_lo, s8, v27
	s_wait_alu 0xfffd
	v_add_co_ci_u32_e64 v28, null, s9, v28, vcc_lo
	v_add_co_u32 v31, vcc_lo, s8, v21
	s_wait_alu 0xfffd
	v_add_co_ci_u32_e64 v32, null, s9, v22, vcc_lo
	;; [unrolled: 3-line block ×5, first 2 shown]
	s_clause 0x4
	global_load_b128 v[21:24], v[27:28], off offset:16
	global_load_b128 v[25:28], v[27:28], off
	global_load_b64 v[31:32], v[31:32], off
	global_load_b64 v[33:34], v[33:34], off
	;; [unrolled: 1-line block ×3, first 2 shown]
	s_wait_loadcnt 0x5
	v_subrev_nc_u32_e32 v15, s12, v15
	s_delay_alu instid0(VALU_DEP_1) | instskip(NEXT) | instid1(VALU_DEP_1)
	v_mul_lo_u32 v29, v15, 7
	v_lshlrev_b64_e32 v[17:18], 3, v[29:30]
	s_delay_alu instid0(VALU_DEP_1) | instskip(SKIP_1) | instid1(VALU_DEP_2)
	v_add_co_u32 v17, vcc_lo, s10, v17
	s_wait_alu 0xfffd
	v_add_co_ci_u32_e64 v18, null, s11, v18, vcc_lo
	global_load_b64 v[39:40], v[17:18], off
	v_add_nc_u32_e32 v18, 1, v29
	s_delay_alu instid0(VALU_DEP_1) | instskip(SKIP_1) | instid1(VALU_DEP_1)
	v_lshlrev_b64_e32 v[41:42], 3, v[18:19]
	v_subrev_nc_u32_e32 v18, 19, v16
	v_lshlrev_b64_e32 v[43:44], 3, v[18:19]
	v_add_nc_u32_e32 v18, -12, v16
	s_delay_alu instid0(VALU_DEP_4) | instskip(SKIP_2) | instid1(VALU_DEP_3)
	v_add_co_u32 v41, vcc_lo, s10, v41
	s_wait_alu 0xfffd
	v_add_co_ci_u32_e64 v42, null, s11, v42, vcc_lo
	v_lshlrev_b64_e32 v[45:46], 3, v[18:19]
	v_add_nc_u32_e32 v18, -5, v16
	v_add_co_u32 v43, vcc_lo, s8, v43
	s_wait_alu 0xfffd
	v_add_co_ci_u32_e64 v44, null, s9, v44, vcc_lo
	s_delay_alu instid0(VALU_DEP_3)
	v_lshlrev_b64_e32 v[17:18], 3, v[18:19]
	v_add_co_u32 v45, vcc_lo, s8, v45
	s_wait_alu 0xfffd
	v_add_co_ci_u32_e64 v46, null, s9, v46, vcc_lo
	global_load_b64 v[41:42], v[41:42], off
	v_add_co_u32 v17, vcc_lo, s8, v17
	s_wait_alu 0xfffd
	v_add_co_ci_u32_e64 v18, null, s9, v18, vcc_lo
	s_clause 0x2
	global_load_b64 v[43:44], v[43:44], off
	global_load_b64 v[45:46], v[45:46], off
	global_load_b64 v[47:48], v[17:18], off
	v_add_nc_u32_e32 v18, 2, v29
	s_delay_alu instid0(VALU_DEP_1) | instskip(SKIP_1) | instid1(VALU_DEP_1)
	v_lshlrev_b64_e32 v[49:50], 3, v[18:19]
	v_subrev_nc_u32_e32 v18, 18, v16
	v_lshlrev_b64_e32 v[51:52], 3, v[18:19]
	v_add_nc_u32_e32 v18, -11, v16
	s_delay_alu instid0(VALU_DEP_4) | instskip(SKIP_2) | instid1(VALU_DEP_3)
	v_add_co_u32 v49, vcc_lo, s10, v49
	s_wait_alu 0xfffd
	v_add_co_ci_u32_e64 v50, null, s11, v50, vcc_lo
	v_lshlrev_b64_e32 v[53:54], 3, v[18:19]
	v_add_nc_u32_e32 v18, -4, v16
	v_add_co_u32 v51, vcc_lo, s8, v51
	s_wait_alu 0xfffd
	v_add_co_ci_u32_e64 v52, null, s9, v52, vcc_lo
	s_delay_alu instid0(VALU_DEP_3)
	v_lshlrev_b64_e32 v[17:18], 3, v[18:19]
	v_add_co_u32 v53, vcc_lo, s8, v53
	s_wait_alu 0xfffd
	v_add_co_ci_u32_e64 v54, null, s9, v54, vcc_lo
	global_load_b64 v[49:50], v[49:50], off
	v_add_co_u32 v55, vcc_lo, s8, v17
	s_wait_alu 0xfffd
	v_add_co_ci_u32_e64 v56, null, s9, v18, vcc_lo
	s_clause 0x2
	global_load_b64 v[51:52], v[51:52], off
	global_load_b64 v[53:54], v[53:54], off
	;; [unrolled: 28-line block ×3, first 2 shown]
	global_load_b64 v[63:64], v[63:64], off
	v_subrev_nc_u32_e32 v18, 23, v16
	s_delay_alu instid0(VALU_DEP_1) | instskip(SKIP_1) | instid1(VALU_DEP_1)
	v_lshlrev_b64_e32 v[65:66], 3, v[18:19]
	v_add_nc_u32_e32 v18, 4, v29
	v_lshlrev_b64_e32 v[67:68], 3, v[18:19]
	v_add_nc_u32_e32 v18, -16, v16
	s_delay_alu instid0(VALU_DEP_4) | instskip(SKIP_2) | instid1(VALU_DEP_3)
	v_add_co_u32 v65, vcc_lo, s8, v65
	s_wait_alu 0xfffd
	v_add_co_ci_u32_e64 v66, null, s9, v66, vcc_lo
	v_lshlrev_b64_e32 v[69:70], 3, v[18:19]
	v_add_nc_u32_e32 v18, -9, v16
	v_add_co_u32 v67, vcc_lo, s10, v67
	s_wait_alu 0xfffd
	v_add_co_ci_u32_e64 v68, null, s11, v68, vcc_lo
	s_delay_alu instid0(VALU_DEP_3) | instskip(SKIP_4) | instid1(VALU_DEP_3)
	v_lshlrev_b64_e32 v[71:72], 3, v[18:19]
	v_add_nc_u32_e32 v18, -2, v16
	v_add_co_u32 v69, vcc_lo, s8, v69
	s_wait_alu 0xfffd
	v_add_co_ci_u32_e64 v70, null, s9, v70, vcc_lo
	v_lshlrev_b64_e32 v[17:18], 3, v[18:19]
	v_add_co_u32 v71, vcc_lo, s8, v71
	s_wait_alu 0xfffd
	v_add_co_ci_u32_e64 v72, null, s9, v72, vcc_lo
	global_load_b64 v[65:66], v[65:66], off
	v_add_co_u32 v73, vcc_lo, s8, v17
	s_wait_alu 0xfffd
	v_add_co_ci_u32_e64 v74, null, s9, v18, vcc_lo
	global_load_b64 v[67:68], v[67:68], off
	s_clause 0x2
	global_load_b64 v[69:70], v[69:70], off
	global_load_b64 v[71:72], v[71:72], off
	;; [unrolled: 1-line block ×3, first 2 shown]
	v_subrev_nc_u32_e32 v18, 22, v16
	s_delay_alu instid0(VALU_DEP_1) | instskip(SKIP_1) | instid1(VALU_DEP_1)
	v_lshlrev_b64_e32 v[75:76], 3, v[18:19]
	v_add_nc_u32_e32 v18, 5, v29
	v_lshlrev_b64_e32 v[77:78], 3, v[18:19]
	v_add_nc_u32_e32 v18, -15, v16
	s_delay_alu instid0(VALU_DEP_4) | instskip(SKIP_2) | instid1(VALU_DEP_3)
	v_add_co_u32 v75, vcc_lo, s8, v75
	s_wait_alu 0xfffd
	v_add_co_ci_u32_e64 v76, null, s9, v76, vcc_lo
	v_lshlrev_b64_e32 v[79:80], 3, v[18:19]
	v_add_nc_u32_e32 v18, -8, v16
	v_add_co_u32 v77, vcc_lo, s10, v77
	s_wait_alu 0xfffd
	v_add_co_ci_u32_e64 v78, null, s11, v78, vcc_lo
	s_delay_alu instid0(VALU_DEP_3) | instskip(SKIP_4) | instid1(VALU_DEP_3)
	v_lshlrev_b64_e32 v[81:82], 3, v[18:19]
	v_add_nc_u32_e32 v18, -1, v16
	v_add_co_u32 v79, vcc_lo, s8, v79
	s_wait_alu 0xfffd
	v_add_co_ci_u32_e64 v80, null, s9, v80, vcc_lo
	v_lshlrev_b64_e32 v[17:18], 3, v[18:19]
	v_add_co_u32 v81, vcc_lo, s8, v81
	s_wait_alu 0xfffd
	v_add_co_ci_u32_e64 v82, null, s9, v82, vcc_lo
	s_delay_alu instid0(VALU_DEP_3)
	v_add_co_u32 v17, vcc_lo, s8, v17
	s_wait_alu 0xfffd
	v_add_co_ci_u32_e64 v18, null, s9, v18, vcc_lo
	global_load_b64 v[75:76], v[75:76], off
	global_load_b64 v[77:78], v[77:78], off
	s_clause 0x2
	global_load_b64 v[79:80], v[79:80], off
	global_load_b64 v[81:82], v[81:82], off
	;; [unrolled: 1-line block ×3, first 2 shown]
	v_subrev_nc_u32_e32 v18, 21, v16
	s_delay_alu instid0(VALU_DEP_1) | instskip(SKIP_1) | instid1(VALU_DEP_1)
	v_lshlrev_b64_e32 v[85:86], 3, v[18:19]
	v_add_nc_u32_e32 v18, 6, v29
	v_lshlrev_b64_e32 v[29:30], 3, v[18:19]
	v_add_nc_u32_e32 v18, -14, v16
	s_delay_alu instid0(VALU_DEP_4) | instskip(SKIP_2) | instid1(VALU_DEP_3)
	v_add_co_u32 v85, vcc_lo, s8, v85
	s_wait_alu 0xfffd
	v_add_co_ci_u32_e64 v86, null, s9, v86, vcc_lo
	v_lshlrev_b64_e32 v[87:88], 3, v[18:19]
	v_add_nc_u32_e32 v18, -7, v16
	v_add_co_u32 v29, vcc_lo, s10, v29
	s_wait_alu 0xfffd
	v_add_co_ci_u32_e64 v30, null, s11, v30, vcc_lo
	s_delay_alu instid0(VALU_DEP_3) | instskip(SKIP_4) | instid1(VALU_DEP_4)
	v_lshlrev_b64_e32 v[17:18], 3, v[18:19]
	v_add_co_u32 v87, vcc_lo, s8, v87
	s_wait_alu 0xfffd
	v_add_co_ci_u32_e64 v88, null, s9, v88, vcc_lo
	v_add_nc_u32_e32 v16, 0x1c0, v16
	v_add_co_u32 v17, vcc_lo, s8, v17
	s_wait_alu 0xfffd
	v_add_co_ci_u32_e64 v18, null, s9, v18, vcc_lo
	global_load_b64 v[85:86], v[85:86], off
	global_load_b64 v[29:30], v[29:30], off
	s_clause 0x2
	global_load_b64 v[87:88], v[87:88], off
	global_load_b64 v[17:18], v[17:18], off
	;; [unrolled: 1-line block ×3, first 2 shown]
	v_cmp_ge_i32_e32 vcc_lo, v14, v20
	s_wait_alu 0xfffe
	s_or_b32 s2, vcc_lo, s2
	s_wait_loadcnt 0x1b
	v_fma_f64 v[6:7], v[25:26], v[39:40], v[6:7]
	v_fma_f64 v[12:13], v[31:32], v[39:40], v[12:13]
	v_fma_f64 v[10:11], v[33:34], v[39:40], v[10:11]
	v_fma_f64 v[8:9], v[35:36], v[39:40], v[8:9]
	s_wait_loadcnt 0x1a
	s_delay_alu instid0(VALU_DEP_4) | instskip(SKIP_1) | instid1(VALU_DEP_4)
	v_fma_f64 v[6:7], v[27:28], v[41:42], v[6:7]
	s_wait_loadcnt 0x19
	v_fma_f64 v[12:13], v[43:44], v[41:42], v[12:13]
	s_wait_loadcnt 0x18
	s_delay_alu instid0(VALU_DEP_4) | instskip(SKIP_1) | instid1(VALU_DEP_4)
	v_fma_f64 v[10:11], v[45:46], v[41:42], v[10:11]
	s_wait_loadcnt 0x17
	v_fma_f64 v[8:9], v[47:48], v[41:42], v[8:9]
	;; [unrolled: 5-line block ×12, first 2 shown]
	s_wait_alu 0xfffe
	s_and_not1_b32 exec_lo, exec_lo, s2
	s_cbranch_execnz .LBB64_15
; %bb.16:
	s_or_b32 exec_lo, exec_lo, s2
.LBB64_17:
	s_wait_alu 0xfffe
	s_or_b32 exec_lo, exec_lo, s3
.LBB64_18:
	v_mbcnt_lo_u32_b32 v24, -1, 0
	s_delay_alu instid0(VALU_DEP_1) | instskip(NEXT) | instid1(VALU_DEP_1)
	v_xor_b32_e32 v14, 8, v24
	v_cmp_gt_i32_e32 vcc_lo, 32, v14
	s_wait_alu 0xfffd
	v_cndmask_b32_e32 v14, v24, v14, vcc_lo
	s_delay_alu instid0(VALU_DEP_1)
	v_lshlrev_b32_e32 v21, 2, v14
	ds_bpermute_b32 v14, v21, v6
	ds_bpermute_b32 v15, v21, v7
	;; [unrolled: 1-line block ×8, first 2 shown]
	s_wait_dscnt 0x6
	v_add_f64_e32 v[6:7], v[6:7], v[14:15]
	v_xor_b32_e32 v14, 4, v24
	s_wait_dscnt 0x4
	v_add_f64_e32 v[12:13], v[12:13], v[16:17]
	s_wait_dscnt 0x2
	v_add_f64_e32 v[10:11], v[10:11], v[18:19]
	;; [unrolled: 2-line block ×3, first 2 shown]
	v_cmp_gt_i32_e32 vcc_lo, 32, v14
	s_wait_alu 0xfffd
	v_cndmask_b32_e32 v14, v24, v14, vcc_lo
	s_delay_alu instid0(VALU_DEP_1)
	v_lshlrev_b32_e32 v21, 2, v14
	ds_bpermute_b32 v14, v21, v6
	ds_bpermute_b32 v15, v21, v7
	;; [unrolled: 1-line block ×8, first 2 shown]
	s_wait_dscnt 0x6
	v_add_f64_e32 v[6:7], v[6:7], v[14:15]
	s_wait_dscnt 0x4
	v_add_f64_e32 v[14:15], v[12:13], v[16:17]
	;; [unrolled: 2-line block ×3, first 2 shown]
	v_xor_b32_e32 v10, 2, v24
	s_wait_dscnt 0x0
	v_add_f64_e32 v[8:9], v[8:9], v[20:21]
	s_delay_alu instid0(VALU_DEP_2) | instskip(SKIP_2) | instid1(VALU_DEP_1)
	v_cmp_gt_i32_e32 vcc_lo, 32, v10
	s_wait_alu 0xfffd
	v_cndmask_b32_e32 v10, v24, v10, vcc_lo
	v_lshlrev_b32_e32 v12, 2, v10
	ds_bpermute_b32 v10, v12, v6
	ds_bpermute_b32 v11, v12, v7
	;; [unrolled: 1-line block ×8, first 2 shown]
	s_wait_dscnt 0x6
	v_add_f64_e32 v[12:13], v[6:7], v[10:11]
	s_wait_dscnt 0x4
	v_add_f64_e32 v[10:11], v[14:15], v[18:19]
	v_xor_b32_e32 v14, 1, v24
	s_wait_dscnt 0x2
	v_add_f64_e32 v[6:7], v[16:17], v[20:21]
	s_wait_dscnt 0x0
	v_add_f64_e32 v[8:9], v[8:9], v[22:23]
	v_cmp_gt_i32_e32 vcc_lo, 32, v14
	s_wait_alu 0xfffd
	v_cndmask_b32_e32 v14, v24, v14, vcc_lo
	v_cmp_eq_u32_e32 vcc_lo, 15, v0
	s_delay_alu instid0(VALU_DEP_2)
	v_lshlrev_b32_e32 v15, 2, v14
	ds_bpermute_b32 v20, v15, v12
	ds_bpermute_b32 v21, v15, v13
	;; [unrolled: 1-line block ×8, first 2 shown]
	s_and_b32 exec_lo, exec_lo, vcc_lo
	s_cbranch_execz .LBB64_23
; %bb.19:
	s_wait_dscnt 0x6
	v_add_f64_e32 v[12:13], v[12:13], v[20:21]
	s_wait_dscnt 0x4
	v_add_f64_e32 v[10:11], v[10:11], v[18:19]
	;; [unrolled: 2-line block ×4, first 2 shown]
	s_load_b64 s[0:1], s[0:1], 0x38
	s_mov_b32 s2, exec_lo
	v_cmpx_eq_f64_e32 0, v[3:4]
	s_wait_alu 0xfffe
	s_xor_b32 s2, exec_lo, s2
	s_cbranch_execz .LBB64_21
; %bb.20:
	v_mul_f64_e32 v[12:13], v[1:2], v[12:13]
	v_mul_f64_e32 v[14:15], v[1:2], v[10:11]
	;; [unrolled: 1-line block ×4, first 2 shown]
	v_lshlrev_b32_e32 v0, 2, v5
                                        ; implicit-def: $vgpr5
                                        ; implicit-def: $vgpr3_vgpr4
                                        ; implicit-def: $vgpr10_vgpr11
	s_delay_alu instid0(VALU_DEP_1) | instskip(NEXT) | instid1(VALU_DEP_1)
	v_ashrrev_i32_e32 v1, 31, v0
	v_lshlrev_b64_e32 v[0:1], 3, v[0:1]
	s_wait_kmcnt 0x0
	s_delay_alu instid0(VALU_DEP_1) | instskip(SKIP_1) | instid1(VALU_DEP_2)
	v_add_co_u32 v0, vcc_lo, s0, v0
	s_wait_alu 0xfffd
	v_add_co_ci_u32_e64 v1, null, s1, v1, vcc_lo
	s_clause 0x1
	global_store_b128 v[0:1], v[12:15], off
	global_store_b128 v[0:1], v[6:9], off offset:16
                                        ; implicit-def: $vgpr1_vgpr2
                                        ; implicit-def: $vgpr12_vgpr13
                                        ; implicit-def: $vgpr6_vgpr7
                                        ; implicit-def: $vgpr8_vgpr9
.LBB64_21:
	s_wait_alu 0xfffe
	s_and_not1_saveexec_b32 s2, s2
	s_cbranch_execz .LBB64_23
; %bb.22:
	v_lshlrev_b32_e32 v14, 2, v5
	v_mul_f64_e32 v[12:13], v[1:2], v[12:13]
	v_mul_f64_e32 v[10:11], v[1:2], v[10:11]
	;; [unrolled: 1-line block ×4, first 2 shown]
	v_ashrrev_i32_e32 v15, 31, v14
	s_delay_alu instid0(VALU_DEP_1) | instskip(SKIP_1) | instid1(VALU_DEP_1)
	v_lshlrev_b64_e32 v[14:15], 3, v[14:15]
	s_wait_kmcnt 0x0
	v_add_co_u32 v22, vcc_lo, s0, v14
	s_wait_alu 0xfffd
	s_delay_alu instid0(VALU_DEP_2)
	v_add_co_ci_u32_e64 v23, null, s1, v15, vcc_lo
	s_clause 0x1
	global_load_b128 v[14:17], v[22:23], off
	global_load_b128 v[18:21], v[22:23], off offset:16
	s_wait_loadcnt 0x1
	v_fma_f64 v[5:6], v[3:4], v[14:15], v[12:13]
	v_fma_f64 v[7:8], v[3:4], v[16:17], v[10:11]
	s_wait_loadcnt 0x0
	v_fma_f64 v[0:1], v[3:4], v[18:19], v[24:25]
	v_fma_f64 v[2:3], v[3:4], v[20:21], v[26:27]
	s_clause 0x1
	global_store_b128 v[22:23], v[5:8], off
	global_store_b128 v[22:23], v[0:3], off offset:16
.LBB64_23:
	s_endpgm
	.section	.rodata,"a",@progbits
	.p2align	6, 0x0
	.amdhsa_kernel _ZN9rocsparseL19gebsrmvn_4xn_kernelILj128ELj7ELj16EdEEvi20rocsparse_direction_NS_24const_host_device_scalarIT2_EEPKiS6_PKS3_S8_S4_PS3_21rocsparse_index_base_b
		.amdhsa_group_segment_fixed_size 0
		.amdhsa_private_segment_fixed_size 0
		.amdhsa_kernarg_size 72
		.amdhsa_user_sgpr_count 2
		.amdhsa_user_sgpr_dispatch_ptr 0
		.amdhsa_user_sgpr_queue_ptr 0
		.amdhsa_user_sgpr_kernarg_segment_ptr 1
		.amdhsa_user_sgpr_dispatch_id 0
		.amdhsa_user_sgpr_private_segment_size 0
		.amdhsa_wavefront_size32 1
		.amdhsa_uses_dynamic_stack 0
		.amdhsa_enable_private_segment 0
		.amdhsa_system_sgpr_workgroup_id_x 1
		.amdhsa_system_sgpr_workgroup_id_y 0
		.amdhsa_system_sgpr_workgroup_id_z 0
		.amdhsa_system_sgpr_workgroup_info 0
		.amdhsa_system_vgpr_workitem_id 0
		.amdhsa_next_free_vgpr 91
		.amdhsa_next_free_sgpr 14
		.amdhsa_reserve_vcc 1
		.amdhsa_float_round_mode_32 0
		.amdhsa_float_round_mode_16_64 0
		.amdhsa_float_denorm_mode_32 3
		.amdhsa_float_denorm_mode_16_64 3
		.amdhsa_fp16_overflow 0
		.amdhsa_workgroup_processor_mode 1
		.amdhsa_memory_ordered 1
		.amdhsa_forward_progress 1
		.amdhsa_inst_pref_size 34
		.amdhsa_round_robin_scheduling 0
		.amdhsa_exception_fp_ieee_invalid_op 0
		.amdhsa_exception_fp_denorm_src 0
		.amdhsa_exception_fp_ieee_div_zero 0
		.amdhsa_exception_fp_ieee_overflow 0
		.amdhsa_exception_fp_ieee_underflow 0
		.amdhsa_exception_fp_ieee_inexact 0
		.amdhsa_exception_int_div_zero 0
	.end_amdhsa_kernel
	.section	.text._ZN9rocsparseL19gebsrmvn_4xn_kernelILj128ELj7ELj16EdEEvi20rocsparse_direction_NS_24const_host_device_scalarIT2_EEPKiS6_PKS3_S8_S4_PS3_21rocsparse_index_base_b,"axG",@progbits,_ZN9rocsparseL19gebsrmvn_4xn_kernelILj128ELj7ELj16EdEEvi20rocsparse_direction_NS_24const_host_device_scalarIT2_EEPKiS6_PKS3_S8_S4_PS3_21rocsparse_index_base_b,comdat
.Lfunc_end64:
	.size	_ZN9rocsparseL19gebsrmvn_4xn_kernelILj128ELj7ELj16EdEEvi20rocsparse_direction_NS_24const_host_device_scalarIT2_EEPKiS6_PKS3_S8_S4_PS3_21rocsparse_index_base_b, .Lfunc_end64-_ZN9rocsparseL19gebsrmvn_4xn_kernelILj128ELj7ELj16EdEEvi20rocsparse_direction_NS_24const_host_device_scalarIT2_EEPKiS6_PKS3_S8_S4_PS3_21rocsparse_index_base_b
                                        ; -- End function
	.set _ZN9rocsparseL19gebsrmvn_4xn_kernelILj128ELj7ELj16EdEEvi20rocsparse_direction_NS_24const_host_device_scalarIT2_EEPKiS6_PKS3_S8_S4_PS3_21rocsparse_index_base_b.num_vgpr, 91
	.set _ZN9rocsparseL19gebsrmvn_4xn_kernelILj128ELj7ELj16EdEEvi20rocsparse_direction_NS_24const_host_device_scalarIT2_EEPKiS6_PKS3_S8_S4_PS3_21rocsparse_index_base_b.num_agpr, 0
	.set _ZN9rocsparseL19gebsrmvn_4xn_kernelILj128ELj7ELj16EdEEvi20rocsparse_direction_NS_24const_host_device_scalarIT2_EEPKiS6_PKS3_S8_S4_PS3_21rocsparse_index_base_b.numbered_sgpr, 14
	.set _ZN9rocsparseL19gebsrmvn_4xn_kernelILj128ELj7ELj16EdEEvi20rocsparse_direction_NS_24const_host_device_scalarIT2_EEPKiS6_PKS3_S8_S4_PS3_21rocsparse_index_base_b.num_named_barrier, 0
	.set _ZN9rocsparseL19gebsrmvn_4xn_kernelILj128ELj7ELj16EdEEvi20rocsparse_direction_NS_24const_host_device_scalarIT2_EEPKiS6_PKS3_S8_S4_PS3_21rocsparse_index_base_b.private_seg_size, 0
	.set _ZN9rocsparseL19gebsrmvn_4xn_kernelILj128ELj7ELj16EdEEvi20rocsparse_direction_NS_24const_host_device_scalarIT2_EEPKiS6_PKS3_S8_S4_PS3_21rocsparse_index_base_b.uses_vcc, 1
	.set _ZN9rocsparseL19gebsrmvn_4xn_kernelILj128ELj7ELj16EdEEvi20rocsparse_direction_NS_24const_host_device_scalarIT2_EEPKiS6_PKS3_S8_S4_PS3_21rocsparse_index_base_b.uses_flat_scratch, 0
	.set _ZN9rocsparseL19gebsrmvn_4xn_kernelILj128ELj7ELj16EdEEvi20rocsparse_direction_NS_24const_host_device_scalarIT2_EEPKiS6_PKS3_S8_S4_PS3_21rocsparse_index_base_b.has_dyn_sized_stack, 0
	.set _ZN9rocsparseL19gebsrmvn_4xn_kernelILj128ELj7ELj16EdEEvi20rocsparse_direction_NS_24const_host_device_scalarIT2_EEPKiS6_PKS3_S8_S4_PS3_21rocsparse_index_base_b.has_recursion, 0
	.set _ZN9rocsparseL19gebsrmvn_4xn_kernelILj128ELj7ELj16EdEEvi20rocsparse_direction_NS_24const_host_device_scalarIT2_EEPKiS6_PKS3_S8_S4_PS3_21rocsparse_index_base_b.has_indirect_call, 0
	.section	.AMDGPU.csdata,"",@progbits
; Kernel info:
; codeLenInByte = 4312
; TotalNumSgprs: 16
; NumVgprs: 91
; ScratchSize: 0
; MemoryBound: 1
; FloatMode: 240
; IeeeMode: 1
; LDSByteSize: 0 bytes/workgroup (compile time only)
; SGPRBlocks: 0
; VGPRBlocks: 11
; NumSGPRsForWavesPerEU: 16
; NumVGPRsForWavesPerEU: 91
; Occupancy: 16
; WaveLimiterHint : 1
; COMPUTE_PGM_RSRC2:SCRATCH_EN: 0
; COMPUTE_PGM_RSRC2:USER_SGPR: 2
; COMPUTE_PGM_RSRC2:TRAP_HANDLER: 0
; COMPUTE_PGM_RSRC2:TGID_X_EN: 1
; COMPUTE_PGM_RSRC2:TGID_Y_EN: 0
; COMPUTE_PGM_RSRC2:TGID_Z_EN: 0
; COMPUTE_PGM_RSRC2:TIDIG_COMP_CNT: 0
	.section	.text._ZN9rocsparseL19gebsrmvn_4xn_kernelILj128ELj7ELj32EdEEvi20rocsparse_direction_NS_24const_host_device_scalarIT2_EEPKiS6_PKS3_S8_S4_PS3_21rocsparse_index_base_b,"axG",@progbits,_ZN9rocsparseL19gebsrmvn_4xn_kernelILj128ELj7ELj32EdEEvi20rocsparse_direction_NS_24const_host_device_scalarIT2_EEPKiS6_PKS3_S8_S4_PS3_21rocsparse_index_base_b,comdat
	.globl	_ZN9rocsparseL19gebsrmvn_4xn_kernelILj128ELj7ELj32EdEEvi20rocsparse_direction_NS_24const_host_device_scalarIT2_EEPKiS6_PKS3_S8_S4_PS3_21rocsparse_index_base_b ; -- Begin function _ZN9rocsparseL19gebsrmvn_4xn_kernelILj128ELj7ELj32EdEEvi20rocsparse_direction_NS_24const_host_device_scalarIT2_EEPKiS6_PKS3_S8_S4_PS3_21rocsparse_index_base_b
	.p2align	8
	.type	_ZN9rocsparseL19gebsrmvn_4xn_kernelILj128ELj7ELj32EdEEvi20rocsparse_direction_NS_24const_host_device_scalarIT2_EEPKiS6_PKS3_S8_S4_PS3_21rocsparse_index_base_b,@function
_ZN9rocsparseL19gebsrmvn_4xn_kernelILj128ELj7ELj32EdEEvi20rocsparse_direction_NS_24const_host_device_scalarIT2_EEPKiS6_PKS3_S8_S4_PS3_21rocsparse_index_base_b: ; @_ZN9rocsparseL19gebsrmvn_4xn_kernelILj128ELj7ELj32EdEEvi20rocsparse_direction_NS_24const_host_device_scalarIT2_EEPKiS6_PKS3_S8_S4_PS3_21rocsparse_index_base_b
; %bb.0:
	s_clause 0x2
	s_load_b64 s[12:13], s[0:1], 0x40
	s_load_b64 s[4:5], s[0:1], 0x8
	;; [unrolled: 1-line block ×3, first 2 shown]
	s_wait_kmcnt 0x0
	s_bitcmp1_b32 s13, 0
	v_dual_mov_b32 v1, s4 :: v_dual_mov_b32 v2, s5
	s_cselect_b32 s6, -1, 0
	s_delay_alu instid0(SALU_CYCLE_1)
	s_and_b32 vcc_lo, exec_lo, s6
	s_xor_b32 s6, s6, -1
	s_cbranch_vccnz .LBB65_2
; %bb.1:
	v_dual_mov_b32 v1, s4 :: v_dual_mov_b32 v2, s5
	flat_load_b64 v[1:2], v[1:2]
.LBB65_2:
	v_dual_mov_b32 v4, s3 :: v_dual_mov_b32 v3, s2
	s_and_not1_b32 vcc_lo, exec_lo, s6
	s_cbranch_vccnz .LBB65_4
; %bb.3:
	v_dual_mov_b32 v4, s3 :: v_dual_mov_b32 v3, s2
	flat_load_b64 v[3:4], v[3:4]
.LBB65_4:
	s_wait_loadcnt_dscnt 0x0
	v_cmp_neq_f64_e32 vcc_lo, 0, v[1:2]
	v_cmp_neq_f64_e64 s2, 1.0, v[3:4]
	s_or_b32 s2, vcc_lo, s2
	s_wait_alu 0xfffe
	s_and_saveexec_b32 s3, s2
	s_cbranch_execz .LBB65_23
; %bb.5:
	s_load_b64 s[2:3], s[0:1], 0x0
	v_lshrrev_b32_e32 v5, 5, v0
	s_delay_alu instid0(VALU_DEP_1) | instskip(SKIP_1) | instid1(VALU_DEP_1)
	v_lshl_or_b32 v5, ttmp9, 2, v5
	s_wait_kmcnt 0x0
	v_cmp_gt_i32_e32 vcc_lo, s2, v5
	s_and_b32 exec_lo, exec_lo, vcc_lo
	s_cbranch_execz .LBB65_23
; %bb.6:
	s_load_b256 s[4:11], s[0:1], 0x10
	v_ashrrev_i32_e32 v6, 31, v5
	v_and_b32_e32 v0, 31, v0
	s_cmp_lg_u32 s3, 0
	s_delay_alu instid0(VALU_DEP_2) | instskip(SKIP_1) | instid1(VALU_DEP_1)
	v_lshlrev_b64_e32 v[6:7], 2, v[5:6]
	s_wait_kmcnt 0x0
	v_add_co_u32 v6, vcc_lo, s4, v6
	s_delay_alu instid0(VALU_DEP_1) | instskip(SKIP_4) | instid1(VALU_DEP_2)
	v_add_co_ci_u32_e64 v7, null, s5, v7, vcc_lo
	global_load_b64 v[6:7], v[6:7], off
	s_wait_loadcnt 0x0
	v_subrev_nc_u32_e32 v6, s12, v6
	v_subrev_nc_u32_e32 v20, s12, v7
	v_add_nc_u32_e32 v14, v6, v0
	s_delay_alu instid0(VALU_DEP_1)
	v_cmp_lt_i32_e64 s2, v14, v20
	s_cbranch_scc0 .LBB65_12
; %bb.7:
	v_mov_b32_e32 v6, 0
	v_dual_mov_b32 v10, 0 :: v_dual_mov_b32 v7, 0
	v_dual_mov_b32 v8, 0 :: v_dual_mov_b32 v11, 0
	;; [unrolled: 1-line block ×3, first 2 shown]
	v_mov_b32_e32 v13, 0
	s_and_saveexec_b32 s3, s2
	s_cbranch_execz .LBB65_11
; %bb.8:
	v_dual_mov_b32 v6, 0 :: v_dual_mov_b32 v17, 0
	v_mad_co_u64_u32 v[15:16], null, v14, 28, 24
	v_dual_mov_b32 v7, 0 :: v_dual_mov_b32 v8, 0
	v_dual_mov_b32 v9, 0 :: v_dual_mov_b32 v10, 0
	;; [unrolled: 1-line block ×4, first 2 shown]
	s_mov_b32 s4, 0
.LBB65_9:                               ; =>This Inner Loop Header: Depth=1
	s_delay_alu instid0(VALU_DEP_1) | instskip(SKIP_2) | instid1(VALU_DEP_3)
	v_ashrrev_i32_e32 v19, 31, v18
	v_subrev_nc_u32_e32 v16, 24, v15
	v_mov_b32_e32 v74, v17
	v_lshlrev_b64_e32 v[21:22], 2, v[18:19]
	v_add_nc_u32_e32 v18, 32, v18
	s_delay_alu instid0(VALU_DEP_2) | instskip(SKIP_1) | instid1(VALU_DEP_3)
	v_add_co_u32 v21, vcc_lo, s6, v21
	s_wait_alu 0xfffd
	v_add_co_ci_u32_e64 v22, null, s7, v22, vcc_lo
	global_load_b32 v19, v[21:22], off
	v_lshlrev_b64_e32 v[21:22], 3, v[16:17]
	s_delay_alu instid0(VALU_DEP_1) | instskip(SKIP_1) | instid1(VALU_DEP_2)
	v_add_co_u32 v25, vcc_lo, s8, v21
	s_wait_alu 0xfffd
	v_add_co_ci_u32_e64 v26, null, s9, v22, vcc_lo
	global_load_b128 v[21:24], v[25:26], off offset:16
	s_wait_loadcnt 0x1
	v_subrev_nc_u32_e32 v16, s12, v19
	s_delay_alu instid0(VALU_DEP_1) | instskip(SKIP_1) | instid1(VALU_DEP_2)
	v_mul_lo_u32 v73, v16, 7
	v_subrev_nc_u32_e32 v16, 20, v15
	v_lshlrev_b64_e32 v[27:28], 3, v[73:74]
	s_delay_alu instid0(VALU_DEP_1) | instskip(SKIP_1) | instid1(VALU_DEP_2)
	v_add_co_u32 v29, vcc_lo, s10, v27
	s_wait_alu 0xfffd
	v_add_co_ci_u32_e64 v30, null, s11, v28, vcc_lo
	global_load_b128 v[25:28], v[25:26], off
	global_load_b64 v[77:78], v[29:30], off
	v_lshlrev_b64_e32 v[29:30], 3, v[16:17]
	v_add_nc_u32_e32 v16, 1, v73
	s_delay_alu instid0(VALU_DEP_1) | instskip(NEXT) | instid1(VALU_DEP_3)
	v_lshlrev_b64_e32 v[35:36], 3, v[16:17]
	v_add_co_u32 v33, vcc_lo, s8, v29
	s_wait_alu 0xfffd
	s_delay_alu instid0(VALU_DEP_4) | instskip(SKIP_1) | instid1(VALU_DEP_4)
	v_add_co_ci_u32_e64 v34, null, s9, v30, vcc_lo
	v_add_nc_u32_e32 v16, -16, v15
	v_add_co_u32 v37, vcc_lo, s10, v35
	s_wait_alu 0xfffd
	v_add_co_ci_u32_e64 v38, null, s11, v36, vcc_lo
	s_clause 0x1
	global_load_b128 v[29:32], v[33:34], off offset:16
	global_load_b128 v[33:36], v[33:34], off
	global_load_b64 v[79:80], v[37:38], off
	v_lshlrev_b64_e32 v[37:38], 3, v[16:17]
	v_add_nc_u32_e32 v16, 2, v73
	s_delay_alu instid0(VALU_DEP_1) | instskip(NEXT) | instid1(VALU_DEP_3)
	v_lshlrev_b64_e32 v[39:40], 3, v[16:17]
	v_add_co_u32 v41, vcc_lo, s8, v37
	s_wait_alu 0xfffd
	s_delay_alu instid0(VALU_DEP_4) | instskip(SKIP_1) | instid1(VALU_DEP_4)
	v_add_co_ci_u32_e64 v42, null, s9, v38, vcc_lo
	v_add_nc_u32_e32 v16, -12, v15
	v_add_co_u32 v45, vcc_lo, s10, v39
	s_wait_alu 0xfffd
	v_add_co_ci_u32_e64 v46, null, s11, v40, vcc_lo
	s_clause 0x1
	global_load_b128 v[37:40], v[41:42], off offset:16
	;; [unrolled: 16-line block ×4, first 2 shown]
	global_load_b128 v[57:60], v[57:58], off
	global_load_b64 v[85:86], v[61:62], off
	v_lshlrev_b64_e32 v[61:62], 3, v[16:17]
	v_add_nc_u32_e32 v16, 5, v73
	s_delay_alu instid0(VALU_DEP_1) | instskip(NEXT) | instid1(VALU_DEP_3)
	v_lshlrev_b64_e32 v[63:64], 3, v[16:17]
	v_add_co_u32 v65, vcc_lo, s8, v61
	s_wait_alu 0xfffd
	s_delay_alu instid0(VALU_DEP_4) | instskip(SKIP_1) | instid1(VALU_DEP_4)
	v_add_co_ci_u32_e64 v66, null, s9, v62, vcc_lo
	v_mov_b32_e32 v16, v17
	v_add_co_u32 v69, vcc_lo, s10, v63
	s_wait_alu 0xfffd
	v_add_co_ci_u32_e64 v70, null, s11, v64, vcc_lo
	s_clause 0x1
	global_load_b128 v[61:64], v[65:66], off offset:16
	global_load_b128 v[65:68], v[65:66], off
	global_load_b64 v[87:88], v[69:70], off
	v_lshlrev_b64_e32 v[69:70], 3, v[15:16]
	v_add_nc_u32_e32 v16, 6, v73
	v_add_nc_u32_e32 v15, 0x380, v15
	s_delay_alu instid0(VALU_DEP_2) | instskip(NEXT) | instid1(VALU_DEP_4)
	v_lshlrev_b64_e32 v[89:90], 3, v[16:17]
	v_add_co_u32 v74, vcc_lo, s8, v69
	s_wait_alu 0xfffd
	v_add_co_ci_u32_e64 v75, null, s9, v70, vcc_lo
	s_delay_alu instid0(VALU_DEP_3)
	v_add_co_u32 v89, vcc_lo, s10, v89
	s_wait_alu 0xfffd
	v_add_co_ci_u32_e64 v90, null, s11, v90, vcc_lo
	s_clause 0x1
	global_load_b128 v[69:72], v[74:75], off offset:16
	global_load_b128 v[73:76], v[74:75], off
	global_load_b64 v[89:90], v[89:90], off
	v_cmp_ge_i32_e32 vcc_lo, v18, v20
	s_wait_alu 0xfffe
	s_or_b32 s4, vcc_lo, s4
	s_wait_loadcnt 0x12
	v_fma_f64 v[6:7], v[25:26], v[77:78], v[6:7]
	v_fma_f64 v[12:13], v[27:28], v[77:78], v[12:13]
	v_fma_f64 v[10:11], v[21:22], v[77:78], v[10:11]
	v_fma_f64 v[8:9], v[23:24], v[77:78], v[8:9]
	s_wait_loadcnt 0xf
	s_delay_alu instid0(VALU_DEP_4) | instskip(NEXT) | instid1(VALU_DEP_4)
	v_fma_f64 v[6:7], v[33:34], v[79:80], v[6:7]
	v_fma_f64 v[12:13], v[35:36], v[79:80], v[12:13]
	s_delay_alu instid0(VALU_DEP_4) | instskip(NEXT) | instid1(VALU_DEP_4)
	v_fma_f64 v[10:11], v[29:30], v[79:80], v[10:11]
	v_fma_f64 v[8:9], v[31:32], v[79:80], v[8:9]
	s_wait_loadcnt 0xc
	s_delay_alu instid0(VALU_DEP_4) | instskip(NEXT) | instid1(VALU_DEP_4)
	v_fma_f64 v[6:7], v[41:42], v[81:82], v[6:7]
	v_fma_f64 v[12:13], v[43:44], v[81:82], v[12:13]
	s_delay_alu instid0(VALU_DEP_4) | instskip(NEXT) | instid1(VALU_DEP_4)
	v_fma_f64 v[10:11], v[37:38], v[81:82], v[10:11]
	v_fma_f64 v[8:9], v[39:40], v[81:82], v[8:9]
	s_wait_loadcnt 0x9
	s_delay_alu instid0(VALU_DEP_4) | instskip(NEXT) | instid1(VALU_DEP_4)
	v_fma_f64 v[6:7], v[49:50], v[83:84], v[6:7]
	v_fma_f64 v[12:13], v[51:52], v[83:84], v[12:13]
	s_delay_alu instid0(VALU_DEP_4) | instskip(NEXT) | instid1(VALU_DEP_4)
	v_fma_f64 v[10:11], v[45:46], v[83:84], v[10:11]
	v_fma_f64 v[8:9], v[47:48], v[83:84], v[8:9]
	s_wait_loadcnt 0x6
	s_delay_alu instid0(VALU_DEP_4) | instskip(NEXT) | instid1(VALU_DEP_4)
	v_fma_f64 v[6:7], v[57:58], v[85:86], v[6:7]
	v_fma_f64 v[12:13], v[59:60], v[85:86], v[12:13]
	s_delay_alu instid0(VALU_DEP_4) | instskip(NEXT) | instid1(VALU_DEP_4)
	v_fma_f64 v[10:11], v[53:54], v[85:86], v[10:11]
	v_fma_f64 v[8:9], v[55:56], v[85:86], v[8:9]
	s_wait_loadcnt 0x3
	s_delay_alu instid0(VALU_DEP_4) | instskip(NEXT) | instid1(VALU_DEP_4)
	v_fma_f64 v[6:7], v[65:66], v[87:88], v[6:7]
	v_fma_f64 v[12:13], v[67:68], v[87:88], v[12:13]
	s_delay_alu instid0(VALU_DEP_4) | instskip(NEXT) | instid1(VALU_DEP_4)
	v_fma_f64 v[10:11], v[61:62], v[87:88], v[10:11]
	v_fma_f64 v[8:9], v[63:64], v[87:88], v[8:9]
	s_wait_loadcnt 0x0
	s_delay_alu instid0(VALU_DEP_4) | instskip(NEXT) | instid1(VALU_DEP_4)
	v_fma_f64 v[6:7], v[73:74], v[89:90], v[6:7]
	v_fma_f64 v[12:13], v[75:76], v[89:90], v[12:13]
	s_delay_alu instid0(VALU_DEP_4) | instskip(NEXT) | instid1(VALU_DEP_4)
	v_fma_f64 v[10:11], v[69:70], v[89:90], v[10:11]
	v_fma_f64 v[8:9], v[71:72], v[89:90], v[8:9]
	s_wait_alu 0xfffe
	s_and_not1_b32 exec_lo, exec_lo, s4
	s_cbranch_execnz .LBB65_9
; %bb.10:
	s_or_b32 exec_lo, exec_lo, s4
.LBB65_11:
	s_wait_alu 0xfffe
	s_or_b32 exec_lo, exec_lo, s3
	s_cbranch_execz .LBB65_13
	s_branch .LBB65_18
.LBB65_12:
                                        ; implicit-def: $vgpr6_vgpr7
                                        ; implicit-def: $vgpr8_vgpr9
                                        ; implicit-def: $vgpr10_vgpr11
                                        ; implicit-def: $vgpr12_vgpr13
.LBB65_13:
	v_mov_b32_e32 v6, 0
	v_dual_mov_b32 v10, 0 :: v_dual_mov_b32 v7, 0
	v_dual_mov_b32 v8, 0 :: v_dual_mov_b32 v11, 0
	;; [unrolled: 1-line block ×3, first 2 shown]
	v_mov_b32_e32 v13, 0
	s_and_saveexec_b32 s3, s2
	s_cbranch_execz .LBB65_17
; %bb.14:
	v_mad_co_u64_u32 v[16:17], null, v14, 28, 27
	v_mov_b32_e32 v6, 0
	v_dual_mov_b32 v10, 0 :: v_dual_mov_b32 v7, 0
	v_dual_mov_b32 v8, 0 :: v_dual_mov_b32 v11, 0
	;; [unrolled: 1-line block ×3, first 2 shown]
	v_mov_b32_e32 v13, 0
	v_mov_b32_e32 v19, 0
	s_mov_b32 s2, 0
.LBB65_15:                              ; =>This Inner Loop Header: Depth=1
	v_ashrrev_i32_e32 v15, 31, v14
	v_subrev_nc_u32_e32 v21, 20, v16
	s_delay_alu instid0(VALU_DEP_3) | instskip(SKIP_1) | instid1(VALU_DEP_4)
	v_dual_mov_b32 v22, v19 :: v_dual_add_nc_u32 v25, -6, v16
	v_dual_mov_b32 v30, v19 :: v_dual_add_nc_u32 v23, -13, v16
	v_lshlrev_b64_e32 v[17:18], 2, v[14:15]
	v_mov_b32_e32 v24, v19
	v_mov_b32_e32 v26, v19
	v_lshlrev_b64_e32 v[21:22], 3, v[21:22]
	v_add_nc_u32_e32 v14, 32, v14
	v_add_co_u32 v17, vcc_lo, s6, v17
	s_wait_alu 0xfffd
	v_add_co_ci_u32_e64 v18, null, s7, v18, vcc_lo
	v_lshlrev_b64_e32 v[25:26], 3, v[25:26]
	global_load_b32 v15, v[17:18], off
	v_subrev_nc_u32_e32 v18, 27, v16
	v_mov_b32_e32 v17, v19
	v_lshlrev_b64_e32 v[23:24], 3, v[23:24]
	s_delay_alu instid0(VALU_DEP_3) | instskip(NEXT) | instid1(VALU_DEP_3)
	v_lshlrev_b64_e32 v[27:28], 3, v[18:19]
	v_lshlrev_b64_e32 v[17:18], 3, v[16:17]
	s_delay_alu instid0(VALU_DEP_2) | instskip(SKIP_1) | instid1(VALU_DEP_3)
	v_add_co_u32 v27, vcc_lo, s8, v27
	s_wait_alu 0xfffd
	v_add_co_ci_u32_e64 v28, null, s9, v28, vcc_lo
	v_add_co_u32 v31, vcc_lo, s8, v21
	s_wait_alu 0xfffd
	v_add_co_ci_u32_e64 v32, null, s9, v22, vcc_lo
	;; [unrolled: 3-line block ×5, first 2 shown]
	s_clause 0x4
	global_load_b128 v[21:24], v[27:28], off offset:16
	global_load_b128 v[25:28], v[27:28], off
	global_load_b64 v[31:32], v[31:32], off
	global_load_b64 v[33:34], v[33:34], off
	;; [unrolled: 1-line block ×3, first 2 shown]
	s_wait_loadcnt 0x5
	v_subrev_nc_u32_e32 v15, s12, v15
	s_delay_alu instid0(VALU_DEP_1) | instskip(NEXT) | instid1(VALU_DEP_1)
	v_mul_lo_u32 v29, v15, 7
	v_lshlrev_b64_e32 v[17:18], 3, v[29:30]
	s_delay_alu instid0(VALU_DEP_1) | instskip(SKIP_1) | instid1(VALU_DEP_2)
	v_add_co_u32 v17, vcc_lo, s10, v17
	s_wait_alu 0xfffd
	v_add_co_ci_u32_e64 v18, null, s11, v18, vcc_lo
	global_load_b64 v[39:40], v[17:18], off
	v_add_nc_u32_e32 v18, 1, v29
	s_delay_alu instid0(VALU_DEP_1) | instskip(SKIP_1) | instid1(VALU_DEP_1)
	v_lshlrev_b64_e32 v[41:42], 3, v[18:19]
	v_subrev_nc_u32_e32 v18, 19, v16
	v_lshlrev_b64_e32 v[43:44], 3, v[18:19]
	v_add_nc_u32_e32 v18, -12, v16
	s_delay_alu instid0(VALU_DEP_4) | instskip(SKIP_2) | instid1(VALU_DEP_3)
	v_add_co_u32 v41, vcc_lo, s10, v41
	s_wait_alu 0xfffd
	v_add_co_ci_u32_e64 v42, null, s11, v42, vcc_lo
	v_lshlrev_b64_e32 v[45:46], 3, v[18:19]
	v_add_nc_u32_e32 v18, -5, v16
	v_add_co_u32 v43, vcc_lo, s8, v43
	s_wait_alu 0xfffd
	v_add_co_ci_u32_e64 v44, null, s9, v44, vcc_lo
	s_delay_alu instid0(VALU_DEP_3)
	v_lshlrev_b64_e32 v[17:18], 3, v[18:19]
	v_add_co_u32 v45, vcc_lo, s8, v45
	s_wait_alu 0xfffd
	v_add_co_ci_u32_e64 v46, null, s9, v46, vcc_lo
	global_load_b64 v[41:42], v[41:42], off
	v_add_co_u32 v17, vcc_lo, s8, v17
	s_wait_alu 0xfffd
	v_add_co_ci_u32_e64 v18, null, s9, v18, vcc_lo
	s_clause 0x2
	global_load_b64 v[43:44], v[43:44], off
	global_load_b64 v[45:46], v[45:46], off
	global_load_b64 v[47:48], v[17:18], off
	v_add_nc_u32_e32 v18, 2, v29
	s_delay_alu instid0(VALU_DEP_1) | instskip(SKIP_1) | instid1(VALU_DEP_1)
	v_lshlrev_b64_e32 v[49:50], 3, v[18:19]
	v_subrev_nc_u32_e32 v18, 18, v16
	v_lshlrev_b64_e32 v[51:52], 3, v[18:19]
	v_add_nc_u32_e32 v18, -11, v16
	s_delay_alu instid0(VALU_DEP_4) | instskip(SKIP_2) | instid1(VALU_DEP_3)
	v_add_co_u32 v49, vcc_lo, s10, v49
	s_wait_alu 0xfffd
	v_add_co_ci_u32_e64 v50, null, s11, v50, vcc_lo
	v_lshlrev_b64_e32 v[53:54], 3, v[18:19]
	v_add_nc_u32_e32 v18, -4, v16
	v_add_co_u32 v51, vcc_lo, s8, v51
	s_wait_alu 0xfffd
	v_add_co_ci_u32_e64 v52, null, s9, v52, vcc_lo
	s_delay_alu instid0(VALU_DEP_3)
	v_lshlrev_b64_e32 v[17:18], 3, v[18:19]
	v_add_co_u32 v53, vcc_lo, s8, v53
	s_wait_alu 0xfffd
	v_add_co_ci_u32_e64 v54, null, s9, v54, vcc_lo
	global_load_b64 v[49:50], v[49:50], off
	v_add_co_u32 v55, vcc_lo, s8, v17
	s_wait_alu 0xfffd
	v_add_co_ci_u32_e64 v56, null, s9, v18, vcc_lo
	s_clause 0x2
	global_load_b64 v[51:52], v[51:52], off
	global_load_b64 v[53:54], v[53:54], off
	;; [unrolled: 28-line block ×3, first 2 shown]
	global_load_b64 v[63:64], v[63:64], off
	v_subrev_nc_u32_e32 v18, 23, v16
	s_delay_alu instid0(VALU_DEP_1) | instskip(SKIP_1) | instid1(VALU_DEP_1)
	v_lshlrev_b64_e32 v[65:66], 3, v[18:19]
	v_add_nc_u32_e32 v18, 4, v29
	v_lshlrev_b64_e32 v[67:68], 3, v[18:19]
	v_add_nc_u32_e32 v18, -16, v16
	s_delay_alu instid0(VALU_DEP_4) | instskip(SKIP_2) | instid1(VALU_DEP_3)
	v_add_co_u32 v65, vcc_lo, s8, v65
	s_wait_alu 0xfffd
	v_add_co_ci_u32_e64 v66, null, s9, v66, vcc_lo
	v_lshlrev_b64_e32 v[69:70], 3, v[18:19]
	v_add_nc_u32_e32 v18, -9, v16
	v_add_co_u32 v67, vcc_lo, s10, v67
	s_wait_alu 0xfffd
	v_add_co_ci_u32_e64 v68, null, s11, v68, vcc_lo
	s_delay_alu instid0(VALU_DEP_3) | instskip(SKIP_4) | instid1(VALU_DEP_3)
	v_lshlrev_b64_e32 v[71:72], 3, v[18:19]
	v_add_nc_u32_e32 v18, -2, v16
	v_add_co_u32 v69, vcc_lo, s8, v69
	s_wait_alu 0xfffd
	v_add_co_ci_u32_e64 v70, null, s9, v70, vcc_lo
	v_lshlrev_b64_e32 v[17:18], 3, v[18:19]
	v_add_co_u32 v71, vcc_lo, s8, v71
	s_wait_alu 0xfffd
	v_add_co_ci_u32_e64 v72, null, s9, v72, vcc_lo
	global_load_b64 v[65:66], v[65:66], off
	v_add_co_u32 v73, vcc_lo, s8, v17
	s_wait_alu 0xfffd
	v_add_co_ci_u32_e64 v74, null, s9, v18, vcc_lo
	global_load_b64 v[67:68], v[67:68], off
	s_clause 0x2
	global_load_b64 v[69:70], v[69:70], off
	global_load_b64 v[71:72], v[71:72], off
	;; [unrolled: 1-line block ×3, first 2 shown]
	v_subrev_nc_u32_e32 v18, 22, v16
	s_delay_alu instid0(VALU_DEP_1) | instskip(SKIP_1) | instid1(VALU_DEP_1)
	v_lshlrev_b64_e32 v[75:76], 3, v[18:19]
	v_add_nc_u32_e32 v18, 5, v29
	v_lshlrev_b64_e32 v[77:78], 3, v[18:19]
	v_add_nc_u32_e32 v18, -15, v16
	s_delay_alu instid0(VALU_DEP_4) | instskip(SKIP_2) | instid1(VALU_DEP_3)
	v_add_co_u32 v75, vcc_lo, s8, v75
	s_wait_alu 0xfffd
	v_add_co_ci_u32_e64 v76, null, s9, v76, vcc_lo
	v_lshlrev_b64_e32 v[79:80], 3, v[18:19]
	v_add_nc_u32_e32 v18, -8, v16
	v_add_co_u32 v77, vcc_lo, s10, v77
	s_wait_alu 0xfffd
	v_add_co_ci_u32_e64 v78, null, s11, v78, vcc_lo
	s_delay_alu instid0(VALU_DEP_3) | instskip(SKIP_4) | instid1(VALU_DEP_3)
	v_lshlrev_b64_e32 v[81:82], 3, v[18:19]
	v_add_nc_u32_e32 v18, -1, v16
	v_add_co_u32 v79, vcc_lo, s8, v79
	s_wait_alu 0xfffd
	v_add_co_ci_u32_e64 v80, null, s9, v80, vcc_lo
	v_lshlrev_b64_e32 v[17:18], 3, v[18:19]
	v_add_co_u32 v81, vcc_lo, s8, v81
	s_wait_alu 0xfffd
	v_add_co_ci_u32_e64 v82, null, s9, v82, vcc_lo
	s_delay_alu instid0(VALU_DEP_3)
	v_add_co_u32 v17, vcc_lo, s8, v17
	s_wait_alu 0xfffd
	v_add_co_ci_u32_e64 v18, null, s9, v18, vcc_lo
	global_load_b64 v[75:76], v[75:76], off
	global_load_b64 v[77:78], v[77:78], off
	s_clause 0x2
	global_load_b64 v[79:80], v[79:80], off
	global_load_b64 v[81:82], v[81:82], off
	;; [unrolled: 1-line block ×3, first 2 shown]
	v_subrev_nc_u32_e32 v18, 21, v16
	s_delay_alu instid0(VALU_DEP_1) | instskip(SKIP_1) | instid1(VALU_DEP_1)
	v_lshlrev_b64_e32 v[85:86], 3, v[18:19]
	v_add_nc_u32_e32 v18, 6, v29
	v_lshlrev_b64_e32 v[29:30], 3, v[18:19]
	v_add_nc_u32_e32 v18, -14, v16
	s_delay_alu instid0(VALU_DEP_4) | instskip(SKIP_2) | instid1(VALU_DEP_3)
	v_add_co_u32 v85, vcc_lo, s8, v85
	s_wait_alu 0xfffd
	v_add_co_ci_u32_e64 v86, null, s9, v86, vcc_lo
	v_lshlrev_b64_e32 v[87:88], 3, v[18:19]
	v_add_nc_u32_e32 v18, -7, v16
	v_add_co_u32 v29, vcc_lo, s10, v29
	s_wait_alu 0xfffd
	v_add_co_ci_u32_e64 v30, null, s11, v30, vcc_lo
	s_delay_alu instid0(VALU_DEP_3) | instskip(SKIP_4) | instid1(VALU_DEP_4)
	v_lshlrev_b64_e32 v[17:18], 3, v[18:19]
	v_add_co_u32 v87, vcc_lo, s8, v87
	s_wait_alu 0xfffd
	v_add_co_ci_u32_e64 v88, null, s9, v88, vcc_lo
	v_add_nc_u32_e32 v16, 0x380, v16
	v_add_co_u32 v17, vcc_lo, s8, v17
	s_wait_alu 0xfffd
	v_add_co_ci_u32_e64 v18, null, s9, v18, vcc_lo
	global_load_b64 v[85:86], v[85:86], off
	global_load_b64 v[29:30], v[29:30], off
	s_clause 0x2
	global_load_b64 v[87:88], v[87:88], off
	global_load_b64 v[17:18], v[17:18], off
	;; [unrolled: 1-line block ×3, first 2 shown]
	v_cmp_ge_i32_e32 vcc_lo, v14, v20
	s_wait_alu 0xfffe
	s_or_b32 s2, vcc_lo, s2
	s_wait_loadcnt 0x1b
	v_fma_f64 v[6:7], v[25:26], v[39:40], v[6:7]
	v_fma_f64 v[12:13], v[31:32], v[39:40], v[12:13]
	;; [unrolled: 1-line block ×4, first 2 shown]
	s_wait_loadcnt 0x1a
	s_delay_alu instid0(VALU_DEP_4) | instskip(SKIP_1) | instid1(VALU_DEP_4)
	v_fma_f64 v[6:7], v[27:28], v[41:42], v[6:7]
	s_wait_loadcnt 0x19
	v_fma_f64 v[12:13], v[43:44], v[41:42], v[12:13]
	s_wait_loadcnt 0x18
	s_delay_alu instid0(VALU_DEP_4) | instskip(SKIP_1) | instid1(VALU_DEP_4)
	v_fma_f64 v[10:11], v[45:46], v[41:42], v[10:11]
	s_wait_loadcnt 0x17
	v_fma_f64 v[8:9], v[47:48], v[41:42], v[8:9]
	;; [unrolled: 5-line block ×12, first 2 shown]
	s_wait_alu 0xfffe
	s_and_not1_b32 exec_lo, exec_lo, s2
	s_cbranch_execnz .LBB65_15
; %bb.16:
	s_or_b32 exec_lo, exec_lo, s2
.LBB65_17:
	s_wait_alu 0xfffe
	s_or_b32 exec_lo, exec_lo, s3
.LBB65_18:
	v_mbcnt_lo_u32_b32 v24, -1, 0
	s_delay_alu instid0(VALU_DEP_1) | instskip(NEXT) | instid1(VALU_DEP_1)
	v_xor_b32_e32 v14, 16, v24
	v_cmp_gt_i32_e32 vcc_lo, 32, v14
	s_wait_alu 0xfffd
	v_cndmask_b32_e32 v14, v24, v14, vcc_lo
	s_delay_alu instid0(VALU_DEP_1)
	v_lshlrev_b32_e32 v21, 2, v14
	ds_bpermute_b32 v14, v21, v6
	ds_bpermute_b32 v15, v21, v7
	;; [unrolled: 1-line block ×8, first 2 shown]
	s_wait_dscnt 0x6
	v_add_f64_e32 v[6:7], v[6:7], v[14:15]
	v_xor_b32_e32 v14, 8, v24
	s_wait_dscnt 0x4
	v_add_f64_e32 v[12:13], v[12:13], v[16:17]
	s_wait_dscnt 0x2
	v_add_f64_e32 v[10:11], v[10:11], v[18:19]
	;; [unrolled: 2-line block ×3, first 2 shown]
	v_cmp_gt_i32_e32 vcc_lo, 32, v14
	s_wait_alu 0xfffd
	v_cndmask_b32_e32 v14, v24, v14, vcc_lo
	s_delay_alu instid0(VALU_DEP_1)
	v_lshlrev_b32_e32 v21, 2, v14
	ds_bpermute_b32 v14, v21, v6
	ds_bpermute_b32 v15, v21, v7
	;; [unrolled: 1-line block ×8, first 2 shown]
	s_wait_dscnt 0x6
	v_add_f64_e32 v[6:7], v[6:7], v[14:15]
	v_xor_b32_e32 v14, 4, v24
	s_wait_dscnt 0x4
	v_add_f64_e32 v[12:13], v[12:13], v[16:17]
	s_wait_dscnt 0x2
	v_add_f64_e32 v[10:11], v[10:11], v[18:19]
	s_wait_dscnt 0x0
	v_add_f64_e32 v[8:9], v[8:9], v[20:21]
	v_cmp_gt_i32_e32 vcc_lo, 32, v14
	s_wait_alu 0xfffd
	v_cndmask_b32_e32 v14, v24, v14, vcc_lo
	s_delay_alu instid0(VALU_DEP_1)
	v_lshlrev_b32_e32 v21, 2, v14
	ds_bpermute_b32 v14, v21, v6
	ds_bpermute_b32 v15, v21, v7
	;; [unrolled: 1-line block ×8, first 2 shown]
	s_wait_dscnt 0x6
	v_add_f64_e32 v[6:7], v[6:7], v[14:15]
	s_wait_dscnt 0x4
	v_add_f64_e32 v[14:15], v[12:13], v[16:17]
	;; [unrolled: 2-line block ×3, first 2 shown]
	v_xor_b32_e32 v10, 2, v24
	s_wait_dscnt 0x0
	v_add_f64_e32 v[8:9], v[8:9], v[20:21]
	s_delay_alu instid0(VALU_DEP_2) | instskip(SKIP_2) | instid1(VALU_DEP_1)
	v_cmp_gt_i32_e32 vcc_lo, 32, v10
	s_wait_alu 0xfffd
	v_cndmask_b32_e32 v10, v24, v10, vcc_lo
	v_lshlrev_b32_e32 v12, 2, v10
	ds_bpermute_b32 v10, v12, v6
	ds_bpermute_b32 v11, v12, v7
	;; [unrolled: 1-line block ×8, first 2 shown]
	s_wait_dscnt 0x6
	v_add_f64_e32 v[12:13], v[6:7], v[10:11]
	s_wait_dscnt 0x4
	v_add_f64_e32 v[10:11], v[14:15], v[18:19]
	v_xor_b32_e32 v14, 1, v24
	s_wait_dscnt 0x2
	v_add_f64_e32 v[6:7], v[16:17], v[20:21]
	s_wait_dscnt 0x0
	v_add_f64_e32 v[8:9], v[8:9], v[22:23]
	v_cmp_gt_i32_e32 vcc_lo, 32, v14
	s_wait_alu 0xfffd
	v_cndmask_b32_e32 v14, v24, v14, vcc_lo
	v_cmp_eq_u32_e32 vcc_lo, 31, v0
	s_delay_alu instid0(VALU_DEP_2)
	v_lshlrev_b32_e32 v15, 2, v14
	ds_bpermute_b32 v20, v15, v12
	ds_bpermute_b32 v21, v15, v13
	;; [unrolled: 1-line block ×8, first 2 shown]
	s_and_b32 exec_lo, exec_lo, vcc_lo
	s_cbranch_execz .LBB65_23
; %bb.19:
	s_wait_dscnt 0x6
	v_add_f64_e32 v[12:13], v[12:13], v[20:21]
	s_wait_dscnt 0x4
	v_add_f64_e32 v[10:11], v[10:11], v[18:19]
	;; [unrolled: 2-line block ×4, first 2 shown]
	s_load_b64 s[0:1], s[0:1], 0x38
	s_mov_b32 s2, exec_lo
	v_cmpx_eq_f64_e32 0, v[3:4]
	s_wait_alu 0xfffe
	s_xor_b32 s2, exec_lo, s2
	s_cbranch_execz .LBB65_21
; %bb.20:
	v_mul_f64_e32 v[12:13], v[1:2], v[12:13]
	v_mul_f64_e32 v[14:15], v[1:2], v[10:11]
	;; [unrolled: 1-line block ×4, first 2 shown]
	v_lshlrev_b32_e32 v0, 2, v5
                                        ; implicit-def: $vgpr5
                                        ; implicit-def: $vgpr3_vgpr4
                                        ; implicit-def: $vgpr10_vgpr11
	s_delay_alu instid0(VALU_DEP_1) | instskip(NEXT) | instid1(VALU_DEP_1)
	v_ashrrev_i32_e32 v1, 31, v0
	v_lshlrev_b64_e32 v[0:1], 3, v[0:1]
	s_wait_kmcnt 0x0
	s_delay_alu instid0(VALU_DEP_1) | instskip(SKIP_1) | instid1(VALU_DEP_2)
	v_add_co_u32 v0, vcc_lo, s0, v0
	s_wait_alu 0xfffd
	v_add_co_ci_u32_e64 v1, null, s1, v1, vcc_lo
	s_clause 0x1
	global_store_b128 v[0:1], v[12:15], off
	global_store_b128 v[0:1], v[6:9], off offset:16
                                        ; implicit-def: $vgpr1_vgpr2
                                        ; implicit-def: $vgpr12_vgpr13
                                        ; implicit-def: $vgpr6_vgpr7
                                        ; implicit-def: $vgpr8_vgpr9
.LBB65_21:
	s_wait_alu 0xfffe
	s_and_not1_saveexec_b32 s2, s2
	s_cbranch_execz .LBB65_23
; %bb.22:
	v_lshlrev_b32_e32 v14, 2, v5
	v_mul_f64_e32 v[12:13], v[1:2], v[12:13]
	v_mul_f64_e32 v[10:11], v[1:2], v[10:11]
	;; [unrolled: 1-line block ×4, first 2 shown]
	v_ashrrev_i32_e32 v15, 31, v14
	s_delay_alu instid0(VALU_DEP_1) | instskip(SKIP_1) | instid1(VALU_DEP_1)
	v_lshlrev_b64_e32 v[14:15], 3, v[14:15]
	s_wait_kmcnt 0x0
	v_add_co_u32 v22, vcc_lo, s0, v14
	s_wait_alu 0xfffd
	s_delay_alu instid0(VALU_DEP_2)
	v_add_co_ci_u32_e64 v23, null, s1, v15, vcc_lo
	s_clause 0x1
	global_load_b128 v[14:17], v[22:23], off
	global_load_b128 v[18:21], v[22:23], off offset:16
	s_wait_loadcnt 0x1
	v_fma_f64 v[5:6], v[3:4], v[14:15], v[12:13]
	v_fma_f64 v[7:8], v[3:4], v[16:17], v[10:11]
	s_wait_loadcnt 0x0
	v_fma_f64 v[0:1], v[3:4], v[18:19], v[24:25]
	v_fma_f64 v[2:3], v[3:4], v[20:21], v[26:27]
	s_clause 0x1
	global_store_b128 v[22:23], v[5:8], off
	global_store_b128 v[22:23], v[0:3], off offset:16
.LBB65_23:
	s_endpgm
	.section	.rodata,"a",@progbits
	.p2align	6, 0x0
	.amdhsa_kernel _ZN9rocsparseL19gebsrmvn_4xn_kernelILj128ELj7ELj32EdEEvi20rocsparse_direction_NS_24const_host_device_scalarIT2_EEPKiS6_PKS3_S8_S4_PS3_21rocsparse_index_base_b
		.amdhsa_group_segment_fixed_size 0
		.amdhsa_private_segment_fixed_size 0
		.amdhsa_kernarg_size 72
		.amdhsa_user_sgpr_count 2
		.amdhsa_user_sgpr_dispatch_ptr 0
		.amdhsa_user_sgpr_queue_ptr 0
		.amdhsa_user_sgpr_kernarg_segment_ptr 1
		.amdhsa_user_sgpr_dispatch_id 0
		.amdhsa_user_sgpr_private_segment_size 0
		.amdhsa_wavefront_size32 1
		.amdhsa_uses_dynamic_stack 0
		.amdhsa_enable_private_segment 0
		.amdhsa_system_sgpr_workgroup_id_x 1
		.amdhsa_system_sgpr_workgroup_id_y 0
		.amdhsa_system_sgpr_workgroup_id_z 0
		.amdhsa_system_sgpr_workgroup_info 0
		.amdhsa_system_vgpr_workitem_id 0
		.amdhsa_next_free_vgpr 91
		.amdhsa_next_free_sgpr 14
		.amdhsa_reserve_vcc 1
		.amdhsa_float_round_mode_32 0
		.amdhsa_float_round_mode_16_64 0
		.amdhsa_float_denorm_mode_32 3
		.amdhsa_float_denorm_mode_16_64 3
		.amdhsa_fp16_overflow 0
		.amdhsa_workgroup_processor_mode 1
		.amdhsa_memory_ordered 1
		.amdhsa_forward_progress 1
		.amdhsa_inst_pref_size 35
		.amdhsa_round_robin_scheduling 0
		.amdhsa_exception_fp_ieee_invalid_op 0
		.amdhsa_exception_fp_denorm_src 0
		.amdhsa_exception_fp_ieee_div_zero 0
		.amdhsa_exception_fp_ieee_overflow 0
		.amdhsa_exception_fp_ieee_underflow 0
		.amdhsa_exception_fp_ieee_inexact 0
		.amdhsa_exception_int_div_zero 0
	.end_amdhsa_kernel
	.section	.text._ZN9rocsparseL19gebsrmvn_4xn_kernelILj128ELj7ELj32EdEEvi20rocsparse_direction_NS_24const_host_device_scalarIT2_EEPKiS6_PKS3_S8_S4_PS3_21rocsparse_index_base_b,"axG",@progbits,_ZN9rocsparseL19gebsrmvn_4xn_kernelILj128ELj7ELj32EdEEvi20rocsparse_direction_NS_24const_host_device_scalarIT2_EEPKiS6_PKS3_S8_S4_PS3_21rocsparse_index_base_b,comdat
.Lfunc_end65:
	.size	_ZN9rocsparseL19gebsrmvn_4xn_kernelILj128ELj7ELj32EdEEvi20rocsparse_direction_NS_24const_host_device_scalarIT2_EEPKiS6_PKS3_S8_S4_PS3_21rocsparse_index_base_b, .Lfunc_end65-_ZN9rocsparseL19gebsrmvn_4xn_kernelILj128ELj7ELj32EdEEvi20rocsparse_direction_NS_24const_host_device_scalarIT2_EEPKiS6_PKS3_S8_S4_PS3_21rocsparse_index_base_b
                                        ; -- End function
	.set _ZN9rocsparseL19gebsrmvn_4xn_kernelILj128ELj7ELj32EdEEvi20rocsparse_direction_NS_24const_host_device_scalarIT2_EEPKiS6_PKS3_S8_S4_PS3_21rocsparse_index_base_b.num_vgpr, 91
	.set _ZN9rocsparseL19gebsrmvn_4xn_kernelILj128ELj7ELj32EdEEvi20rocsparse_direction_NS_24const_host_device_scalarIT2_EEPKiS6_PKS3_S8_S4_PS3_21rocsparse_index_base_b.num_agpr, 0
	.set _ZN9rocsparseL19gebsrmvn_4xn_kernelILj128ELj7ELj32EdEEvi20rocsparse_direction_NS_24const_host_device_scalarIT2_EEPKiS6_PKS3_S8_S4_PS3_21rocsparse_index_base_b.numbered_sgpr, 14
	.set _ZN9rocsparseL19gebsrmvn_4xn_kernelILj128ELj7ELj32EdEEvi20rocsparse_direction_NS_24const_host_device_scalarIT2_EEPKiS6_PKS3_S8_S4_PS3_21rocsparse_index_base_b.num_named_barrier, 0
	.set _ZN9rocsparseL19gebsrmvn_4xn_kernelILj128ELj7ELj32EdEEvi20rocsparse_direction_NS_24const_host_device_scalarIT2_EEPKiS6_PKS3_S8_S4_PS3_21rocsparse_index_base_b.private_seg_size, 0
	.set _ZN9rocsparseL19gebsrmvn_4xn_kernelILj128ELj7ELj32EdEEvi20rocsparse_direction_NS_24const_host_device_scalarIT2_EEPKiS6_PKS3_S8_S4_PS3_21rocsparse_index_base_b.uses_vcc, 1
	.set _ZN9rocsparseL19gebsrmvn_4xn_kernelILj128ELj7ELj32EdEEvi20rocsparse_direction_NS_24const_host_device_scalarIT2_EEPKiS6_PKS3_S8_S4_PS3_21rocsparse_index_base_b.uses_flat_scratch, 0
	.set _ZN9rocsparseL19gebsrmvn_4xn_kernelILj128ELj7ELj32EdEEvi20rocsparse_direction_NS_24const_host_device_scalarIT2_EEPKiS6_PKS3_S8_S4_PS3_21rocsparse_index_base_b.has_dyn_sized_stack, 0
	.set _ZN9rocsparseL19gebsrmvn_4xn_kernelILj128ELj7ELj32EdEEvi20rocsparse_direction_NS_24const_host_device_scalarIT2_EEPKiS6_PKS3_S8_S4_PS3_21rocsparse_index_base_b.has_recursion, 0
	.set _ZN9rocsparseL19gebsrmvn_4xn_kernelILj128ELj7ELj32EdEEvi20rocsparse_direction_NS_24const_host_device_scalarIT2_EEPKiS6_PKS3_S8_S4_PS3_21rocsparse_index_base_b.has_indirect_call, 0
	.section	.AMDGPU.csdata,"",@progbits
; Kernel info:
; codeLenInByte = 4432
; TotalNumSgprs: 16
; NumVgprs: 91
; ScratchSize: 0
; MemoryBound: 1
; FloatMode: 240
; IeeeMode: 1
; LDSByteSize: 0 bytes/workgroup (compile time only)
; SGPRBlocks: 0
; VGPRBlocks: 11
; NumSGPRsForWavesPerEU: 16
; NumVGPRsForWavesPerEU: 91
; Occupancy: 16
; WaveLimiterHint : 1
; COMPUTE_PGM_RSRC2:SCRATCH_EN: 0
; COMPUTE_PGM_RSRC2:USER_SGPR: 2
; COMPUTE_PGM_RSRC2:TRAP_HANDLER: 0
; COMPUTE_PGM_RSRC2:TGID_X_EN: 1
; COMPUTE_PGM_RSRC2:TGID_Y_EN: 0
; COMPUTE_PGM_RSRC2:TGID_Z_EN: 0
; COMPUTE_PGM_RSRC2:TIDIG_COMP_CNT: 0
	.section	.text._ZN9rocsparseL19gebsrmvn_4xn_kernelILj128ELj7ELj64EdEEvi20rocsparse_direction_NS_24const_host_device_scalarIT2_EEPKiS6_PKS3_S8_S4_PS3_21rocsparse_index_base_b,"axG",@progbits,_ZN9rocsparseL19gebsrmvn_4xn_kernelILj128ELj7ELj64EdEEvi20rocsparse_direction_NS_24const_host_device_scalarIT2_EEPKiS6_PKS3_S8_S4_PS3_21rocsparse_index_base_b,comdat
	.globl	_ZN9rocsparseL19gebsrmvn_4xn_kernelILj128ELj7ELj64EdEEvi20rocsparse_direction_NS_24const_host_device_scalarIT2_EEPKiS6_PKS3_S8_S4_PS3_21rocsparse_index_base_b ; -- Begin function _ZN9rocsparseL19gebsrmvn_4xn_kernelILj128ELj7ELj64EdEEvi20rocsparse_direction_NS_24const_host_device_scalarIT2_EEPKiS6_PKS3_S8_S4_PS3_21rocsparse_index_base_b
	.p2align	8
	.type	_ZN9rocsparseL19gebsrmvn_4xn_kernelILj128ELj7ELj64EdEEvi20rocsparse_direction_NS_24const_host_device_scalarIT2_EEPKiS6_PKS3_S8_S4_PS3_21rocsparse_index_base_b,@function
_ZN9rocsparseL19gebsrmvn_4xn_kernelILj128ELj7ELj64EdEEvi20rocsparse_direction_NS_24const_host_device_scalarIT2_EEPKiS6_PKS3_S8_S4_PS3_21rocsparse_index_base_b: ; @_ZN9rocsparseL19gebsrmvn_4xn_kernelILj128ELj7ELj64EdEEvi20rocsparse_direction_NS_24const_host_device_scalarIT2_EEPKiS6_PKS3_S8_S4_PS3_21rocsparse_index_base_b
; %bb.0:
	s_clause 0x2
	s_load_b64 s[12:13], s[0:1], 0x40
	s_load_b64 s[4:5], s[0:1], 0x8
	;; [unrolled: 1-line block ×3, first 2 shown]
	s_wait_kmcnt 0x0
	s_bitcmp1_b32 s13, 0
	v_dual_mov_b32 v1, s4 :: v_dual_mov_b32 v2, s5
	s_cselect_b32 s6, -1, 0
	s_delay_alu instid0(SALU_CYCLE_1)
	s_and_b32 vcc_lo, exec_lo, s6
	s_xor_b32 s6, s6, -1
	s_cbranch_vccnz .LBB66_2
; %bb.1:
	v_dual_mov_b32 v1, s4 :: v_dual_mov_b32 v2, s5
	flat_load_b64 v[1:2], v[1:2]
.LBB66_2:
	v_dual_mov_b32 v4, s3 :: v_dual_mov_b32 v3, s2
	s_and_not1_b32 vcc_lo, exec_lo, s6
	s_cbranch_vccnz .LBB66_4
; %bb.3:
	v_dual_mov_b32 v4, s3 :: v_dual_mov_b32 v3, s2
	flat_load_b64 v[3:4], v[3:4]
.LBB66_4:
	s_wait_loadcnt_dscnt 0x0
	v_cmp_neq_f64_e32 vcc_lo, 0, v[1:2]
	v_cmp_neq_f64_e64 s2, 1.0, v[3:4]
	s_or_b32 s2, vcc_lo, s2
	s_wait_alu 0xfffe
	s_and_saveexec_b32 s3, s2
	s_cbranch_execz .LBB66_23
; %bb.5:
	s_load_b64 s[2:3], s[0:1], 0x0
	v_lshrrev_b32_e32 v5, 6, v0
	s_delay_alu instid0(VALU_DEP_1) | instskip(SKIP_1) | instid1(VALU_DEP_1)
	v_lshl_or_b32 v5, ttmp9, 1, v5
	s_wait_kmcnt 0x0
	v_cmp_gt_i32_e32 vcc_lo, s2, v5
	s_and_b32 exec_lo, exec_lo, vcc_lo
	s_cbranch_execz .LBB66_23
; %bb.6:
	s_load_b256 s[4:11], s[0:1], 0x10
	v_ashrrev_i32_e32 v6, 31, v5
	v_and_b32_e32 v0, 63, v0
	s_cmp_lg_u32 s3, 0
	s_delay_alu instid0(VALU_DEP_2) | instskip(SKIP_1) | instid1(VALU_DEP_1)
	v_lshlrev_b64_e32 v[6:7], 2, v[5:6]
	s_wait_kmcnt 0x0
	v_add_co_u32 v6, vcc_lo, s4, v6
	s_delay_alu instid0(VALU_DEP_1) | instskip(SKIP_4) | instid1(VALU_DEP_2)
	v_add_co_ci_u32_e64 v7, null, s5, v7, vcc_lo
	global_load_b64 v[6:7], v[6:7], off
	s_wait_loadcnt 0x0
	v_subrev_nc_u32_e32 v6, s12, v6
	v_subrev_nc_u32_e32 v20, s12, v7
	v_add_nc_u32_e32 v14, v6, v0
	s_delay_alu instid0(VALU_DEP_1)
	v_cmp_lt_i32_e64 s2, v14, v20
	s_cbranch_scc0 .LBB66_12
; %bb.7:
	v_mov_b32_e32 v6, 0
	v_dual_mov_b32 v10, 0 :: v_dual_mov_b32 v7, 0
	v_dual_mov_b32 v8, 0 :: v_dual_mov_b32 v11, 0
	;; [unrolled: 1-line block ×3, first 2 shown]
	v_mov_b32_e32 v13, 0
	s_and_saveexec_b32 s3, s2
	s_cbranch_execz .LBB66_11
; %bb.8:
	v_dual_mov_b32 v6, 0 :: v_dual_mov_b32 v17, 0
	v_mad_co_u64_u32 v[15:16], null, v14, 28, 24
	v_dual_mov_b32 v7, 0 :: v_dual_mov_b32 v8, 0
	v_dual_mov_b32 v9, 0 :: v_dual_mov_b32 v10, 0
	v_dual_mov_b32 v11, 0 :: v_dual_mov_b32 v12, 0
	v_dual_mov_b32 v13, 0 :: v_dual_mov_b32 v18, v14
	s_mov_b32 s4, 0
.LBB66_9:                               ; =>This Inner Loop Header: Depth=1
	s_delay_alu instid0(VALU_DEP_1) | instskip(SKIP_2) | instid1(VALU_DEP_3)
	v_ashrrev_i32_e32 v19, 31, v18
	v_subrev_nc_u32_e32 v16, 24, v15
	v_mov_b32_e32 v74, v17
	v_lshlrev_b64_e32 v[21:22], 2, v[18:19]
	v_add_nc_u32_e32 v18, 64, v18
	s_delay_alu instid0(VALU_DEP_2) | instskip(SKIP_1) | instid1(VALU_DEP_3)
	v_add_co_u32 v21, vcc_lo, s6, v21
	s_wait_alu 0xfffd
	v_add_co_ci_u32_e64 v22, null, s7, v22, vcc_lo
	global_load_b32 v19, v[21:22], off
	v_lshlrev_b64_e32 v[21:22], 3, v[16:17]
	s_delay_alu instid0(VALU_DEP_1) | instskip(SKIP_1) | instid1(VALU_DEP_2)
	v_add_co_u32 v25, vcc_lo, s8, v21
	s_wait_alu 0xfffd
	v_add_co_ci_u32_e64 v26, null, s9, v22, vcc_lo
	global_load_b128 v[21:24], v[25:26], off offset:16
	s_wait_loadcnt 0x1
	v_subrev_nc_u32_e32 v16, s12, v19
	s_delay_alu instid0(VALU_DEP_1) | instskip(SKIP_1) | instid1(VALU_DEP_2)
	v_mul_lo_u32 v73, v16, 7
	v_subrev_nc_u32_e32 v16, 20, v15
	v_lshlrev_b64_e32 v[27:28], 3, v[73:74]
	s_delay_alu instid0(VALU_DEP_1) | instskip(SKIP_1) | instid1(VALU_DEP_2)
	v_add_co_u32 v29, vcc_lo, s10, v27
	s_wait_alu 0xfffd
	v_add_co_ci_u32_e64 v30, null, s11, v28, vcc_lo
	global_load_b128 v[25:28], v[25:26], off
	global_load_b64 v[77:78], v[29:30], off
	v_lshlrev_b64_e32 v[29:30], 3, v[16:17]
	v_add_nc_u32_e32 v16, 1, v73
	s_delay_alu instid0(VALU_DEP_1) | instskip(NEXT) | instid1(VALU_DEP_3)
	v_lshlrev_b64_e32 v[35:36], 3, v[16:17]
	v_add_co_u32 v33, vcc_lo, s8, v29
	s_wait_alu 0xfffd
	s_delay_alu instid0(VALU_DEP_4) | instskip(SKIP_1) | instid1(VALU_DEP_4)
	v_add_co_ci_u32_e64 v34, null, s9, v30, vcc_lo
	v_add_nc_u32_e32 v16, -16, v15
	v_add_co_u32 v37, vcc_lo, s10, v35
	s_wait_alu 0xfffd
	v_add_co_ci_u32_e64 v38, null, s11, v36, vcc_lo
	s_clause 0x1
	global_load_b128 v[29:32], v[33:34], off offset:16
	global_load_b128 v[33:36], v[33:34], off
	global_load_b64 v[79:80], v[37:38], off
	v_lshlrev_b64_e32 v[37:38], 3, v[16:17]
	v_add_nc_u32_e32 v16, 2, v73
	s_delay_alu instid0(VALU_DEP_1) | instskip(NEXT) | instid1(VALU_DEP_3)
	v_lshlrev_b64_e32 v[39:40], 3, v[16:17]
	v_add_co_u32 v41, vcc_lo, s8, v37
	s_wait_alu 0xfffd
	s_delay_alu instid0(VALU_DEP_4) | instskip(SKIP_1) | instid1(VALU_DEP_4)
	v_add_co_ci_u32_e64 v42, null, s9, v38, vcc_lo
	v_add_nc_u32_e32 v16, -12, v15
	v_add_co_u32 v45, vcc_lo, s10, v39
	s_wait_alu 0xfffd
	v_add_co_ci_u32_e64 v46, null, s11, v40, vcc_lo
	s_clause 0x1
	global_load_b128 v[37:40], v[41:42], off offset:16
	;; [unrolled: 16-line block ×4, first 2 shown]
	global_load_b128 v[57:60], v[57:58], off
	global_load_b64 v[85:86], v[61:62], off
	v_lshlrev_b64_e32 v[61:62], 3, v[16:17]
	v_add_nc_u32_e32 v16, 5, v73
	s_delay_alu instid0(VALU_DEP_1) | instskip(NEXT) | instid1(VALU_DEP_3)
	v_lshlrev_b64_e32 v[63:64], 3, v[16:17]
	v_add_co_u32 v65, vcc_lo, s8, v61
	s_wait_alu 0xfffd
	s_delay_alu instid0(VALU_DEP_4) | instskip(SKIP_1) | instid1(VALU_DEP_4)
	v_add_co_ci_u32_e64 v66, null, s9, v62, vcc_lo
	v_mov_b32_e32 v16, v17
	v_add_co_u32 v69, vcc_lo, s10, v63
	s_wait_alu 0xfffd
	v_add_co_ci_u32_e64 v70, null, s11, v64, vcc_lo
	s_clause 0x1
	global_load_b128 v[61:64], v[65:66], off offset:16
	global_load_b128 v[65:68], v[65:66], off
	global_load_b64 v[87:88], v[69:70], off
	v_lshlrev_b64_e32 v[69:70], 3, v[15:16]
	v_add_nc_u32_e32 v16, 6, v73
	v_add_nc_u32_e32 v15, 0x700, v15
	s_delay_alu instid0(VALU_DEP_2) | instskip(NEXT) | instid1(VALU_DEP_4)
	v_lshlrev_b64_e32 v[89:90], 3, v[16:17]
	v_add_co_u32 v74, vcc_lo, s8, v69
	s_wait_alu 0xfffd
	v_add_co_ci_u32_e64 v75, null, s9, v70, vcc_lo
	s_delay_alu instid0(VALU_DEP_3)
	v_add_co_u32 v89, vcc_lo, s10, v89
	s_wait_alu 0xfffd
	v_add_co_ci_u32_e64 v90, null, s11, v90, vcc_lo
	s_clause 0x1
	global_load_b128 v[69:72], v[74:75], off offset:16
	global_load_b128 v[73:76], v[74:75], off
	global_load_b64 v[89:90], v[89:90], off
	v_cmp_ge_i32_e32 vcc_lo, v18, v20
	s_wait_alu 0xfffe
	s_or_b32 s4, vcc_lo, s4
	s_wait_loadcnt 0x12
	v_fma_f64 v[6:7], v[25:26], v[77:78], v[6:7]
	v_fma_f64 v[12:13], v[27:28], v[77:78], v[12:13]
	;; [unrolled: 1-line block ×4, first 2 shown]
	s_wait_loadcnt 0xf
	s_delay_alu instid0(VALU_DEP_4) | instskip(NEXT) | instid1(VALU_DEP_4)
	v_fma_f64 v[6:7], v[33:34], v[79:80], v[6:7]
	v_fma_f64 v[12:13], v[35:36], v[79:80], v[12:13]
	s_delay_alu instid0(VALU_DEP_4) | instskip(NEXT) | instid1(VALU_DEP_4)
	v_fma_f64 v[10:11], v[29:30], v[79:80], v[10:11]
	v_fma_f64 v[8:9], v[31:32], v[79:80], v[8:9]
	s_wait_loadcnt 0xc
	s_delay_alu instid0(VALU_DEP_4) | instskip(NEXT) | instid1(VALU_DEP_4)
	v_fma_f64 v[6:7], v[41:42], v[81:82], v[6:7]
	v_fma_f64 v[12:13], v[43:44], v[81:82], v[12:13]
	s_delay_alu instid0(VALU_DEP_4) | instskip(NEXT) | instid1(VALU_DEP_4)
	v_fma_f64 v[10:11], v[37:38], v[81:82], v[10:11]
	v_fma_f64 v[8:9], v[39:40], v[81:82], v[8:9]
	;; [unrolled: 7-line block ×6, first 2 shown]
	s_wait_alu 0xfffe
	s_and_not1_b32 exec_lo, exec_lo, s4
	s_cbranch_execnz .LBB66_9
; %bb.10:
	s_or_b32 exec_lo, exec_lo, s4
.LBB66_11:
	s_wait_alu 0xfffe
	s_or_b32 exec_lo, exec_lo, s3
	s_cbranch_execz .LBB66_13
	s_branch .LBB66_18
.LBB66_12:
                                        ; implicit-def: $vgpr6_vgpr7
                                        ; implicit-def: $vgpr8_vgpr9
                                        ; implicit-def: $vgpr10_vgpr11
                                        ; implicit-def: $vgpr12_vgpr13
.LBB66_13:
	v_mov_b32_e32 v6, 0
	v_dual_mov_b32 v10, 0 :: v_dual_mov_b32 v7, 0
	v_dual_mov_b32 v8, 0 :: v_dual_mov_b32 v11, 0
	;; [unrolled: 1-line block ×3, first 2 shown]
	v_mov_b32_e32 v13, 0
	s_and_saveexec_b32 s3, s2
	s_cbranch_execz .LBB66_17
; %bb.14:
	v_mad_co_u64_u32 v[16:17], null, v14, 28, 27
	v_mov_b32_e32 v6, 0
	v_dual_mov_b32 v10, 0 :: v_dual_mov_b32 v7, 0
	v_dual_mov_b32 v8, 0 :: v_dual_mov_b32 v11, 0
	;; [unrolled: 1-line block ×3, first 2 shown]
	v_mov_b32_e32 v13, 0
	v_mov_b32_e32 v19, 0
	s_mov_b32 s2, 0
.LBB66_15:                              ; =>This Inner Loop Header: Depth=1
	v_ashrrev_i32_e32 v15, 31, v14
	v_subrev_nc_u32_e32 v21, 20, v16
	s_delay_alu instid0(VALU_DEP_3) | instskip(SKIP_1) | instid1(VALU_DEP_4)
	v_dual_mov_b32 v22, v19 :: v_dual_add_nc_u32 v25, -6, v16
	v_dual_mov_b32 v30, v19 :: v_dual_add_nc_u32 v23, -13, v16
	v_lshlrev_b64_e32 v[17:18], 2, v[14:15]
	v_mov_b32_e32 v24, v19
	v_mov_b32_e32 v26, v19
	v_lshlrev_b64_e32 v[21:22], 3, v[21:22]
	v_add_nc_u32_e32 v14, 64, v14
	v_add_co_u32 v17, vcc_lo, s6, v17
	s_wait_alu 0xfffd
	v_add_co_ci_u32_e64 v18, null, s7, v18, vcc_lo
	v_lshlrev_b64_e32 v[25:26], 3, v[25:26]
	global_load_b32 v15, v[17:18], off
	v_subrev_nc_u32_e32 v18, 27, v16
	v_mov_b32_e32 v17, v19
	v_lshlrev_b64_e32 v[23:24], 3, v[23:24]
	s_delay_alu instid0(VALU_DEP_3) | instskip(NEXT) | instid1(VALU_DEP_3)
	v_lshlrev_b64_e32 v[27:28], 3, v[18:19]
	v_lshlrev_b64_e32 v[17:18], 3, v[16:17]
	s_delay_alu instid0(VALU_DEP_2) | instskip(SKIP_1) | instid1(VALU_DEP_3)
	v_add_co_u32 v27, vcc_lo, s8, v27
	s_wait_alu 0xfffd
	v_add_co_ci_u32_e64 v28, null, s9, v28, vcc_lo
	v_add_co_u32 v31, vcc_lo, s8, v21
	s_wait_alu 0xfffd
	v_add_co_ci_u32_e64 v32, null, s9, v22, vcc_lo
	;; [unrolled: 3-line block ×5, first 2 shown]
	s_clause 0x4
	global_load_b128 v[21:24], v[27:28], off offset:16
	global_load_b128 v[25:28], v[27:28], off
	global_load_b64 v[31:32], v[31:32], off
	global_load_b64 v[33:34], v[33:34], off
	;; [unrolled: 1-line block ×3, first 2 shown]
	s_wait_loadcnt 0x5
	v_subrev_nc_u32_e32 v15, s12, v15
	s_delay_alu instid0(VALU_DEP_1) | instskip(NEXT) | instid1(VALU_DEP_1)
	v_mul_lo_u32 v29, v15, 7
	v_lshlrev_b64_e32 v[17:18], 3, v[29:30]
	s_delay_alu instid0(VALU_DEP_1) | instskip(SKIP_1) | instid1(VALU_DEP_2)
	v_add_co_u32 v17, vcc_lo, s10, v17
	s_wait_alu 0xfffd
	v_add_co_ci_u32_e64 v18, null, s11, v18, vcc_lo
	global_load_b64 v[39:40], v[17:18], off
	v_add_nc_u32_e32 v18, 1, v29
	s_delay_alu instid0(VALU_DEP_1) | instskip(SKIP_1) | instid1(VALU_DEP_1)
	v_lshlrev_b64_e32 v[41:42], 3, v[18:19]
	v_subrev_nc_u32_e32 v18, 19, v16
	v_lshlrev_b64_e32 v[43:44], 3, v[18:19]
	v_add_nc_u32_e32 v18, -12, v16
	s_delay_alu instid0(VALU_DEP_4) | instskip(SKIP_2) | instid1(VALU_DEP_3)
	v_add_co_u32 v41, vcc_lo, s10, v41
	s_wait_alu 0xfffd
	v_add_co_ci_u32_e64 v42, null, s11, v42, vcc_lo
	v_lshlrev_b64_e32 v[45:46], 3, v[18:19]
	v_add_nc_u32_e32 v18, -5, v16
	v_add_co_u32 v43, vcc_lo, s8, v43
	s_wait_alu 0xfffd
	v_add_co_ci_u32_e64 v44, null, s9, v44, vcc_lo
	s_delay_alu instid0(VALU_DEP_3)
	v_lshlrev_b64_e32 v[17:18], 3, v[18:19]
	v_add_co_u32 v45, vcc_lo, s8, v45
	s_wait_alu 0xfffd
	v_add_co_ci_u32_e64 v46, null, s9, v46, vcc_lo
	global_load_b64 v[41:42], v[41:42], off
	v_add_co_u32 v17, vcc_lo, s8, v17
	s_wait_alu 0xfffd
	v_add_co_ci_u32_e64 v18, null, s9, v18, vcc_lo
	s_clause 0x2
	global_load_b64 v[43:44], v[43:44], off
	global_load_b64 v[45:46], v[45:46], off
	global_load_b64 v[47:48], v[17:18], off
	v_add_nc_u32_e32 v18, 2, v29
	s_delay_alu instid0(VALU_DEP_1) | instskip(SKIP_1) | instid1(VALU_DEP_1)
	v_lshlrev_b64_e32 v[49:50], 3, v[18:19]
	v_subrev_nc_u32_e32 v18, 18, v16
	v_lshlrev_b64_e32 v[51:52], 3, v[18:19]
	v_add_nc_u32_e32 v18, -11, v16
	s_delay_alu instid0(VALU_DEP_4) | instskip(SKIP_2) | instid1(VALU_DEP_3)
	v_add_co_u32 v49, vcc_lo, s10, v49
	s_wait_alu 0xfffd
	v_add_co_ci_u32_e64 v50, null, s11, v50, vcc_lo
	v_lshlrev_b64_e32 v[53:54], 3, v[18:19]
	v_add_nc_u32_e32 v18, -4, v16
	v_add_co_u32 v51, vcc_lo, s8, v51
	s_wait_alu 0xfffd
	v_add_co_ci_u32_e64 v52, null, s9, v52, vcc_lo
	s_delay_alu instid0(VALU_DEP_3)
	v_lshlrev_b64_e32 v[17:18], 3, v[18:19]
	v_add_co_u32 v53, vcc_lo, s8, v53
	s_wait_alu 0xfffd
	v_add_co_ci_u32_e64 v54, null, s9, v54, vcc_lo
	global_load_b64 v[49:50], v[49:50], off
	v_add_co_u32 v55, vcc_lo, s8, v17
	s_wait_alu 0xfffd
	v_add_co_ci_u32_e64 v56, null, s9, v18, vcc_lo
	s_clause 0x2
	global_load_b64 v[51:52], v[51:52], off
	global_load_b64 v[53:54], v[53:54], off
	;; [unrolled: 28-line block ×3, first 2 shown]
	global_load_b64 v[63:64], v[63:64], off
	v_subrev_nc_u32_e32 v18, 23, v16
	s_delay_alu instid0(VALU_DEP_1) | instskip(SKIP_1) | instid1(VALU_DEP_1)
	v_lshlrev_b64_e32 v[65:66], 3, v[18:19]
	v_add_nc_u32_e32 v18, 4, v29
	v_lshlrev_b64_e32 v[67:68], 3, v[18:19]
	v_add_nc_u32_e32 v18, -16, v16
	s_delay_alu instid0(VALU_DEP_4) | instskip(SKIP_2) | instid1(VALU_DEP_3)
	v_add_co_u32 v65, vcc_lo, s8, v65
	s_wait_alu 0xfffd
	v_add_co_ci_u32_e64 v66, null, s9, v66, vcc_lo
	v_lshlrev_b64_e32 v[69:70], 3, v[18:19]
	v_add_nc_u32_e32 v18, -9, v16
	v_add_co_u32 v67, vcc_lo, s10, v67
	s_wait_alu 0xfffd
	v_add_co_ci_u32_e64 v68, null, s11, v68, vcc_lo
	s_delay_alu instid0(VALU_DEP_3) | instskip(SKIP_4) | instid1(VALU_DEP_3)
	v_lshlrev_b64_e32 v[71:72], 3, v[18:19]
	v_add_nc_u32_e32 v18, -2, v16
	v_add_co_u32 v69, vcc_lo, s8, v69
	s_wait_alu 0xfffd
	v_add_co_ci_u32_e64 v70, null, s9, v70, vcc_lo
	v_lshlrev_b64_e32 v[17:18], 3, v[18:19]
	v_add_co_u32 v71, vcc_lo, s8, v71
	s_wait_alu 0xfffd
	v_add_co_ci_u32_e64 v72, null, s9, v72, vcc_lo
	global_load_b64 v[65:66], v[65:66], off
	v_add_co_u32 v73, vcc_lo, s8, v17
	s_wait_alu 0xfffd
	v_add_co_ci_u32_e64 v74, null, s9, v18, vcc_lo
	global_load_b64 v[67:68], v[67:68], off
	s_clause 0x2
	global_load_b64 v[69:70], v[69:70], off
	global_load_b64 v[71:72], v[71:72], off
	;; [unrolled: 1-line block ×3, first 2 shown]
	v_subrev_nc_u32_e32 v18, 22, v16
	s_delay_alu instid0(VALU_DEP_1) | instskip(SKIP_1) | instid1(VALU_DEP_1)
	v_lshlrev_b64_e32 v[75:76], 3, v[18:19]
	v_add_nc_u32_e32 v18, 5, v29
	v_lshlrev_b64_e32 v[77:78], 3, v[18:19]
	v_add_nc_u32_e32 v18, -15, v16
	s_delay_alu instid0(VALU_DEP_4) | instskip(SKIP_2) | instid1(VALU_DEP_3)
	v_add_co_u32 v75, vcc_lo, s8, v75
	s_wait_alu 0xfffd
	v_add_co_ci_u32_e64 v76, null, s9, v76, vcc_lo
	v_lshlrev_b64_e32 v[79:80], 3, v[18:19]
	v_add_nc_u32_e32 v18, -8, v16
	v_add_co_u32 v77, vcc_lo, s10, v77
	s_wait_alu 0xfffd
	v_add_co_ci_u32_e64 v78, null, s11, v78, vcc_lo
	s_delay_alu instid0(VALU_DEP_3) | instskip(SKIP_4) | instid1(VALU_DEP_3)
	v_lshlrev_b64_e32 v[81:82], 3, v[18:19]
	v_add_nc_u32_e32 v18, -1, v16
	v_add_co_u32 v79, vcc_lo, s8, v79
	s_wait_alu 0xfffd
	v_add_co_ci_u32_e64 v80, null, s9, v80, vcc_lo
	v_lshlrev_b64_e32 v[17:18], 3, v[18:19]
	v_add_co_u32 v81, vcc_lo, s8, v81
	s_wait_alu 0xfffd
	v_add_co_ci_u32_e64 v82, null, s9, v82, vcc_lo
	s_delay_alu instid0(VALU_DEP_3)
	v_add_co_u32 v17, vcc_lo, s8, v17
	s_wait_alu 0xfffd
	v_add_co_ci_u32_e64 v18, null, s9, v18, vcc_lo
	global_load_b64 v[75:76], v[75:76], off
	global_load_b64 v[77:78], v[77:78], off
	s_clause 0x2
	global_load_b64 v[79:80], v[79:80], off
	global_load_b64 v[81:82], v[81:82], off
	;; [unrolled: 1-line block ×3, first 2 shown]
	v_subrev_nc_u32_e32 v18, 21, v16
	s_delay_alu instid0(VALU_DEP_1) | instskip(SKIP_1) | instid1(VALU_DEP_1)
	v_lshlrev_b64_e32 v[85:86], 3, v[18:19]
	v_add_nc_u32_e32 v18, 6, v29
	v_lshlrev_b64_e32 v[29:30], 3, v[18:19]
	v_add_nc_u32_e32 v18, -14, v16
	s_delay_alu instid0(VALU_DEP_4) | instskip(SKIP_2) | instid1(VALU_DEP_3)
	v_add_co_u32 v85, vcc_lo, s8, v85
	s_wait_alu 0xfffd
	v_add_co_ci_u32_e64 v86, null, s9, v86, vcc_lo
	v_lshlrev_b64_e32 v[87:88], 3, v[18:19]
	v_add_nc_u32_e32 v18, -7, v16
	v_add_co_u32 v29, vcc_lo, s10, v29
	s_wait_alu 0xfffd
	v_add_co_ci_u32_e64 v30, null, s11, v30, vcc_lo
	s_delay_alu instid0(VALU_DEP_3) | instskip(SKIP_4) | instid1(VALU_DEP_4)
	v_lshlrev_b64_e32 v[17:18], 3, v[18:19]
	v_add_co_u32 v87, vcc_lo, s8, v87
	s_wait_alu 0xfffd
	v_add_co_ci_u32_e64 v88, null, s9, v88, vcc_lo
	v_add_nc_u32_e32 v16, 0x700, v16
	v_add_co_u32 v17, vcc_lo, s8, v17
	s_wait_alu 0xfffd
	v_add_co_ci_u32_e64 v18, null, s9, v18, vcc_lo
	global_load_b64 v[85:86], v[85:86], off
	global_load_b64 v[29:30], v[29:30], off
	s_clause 0x2
	global_load_b64 v[87:88], v[87:88], off
	global_load_b64 v[17:18], v[17:18], off
	;; [unrolled: 1-line block ×3, first 2 shown]
	v_cmp_ge_i32_e32 vcc_lo, v14, v20
	s_wait_alu 0xfffe
	s_or_b32 s2, vcc_lo, s2
	s_wait_loadcnt 0x1b
	v_fma_f64 v[6:7], v[25:26], v[39:40], v[6:7]
	v_fma_f64 v[12:13], v[31:32], v[39:40], v[12:13]
	v_fma_f64 v[10:11], v[33:34], v[39:40], v[10:11]
	v_fma_f64 v[8:9], v[35:36], v[39:40], v[8:9]
	s_wait_loadcnt 0x1a
	s_delay_alu instid0(VALU_DEP_4) | instskip(SKIP_1) | instid1(VALU_DEP_4)
	v_fma_f64 v[6:7], v[27:28], v[41:42], v[6:7]
	s_wait_loadcnt 0x19
	v_fma_f64 v[12:13], v[43:44], v[41:42], v[12:13]
	s_wait_loadcnt 0x18
	s_delay_alu instid0(VALU_DEP_4) | instskip(SKIP_1) | instid1(VALU_DEP_4)
	v_fma_f64 v[10:11], v[45:46], v[41:42], v[10:11]
	s_wait_loadcnt 0x17
	v_fma_f64 v[8:9], v[47:48], v[41:42], v[8:9]
	;; [unrolled: 5-line block ×12, first 2 shown]
	s_wait_alu 0xfffe
	s_and_not1_b32 exec_lo, exec_lo, s2
	s_cbranch_execnz .LBB66_15
; %bb.16:
	s_or_b32 exec_lo, exec_lo, s2
.LBB66_17:
	s_wait_alu 0xfffe
	s_or_b32 exec_lo, exec_lo, s3
.LBB66_18:
	v_mbcnt_lo_u32_b32 v24, -1, 0
	s_delay_alu instid0(VALU_DEP_1) | instskip(NEXT) | instid1(VALU_DEP_1)
	v_or_b32_e32 v14, 32, v24
	v_cmp_gt_i32_e32 vcc_lo, 32, v14
	s_wait_alu 0xfffd
	v_cndmask_b32_e32 v14, v24, v14, vcc_lo
	s_delay_alu instid0(VALU_DEP_1)
	v_lshlrev_b32_e32 v21, 2, v14
	ds_bpermute_b32 v14, v21, v6
	ds_bpermute_b32 v15, v21, v7
	ds_bpermute_b32 v16, v21, v12
	ds_bpermute_b32 v17, v21, v13
	ds_bpermute_b32 v18, v21, v10
	ds_bpermute_b32 v19, v21, v11
	ds_bpermute_b32 v20, v21, v8
	ds_bpermute_b32 v21, v21, v9
	s_wait_dscnt 0x6
	v_add_f64_e32 v[6:7], v[6:7], v[14:15]
	v_xor_b32_e32 v14, 16, v24
	s_wait_dscnt 0x4
	v_add_f64_e32 v[12:13], v[12:13], v[16:17]
	s_wait_dscnt 0x2
	v_add_f64_e32 v[10:11], v[10:11], v[18:19]
	s_wait_dscnt 0x0
	v_add_f64_e32 v[8:9], v[8:9], v[20:21]
	v_cmp_gt_i32_e32 vcc_lo, 32, v14
	s_wait_alu 0xfffd
	v_cndmask_b32_e32 v14, v24, v14, vcc_lo
	s_delay_alu instid0(VALU_DEP_1)
	v_lshlrev_b32_e32 v21, 2, v14
	ds_bpermute_b32 v14, v21, v6
	ds_bpermute_b32 v15, v21, v7
	ds_bpermute_b32 v16, v21, v12
	ds_bpermute_b32 v17, v21, v13
	ds_bpermute_b32 v18, v21, v10
	ds_bpermute_b32 v19, v21, v11
	ds_bpermute_b32 v20, v21, v8
	ds_bpermute_b32 v21, v21, v9
	s_wait_dscnt 0x6
	v_add_f64_e32 v[6:7], v[6:7], v[14:15]
	v_xor_b32_e32 v14, 8, v24
	s_wait_dscnt 0x4
	v_add_f64_e32 v[12:13], v[12:13], v[16:17]
	s_wait_dscnt 0x2
	v_add_f64_e32 v[10:11], v[10:11], v[18:19]
	s_wait_dscnt 0x0
	v_add_f64_e32 v[8:9], v[8:9], v[20:21]
	;; [unrolled: 22-line block ×3, first 2 shown]
	v_cmp_gt_i32_e32 vcc_lo, 32, v14
	s_wait_alu 0xfffd
	v_cndmask_b32_e32 v14, v24, v14, vcc_lo
	s_delay_alu instid0(VALU_DEP_1)
	v_lshlrev_b32_e32 v21, 2, v14
	ds_bpermute_b32 v14, v21, v6
	ds_bpermute_b32 v15, v21, v7
	ds_bpermute_b32 v16, v21, v12
	ds_bpermute_b32 v17, v21, v13
	ds_bpermute_b32 v18, v21, v10
	ds_bpermute_b32 v19, v21, v11
	ds_bpermute_b32 v20, v21, v8
	ds_bpermute_b32 v21, v21, v9
	s_wait_dscnt 0x6
	v_add_f64_e32 v[6:7], v[6:7], v[14:15]
	s_wait_dscnt 0x4
	v_add_f64_e32 v[14:15], v[12:13], v[16:17]
	;; [unrolled: 2-line block ×3, first 2 shown]
	v_xor_b32_e32 v10, 2, v24
	s_wait_dscnt 0x0
	v_add_f64_e32 v[8:9], v[8:9], v[20:21]
	s_delay_alu instid0(VALU_DEP_2) | instskip(SKIP_2) | instid1(VALU_DEP_1)
	v_cmp_gt_i32_e32 vcc_lo, 32, v10
	s_wait_alu 0xfffd
	v_cndmask_b32_e32 v10, v24, v10, vcc_lo
	v_lshlrev_b32_e32 v12, 2, v10
	ds_bpermute_b32 v10, v12, v6
	ds_bpermute_b32 v11, v12, v7
	;; [unrolled: 1-line block ×8, first 2 shown]
	s_wait_dscnt 0x6
	v_add_f64_e32 v[12:13], v[6:7], v[10:11]
	s_wait_dscnt 0x4
	v_add_f64_e32 v[10:11], v[14:15], v[18:19]
	v_xor_b32_e32 v14, 1, v24
	s_wait_dscnt 0x2
	v_add_f64_e32 v[6:7], v[16:17], v[20:21]
	s_wait_dscnt 0x0
	v_add_f64_e32 v[8:9], v[8:9], v[22:23]
	v_cmp_gt_i32_e32 vcc_lo, 32, v14
	s_wait_alu 0xfffd
	v_cndmask_b32_e32 v14, v24, v14, vcc_lo
	v_cmp_eq_u32_e32 vcc_lo, 63, v0
	s_delay_alu instid0(VALU_DEP_2)
	v_lshlrev_b32_e32 v15, 2, v14
	ds_bpermute_b32 v20, v15, v12
	ds_bpermute_b32 v21, v15, v13
	;; [unrolled: 1-line block ×8, first 2 shown]
	s_and_b32 exec_lo, exec_lo, vcc_lo
	s_cbranch_execz .LBB66_23
; %bb.19:
	s_wait_dscnt 0x6
	v_add_f64_e32 v[12:13], v[12:13], v[20:21]
	s_wait_dscnt 0x4
	v_add_f64_e32 v[10:11], v[10:11], v[18:19]
	;; [unrolled: 2-line block ×4, first 2 shown]
	s_load_b64 s[0:1], s[0:1], 0x38
	s_mov_b32 s2, exec_lo
	v_cmpx_eq_f64_e32 0, v[3:4]
	s_wait_alu 0xfffe
	s_xor_b32 s2, exec_lo, s2
	s_cbranch_execz .LBB66_21
; %bb.20:
	v_mul_f64_e32 v[12:13], v[1:2], v[12:13]
	v_mul_f64_e32 v[14:15], v[1:2], v[10:11]
	;; [unrolled: 1-line block ×4, first 2 shown]
	v_lshlrev_b32_e32 v0, 2, v5
                                        ; implicit-def: $vgpr5
                                        ; implicit-def: $vgpr3_vgpr4
                                        ; implicit-def: $vgpr10_vgpr11
	s_delay_alu instid0(VALU_DEP_1) | instskip(NEXT) | instid1(VALU_DEP_1)
	v_ashrrev_i32_e32 v1, 31, v0
	v_lshlrev_b64_e32 v[0:1], 3, v[0:1]
	s_wait_kmcnt 0x0
	s_delay_alu instid0(VALU_DEP_1) | instskip(SKIP_1) | instid1(VALU_DEP_2)
	v_add_co_u32 v0, vcc_lo, s0, v0
	s_wait_alu 0xfffd
	v_add_co_ci_u32_e64 v1, null, s1, v1, vcc_lo
	s_clause 0x1
	global_store_b128 v[0:1], v[12:15], off
	global_store_b128 v[0:1], v[6:9], off offset:16
                                        ; implicit-def: $vgpr1_vgpr2
                                        ; implicit-def: $vgpr12_vgpr13
                                        ; implicit-def: $vgpr6_vgpr7
                                        ; implicit-def: $vgpr8_vgpr9
.LBB66_21:
	s_wait_alu 0xfffe
	s_and_not1_saveexec_b32 s2, s2
	s_cbranch_execz .LBB66_23
; %bb.22:
	v_lshlrev_b32_e32 v14, 2, v5
	v_mul_f64_e32 v[12:13], v[1:2], v[12:13]
	v_mul_f64_e32 v[10:11], v[1:2], v[10:11]
	;; [unrolled: 1-line block ×4, first 2 shown]
	v_ashrrev_i32_e32 v15, 31, v14
	s_delay_alu instid0(VALU_DEP_1) | instskip(SKIP_1) | instid1(VALU_DEP_1)
	v_lshlrev_b64_e32 v[14:15], 3, v[14:15]
	s_wait_kmcnt 0x0
	v_add_co_u32 v22, vcc_lo, s0, v14
	s_wait_alu 0xfffd
	s_delay_alu instid0(VALU_DEP_2)
	v_add_co_ci_u32_e64 v23, null, s1, v15, vcc_lo
	s_clause 0x1
	global_load_b128 v[14:17], v[22:23], off
	global_load_b128 v[18:21], v[22:23], off offset:16
	s_wait_loadcnt 0x1
	v_fma_f64 v[5:6], v[3:4], v[14:15], v[12:13]
	v_fma_f64 v[7:8], v[3:4], v[16:17], v[10:11]
	s_wait_loadcnt 0x0
	v_fma_f64 v[0:1], v[3:4], v[18:19], v[24:25]
	v_fma_f64 v[2:3], v[3:4], v[20:21], v[26:27]
	s_clause 0x1
	global_store_b128 v[22:23], v[5:8], off
	global_store_b128 v[22:23], v[0:3], off offset:16
.LBB66_23:
	s_endpgm
	.section	.rodata,"a",@progbits
	.p2align	6, 0x0
	.amdhsa_kernel _ZN9rocsparseL19gebsrmvn_4xn_kernelILj128ELj7ELj64EdEEvi20rocsparse_direction_NS_24const_host_device_scalarIT2_EEPKiS6_PKS3_S8_S4_PS3_21rocsparse_index_base_b
		.amdhsa_group_segment_fixed_size 0
		.amdhsa_private_segment_fixed_size 0
		.amdhsa_kernarg_size 72
		.amdhsa_user_sgpr_count 2
		.amdhsa_user_sgpr_dispatch_ptr 0
		.amdhsa_user_sgpr_queue_ptr 0
		.amdhsa_user_sgpr_kernarg_segment_ptr 1
		.amdhsa_user_sgpr_dispatch_id 0
		.amdhsa_user_sgpr_private_segment_size 0
		.amdhsa_wavefront_size32 1
		.amdhsa_uses_dynamic_stack 0
		.amdhsa_enable_private_segment 0
		.amdhsa_system_sgpr_workgroup_id_x 1
		.amdhsa_system_sgpr_workgroup_id_y 0
		.amdhsa_system_sgpr_workgroup_id_z 0
		.amdhsa_system_sgpr_workgroup_info 0
		.amdhsa_system_vgpr_workitem_id 0
		.amdhsa_next_free_vgpr 91
		.amdhsa_next_free_sgpr 14
		.amdhsa_reserve_vcc 1
		.amdhsa_float_round_mode_32 0
		.amdhsa_float_round_mode_16_64 0
		.amdhsa_float_denorm_mode_32 3
		.amdhsa_float_denorm_mode_16_64 3
		.amdhsa_fp16_overflow 0
		.amdhsa_workgroup_processor_mode 1
		.amdhsa_memory_ordered 1
		.amdhsa_forward_progress 1
		.amdhsa_inst_pref_size 36
		.amdhsa_round_robin_scheduling 0
		.amdhsa_exception_fp_ieee_invalid_op 0
		.amdhsa_exception_fp_denorm_src 0
		.amdhsa_exception_fp_ieee_div_zero 0
		.amdhsa_exception_fp_ieee_overflow 0
		.amdhsa_exception_fp_ieee_underflow 0
		.amdhsa_exception_fp_ieee_inexact 0
		.amdhsa_exception_int_div_zero 0
	.end_amdhsa_kernel
	.section	.text._ZN9rocsparseL19gebsrmvn_4xn_kernelILj128ELj7ELj64EdEEvi20rocsparse_direction_NS_24const_host_device_scalarIT2_EEPKiS6_PKS3_S8_S4_PS3_21rocsparse_index_base_b,"axG",@progbits,_ZN9rocsparseL19gebsrmvn_4xn_kernelILj128ELj7ELj64EdEEvi20rocsparse_direction_NS_24const_host_device_scalarIT2_EEPKiS6_PKS3_S8_S4_PS3_21rocsparse_index_base_b,comdat
.Lfunc_end66:
	.size	_ZN9rocsparseL19gebsrmvn_4xn_kernelILj128ELj7ELj64EdEEvi20rocsparse_direction_NS_24const_host_device_scalarIT2_EEPKiS6_PKS3_S8_S4_PS3_21rocsparse_index_base_b, .Lfunc_end66-_ZN9rocsparseL19gebsrmvn_4xn_kernelILj128ELj7ELj64EdEEvi20rocsparse_direction_NS_24const_host_device_scalarIT2_EEPKiS6_PKS3_S8_S4_PS3_21rocsparse_index_base_b
                                        ; -- End function
	.set _ZN9rocsparseL19gebsrmvn_4xn_kernelILj128ELj7ELj64EdEEvi20rocsparse_direction_NS_24const_host_device_scalarIT2_EEPKiS6_PKS3_S8_S4_PS3_21rocsparse_index_base_b.num_vgpr, 91
	.set _ZN9rocsparseL19gebsrmvn_4xn_kernelILj128ELj7ELj64EdEEvi20rocsparse_direction_NS_24const_host_device_scalarIT2_EEPKiS6_PKS3_S8_S4_PS3_21rocsparse_index_base_b.num_agpr, 0
	.set _ZN9rocsparseL19gebsrmvn_4xn_kernelILj128ELj7ELj64EdEEvi20rocsparse_direction_NS_24const_host_device_scalarIT2_EEPKiS6_PKS3_S8_S4_PS3_21rocsparse_index_base_b.numbered_sgpr, 14
	.set _ZN9rocsparseL19gebsrmvn_4xn_kernelILj128ELj7ELj64EdEEvi20rocsparse_direction_NS_24const_host_device_scalarIT2_EEPKiS6_PKS3_S8_S4_PS3_21rocsparse_index_base_b.num_named_barrier, 0
	.set _ZN9rocsparseL19gebsrmvn_4xn_kernelILj128ELj7ELj64EdEEvi20rocsparse_direction_NS_24const_host_device_scalarIT2_EEPKiS6_PKS3_S8_S4_PS3_21rocsparse_index_base_b.private_seg_size, 0
	.set _ZN9rocsparseL19gebsrmvn_4xn_kernelILj128ELj7ELj64EdEEvi20rocsparse_direction_NS_24const_host_device_scalarIT2_EEPKiS6_PKS3_S8_S4_PS3_21rocsparse_index_base_b.uses_vcc, 1
	.set _ZN9rocsparseL19gebsrmvn_4xn_kernelILj128ELj7ELj64EdEEvi20rocsparse_direction_NS_24const_host_device_scalarIT2_EEPKiS6_PKS3_S8_S4_PS3_21rocsparse_index_base_b.uses_flat_scratch, 0
	.set _ZN9rocsparseL19gebsrmvn_4xn_kernelILj128ELj7ELj64EdEEvi20rocsparse_direction_NS_24const_host_device_scalarIT2_EEPKiS6_PKS3_S8_S4_PS3_21rocsparse_index_base_b.has_dyn_sized_stack, 0
	.set _ZN9rocsparseL19gebsrmvn_4xn_kernelILj128ELj7ELj64EdEEvi20rocsparse_direction_NS_24const_host_device_scalarIT2_EEPKiS6_PKS3_S8_S4_PS3_21rocsparse_index_base_b.has_recursion, 0
	.set _ZN9rocsparseL19gebsrmvn_4xn_kernelILj128ELj7ELj64EdEEvi20rocsparse_direction_NS_24const_host_device_scalarIT2_EEPKiS6_PKS3_S8_S4_PS3_21rocsparse_index_base_b.has_indirect_call, 0
	.section	.AMDGPU.csdata,"",@progbits
; Kernel info:
; codeLenInByte = 4552
; TotalNumSgprs: 16
; NumVgprs: 91
; ScratchSize: 0
; MemoryBound: 1
; FloatMode: 240
; IeeeMode: 1
; LDSByteSize: 0 bytes/workgroup (compile time only)
; SGPRBlocks: 0
; VGPRBlocks: 11
; NumSGPRsForWavesPerEU: 16
; NumVGPRsForWavesPerEU: 91
; Occupancy: 16
; WaveLimiterHint : 1
; COMPUTE_PGM_RSRC2:SCRATCH_EN: 0
; COMPUTE_PGM_RSRC2:USER_SGPR: 2
; COMPUTE_PGM_RSRC2:TRAP_HANDLER: 0
; COMPUTE_PGM_RSRC2:TGID_X_EN: 1
; COMPUTE_PGM_RSRC2:TGID_Y_EN: 0
; COMPUTE_PGM_RSRC2:TGID_Z_EN: 0
; COMPUTE_PGM_RSRC2:TIDIG_COMP_CNT: 0
	.section	.text._ZN9rocsparseL19gebsrmvn_4xn_kernelILj128ELj8ELj4EdEEvi20rocsparse_direction_NS_24const_host_device_scalarIT2_EEPKiS6_PKS3_S8_S4_PS3_21rocsparse_index_base_b,"axG",@progbits,_ZN9rocsparseL19gebsrmvn_4xn_kernelILj128ELj8ELj4EdEEvi20rocsparse_direction_NS_24const_host_device_scalarIT2_EEPKiS6_PKS3_S8_S4_PS3_21rocsparse_index_base_b,comdat
	.globl	_ZN9rocsparseL19gebsrmvn_4xn_kernelILj128ELj8ELj4EdEEvi20rocsparse_direction_NS_24const_host_device_scalarIT2_EEPKiS6_PKS3_S8_S4_PS3_21rocsparse_index_base_b ; -- Begin function _ZN9rocsparseL19gebsrmvn_4xn_kernelILj128ELj8ELj4EdEEvi20rocsparse_direction_NS_24const_host_device_scalarIT2_EEPKiS6_PKS3_S8_S4_PS3_21rocsparse_index_base_b
	.p2align	8
	.type	_ZN9rocsparseL19gebsrmvn_4xn_kernelILj128ELj8ELj4EdEEvi20rocsparse_direction_NS_24const_host_device_scalarIT2_EEPKiS6_PKS3_S8_S4_PS3_21rocsparse_index_base_b,@function
_ZN9rocsparseL19gebsrmvn_4xn_kernelILj128ELj8ELj4EdEEvi20rocsparse_direction_NS_24const_host_device_scalarIT2_EEPKiS6_PKS3_S8_S4_PS3_21rocsparse_index_base_b: ; @_ZN9rocsparseL19gebsrmvn_4xn_kernelILj128ELj8ELj4EdEEvi20rocsparse_direction_NS_24const_host_device_scalarIT2_EEPKiS6_PKS3_S8_S4_PS3_21rocsparse_index_base_b
; %bb.0:
	s_clause 0x2
	s_load_b64 s[12:13], s[0:1], 0x40
	s_load_b64 s[4:5], s[0:1], 0x8
	;; [unrolled: 1-line block ×3, first 2 shown]
	s_wait_kmcnt 0x0
	s_bitcmp1_b32 s13, 0
	v_dual_mov_b32 v1, s4 :: v_dual_mov_b32 v2, s5
	s_cselect_b32 s6, -1, 0
	s_delay_alu instid0(SALU_CYCLE_1)
	s_and_b32 vcc_lo, exec_lo, s6
	s_xor_b32 s6, s6, -1
	s_cbranch_vccnz .LBB67_2
; %bb.1:
	v_dual_mov_b32 v1, s4 :: v_dual_mov_b32 v2, s5
	flat_load_b64 v[1:2], v[1:2]
.LBB67_2:
	v_dual_mov_b32 v4, s3 :: v_dual_mov_b32 v3, s2
	s_and_not1_b32 vcc_lo, exec_lo, s6
	s_cbranch_vccnz .LBB67_4
; %bb.3:
	v_dual_mov_b32 v4, s3 :: v_dual_mov_b32 v3, s2
	flat_load_b64 v[3:4], v[3:4]
.LBB67_4:
	s_wait_loadcnt_dscnt 0x0
	v_cmp_neq_f64_e32 vcc_lo, 0, v[1:2]
	v_cmp_neq_f64_e64 s2, 1.0, v[3:4]
	s_or_b32 s2, vcc_lo, s2
	s_wait_alu 0xfffe
	s_and_saveexec_b32 s3, s2
	s_cbranch_execz .LBB67_23
; %bb.5:
	s_load_b64 s[2:3], s[0:1], 0x0
	v_lshrrev_b32_e32 v5, 2, v0
	s_delay_alu instid0(VALU_DEP_1) | instskip(SKIP_1) | instid1(VALU_DEP_1)
	v_lshl_or_b32 v5, ttmp9, 5, v5
	s_wait_kmcnt 0x0
	v_cmp_gt_i32_e32 vcc_lo, s2, v5
	s_and_b32 exec_lo, exec_lo, vcc_lo
	s_cbranch_execz .LBB67_23
; %bb.6:
	s_load_b256 s[4:11], s[0:1], 0x10
	v_ashrrev_i32_e32 v6, 31, v5
	v_and_b32_e32 v0, 3, v0
	s_cmp_lg_u32 s3, 0
	s_delay_alu instid0(VALU_DEP_2) | instskip(SKIP_1) | instid1(VALU_DEP_1)
	v_lshlrev_b64_e32 v[6:7], 2, v[5:6]
	s_wait_kmcnt 0x0
	v_add_co_u32 v6, vcc_lo, s4, v6
	s_delay_alu instid0(VALU_DEP_1) | instskip(SKIP_4) | instid1(VALU_DEP_2)
	v_add_co_ci_u32_e64 v7, null, s5, v7, vcc_lo
	global_load_b64 v[6:7], v[6:7], off
	s_wait_loadcnt 0x0
	v_subrev_nc_u32_e32 v6, s12, v6
	v_subrev_nc_u32_e32 v20, s12, v7
	v_add_nc_u32_e32 v6, v6, v0
	s_delay_alu instid0(VALU_DEP_1)
	v_cmp_lt_i32_e64 s2, v6, v20
	s_cbranch_scc0 .LBB67_12
; %bb.7:
	v_mov_b32_e32 v8, 0
	v_dual_mov_b32 v12, 0 :: v_dual_mov_b32 v9, 0
	v_dual_mov_b32 v10, 0 :: v_dual_mov_b32 v13, 0
	;; [unrolled: 1-line block ×3, first 2 shown]
	v_mov_b32_e32 v15, 0
	s_and_saveexec_b32 s3, s2
	s_cbranch_execz .LBB67_11
; %bb.8:
	v_mov_b32_e32 v10, 0
	v_dual_mov_b32 v8, 0 :: v_dual_mov_b32 v17, 0
	v_dual_mov_b32 v11, 0 :: v_dual_mov_b32 v12, 0
	v_mov_b32_e32 v14, 0
	v_dual_mov_b32 v9, 0 :: v_dual_lshlrev_b32 v16, 5, v6
	v_mov_b32_e32 v13, 0
	v_dual_mov_b32 v15, 0 :: v_dual_mov_b32 v18, v6
	s_mov_b32 s4, 0
.LBB67_9:                               ; =>This Inner Loop Header: Depth=1
	s_delay_alu instid0(VALU_DEP_1) | instskip(NEXT) | instid1(VALU_DEP_1)
	v_ashrrev_i32_e32 v19, 31, v18
	v_lshlrev_b64_e32 v[21:22], 2, v[18:19]
	v_add_nc_u32_e32 v18, 4, v18
	s_delay_alu instid0(VALU_DEP_2) | instskip(SKIP_1) | instid1(VALU_DEP_3)
	v_add_co_u32 v21, vcc_lo, s6, v21
	s_wait_alu 0xfffd
	v_add_co_ci_u32_e64 v22, null, s7, v22, vcc_lo
	global_load_b32 v7, v[21:22], off
	v_lshlrev_b64_e32 v[21:22], 3, v[16:17]
	v_add_nc_u32_e32 v16, 0x80, v16
	s_delay_alu instid0(VALU_DEP_2) | instskip(SKIP_1) | instid1(VALU_DEP_3)
	v_add_co_u32 v97, vcc_lo, s8, v21
	s_wait_alu 0xfffd
	v_add_co_ci_u32_e64 v98, null, s9, v22, vcc_lo
	global_load_b128 v[21:24], v[97:98], off offset:16
	s_wait_loadcnt 0x1
	v_subrev_nc_u32_e32 v7, s12, v7
	s_delay_alu instid0(VALU_DEP_1) | instskip(NEXT) | instid1(VALU_DEP_1)
	v_dual_mov_b32 v26, v17 :: v_dual_lshlrev_b32 v25, 3, v7
	v_lshlrev_b64_e32 v[25:26], 3, v[25:26]
	s_delay_alu instid0(VALU_DEP_1) | instskip(SKIP_1) | instid1(VALU_DEP_2)
	v_add_co_u32 v89, vcc_lo, s10, v25
	s_wait_alu 0xfffd
	v_add_co_ci_u32_e64 v90, null, s11, v26, vcc_lo
	v_cmp_ge_i32_e32 vcc_lo, v18, v20
	global_load_b128 v[25:28], v[97:98], off
	global_load_b128 v[29:32], v[89:90], off
	s_clause 0x3
	global_load_b128 v[33:36], v[97:98], off offset:32
	global_load_b128 v[37:40], v[97:98], off offset:48
	global_load_b128 v[41:44], v[97:98], off offset:64
	global_load_b128 v[45:48], v[97:98], off offset:80
	global_load_b128 v[49:52], v[89:90], off offset:16
	s_clause 0x3
	global_load_b128 v[53:56], v[97:98], off offset:96
	global_load_b128 v[57:60], v[97:98], off offset:112
	global_load_b128 v[61:64], v[97:98], off offset:144
	global_load_b128 v[65:68], v[97:98], off offset:128
	global_load_b128 v[69:72], v[89:90], off offset:32
	;; [unrolled: 6-line block ×3, first 2 shown]
	s_clause 0x1
	global_load_b128 v[93:96], v[97:98], off offset:224
	global_load_b128 v[97:100], v[97:98], off offset:240
	s_wait_alu 0xfffe
	s_or_b32 s4, vcc_lo, s4
	s_wait_loadcnt 0x11
	v_fma_f64 v[7:8], v[25:26], v[29:30], v[8:9]
	v_fma_f64 v[14:15], v[27:28], v[29:30], v[14:15]
	;; [unrolled: 1-line block ×4, first 2 shown]
	s_wait_loadcnt 0x10
	s_delay_alu instid0(VALU_DEP_4) | instskip(NEXT) | instid1(VALU_DEP_4)
	v_fma_f64 v[7:8], v[33:34], v[31:32], v[7:8]
	v_fma_f64 v[14:15], v[35:36], v[31:32], v[14:15]
	s_wait_loadcnt 0xf
	s_delay_alu instid0(VALU_DEP_4) | instskip(NEXT) | instid1(VALU_DEP_4)
	v_fma_f64 v[11:12], v[37:38], v[31:32], v[12:13]
	v_fma_f64 v[9:10], v[39:40], v[31:32], v[9:10]
	s_wait_loadcnt 0xc
	s_delay_alu instid0(VALU_DEP_4) | instskip(NEXT) | instid1(VALU_DEP_4)
	v_fma_f64 v[7:8], v[41:42], v[49:50], v[7:8]
	v_fma_f64 v[13:14], v[43:44], v[49:50], v[14:15]
	s_delay_alu instid0(VALU_DEP_4) | instskip(NEXT) | instid1(VALU_DEP_4)
	v_fma_f64 v[11:12], v[45:46], v[49:50], v[11:12]
	v_fma_f64 v[9:10], v[47:48], v[49:50], v[9:10]
	s_wait_loadcnt 0xb
	s_delay_alu instid0(VALU_DEP_4) | instskip(NEXT) | instid1(VALU_DEP_4)
	v_fma_f64 v[7:8], v[53:54], v[51:52], v[7:8]
	v_fma_f64 v[13:14], v[55:56], v[51:52], v[13:14]
	s_wait_loadcnt 0xa
	s_delay_alu instid0(VALU_DEP_4) | instskip(NEXT) | instid1(VALU_DEP_4)
	v_fma_f64 v[11:12], v[57:58], v[51:52], v[11:12]
	v_fma_f64 v[9:10], v[59:60], v[51:52], v[9:10]
	s_wait_loadcnt 0x7
	s_delay_alu instid0(VALU_DEP_4) | instskip(NEXT) | instid1(VALU_DEP_4)
	v_fma_f64 v[7:8], v[65:66], v[69:70], v[7:8]
	v_fma_f64 v[13:14], v[67:68], v[69:70], v[13:14]
	s_delay_alu instid0(VALU_DEP_4) | instskip(NEXT) | instid1(VALU_DEP_4)
	v_fma_f64 v[11:12], v[61:62], v[69:70], v[11:12]
	v_fma_f64 v[9:10], v[63:64], v[69:70], v[9:10]
	;; [unrolled: 15-line block ×3, first 2 shown]
	s_wait_loadcnt 0x1
	s_delay_alu instid0(VALU_DEP_4) | instskip(NEXT) | instid1(VALU_DEP_4)
	v_fma_f64 v[8:9], v[93:94], v[91:92], v[7:8]
	v_fma_f64 v[14:15], v[95:96], v[91:92], v[13:14]
	s_wait_loadcnt 0x0
	s_delay_alu instid0(VALU_DEP_4) | instskip(NEXT) | instid1(VALU_DEP_4)
	v_fma_f64 v[12:13], v[97:98], v[91:92], v[11:12]
	v_fma_f64 v[10:11], v[99:100], v[91:92], v[21:22]
	s_wait_alu 0xfffe
	s_and_not1_b32 exec_lo, exec_lo, s4
	s_cbranch_execnz .LBB67_9
; %bb.10:
	s_or_b32 exec_lo, exec_lo, s4
.LBB67_11:
	s_wait_alu 0xfffe
	s_or_b32 exec_lo, exec_lo, s3
	s_cbranch_execz .LBB67_13
	s_branch .LBB67_18
.LBB67_12:
                                        ; implicit-def: $vgpr8_vgpr9
                                        ; implicit-def: $vgpr10_vgpr11
                                        ; implicit-def: $vgpr12_vgpr13
                                        ; implicit-def: $vgpr14_vgpr15
.LBB67_13:
	v_mov_b32_e32 v8, 0
	v_dual_mov_b32 v12, 0 :: v_dual_mov_b32 v9, 0
	v_dual_mov_b32 v10, 0 :: v_dual_mov_b32 v13, 0
	;; [unrolled: 1-line block ×3, first 2 shown]
	v_mov_b32_e32 v15, 0
	s_and_saveexec_b32 s3, s2
	s_cbranch_execz .LBB67_17
; %bb.14:
	v_mov_b32_e32 v8, 0
	v_mov_b32_e32 v10, 0
	;; [unrolled: 1-line block ×3, first 2 shown]
	v_dual_mov_b32 v14, 0 :: v_dual_mov_b32 v17, 0
	v_dual_mov_b32 v9, 0 :: v_dual_lshlrev_b32 v16, 5, v6
	v_mov_b32_e32 v11, 0
	v_mov_b32_e32 v13, 0
	;; [unrolled: 1-line block ×3, first 2 shown]
	s_mov_b32 s2, 0
.LBB67_15:                              ; =>This Inner Loop Header: Depth=1
	v_ashrrev_i32_e32 v7, 31, v6
	s_delay_alu instid0(VALU_DEP_1) | instskip(SKIP_1) | instid1(VALU_DEP_2)
	v_lshlrev_b64_e32 v[18:19], 2, v[6:7]
	v_add_nc_u32_e32 v6, 4, v6
	v_add_co_u32 v18, vcc_lo, s6, v18
	s_wait_alu 0xfffd
	s_delay_alu instid0(VALU_DEP_3) | instskip(SKIP_3) | instid1(VALU_DEP_2)
	v_add_co_ci_u32_e64 v19, null, s7, v19, vcc_lo
	global_load_b32 v7, v[18:19], off
	v_lshlrev_b64_e32 v[18:19], 3, v[16:17]
	v_add_nc_u32_e32 v16, 0x80, v16
	v_add_co_u32 v18, vcc_lo, s8, v18
	s_wait_alu 0xfffd
	s_delay_alu instid0(VALU_DEP_3)
	v_add_co_ci_u32_e64 v19, null, s9, v19, vcc_lo
	s_clause 0x3
	global_load_b128 v[21:24], v[18:19], off
	global_load_b128 v[25:28], v[18:19], off offset:64
	global_load_b128 v[29:32], v[18:19], off offset:128
	;; [unrolled: 1-line block ×3, first 2 shown]
	s_wait_loadcnt 0x4
	v_subrev_nc_u32_e32 v7, s12, v7
	s_delay_alu instid0(VALU_DEP_1) | instskip(NEXT) | instid1(VALU_DEP_1)
	v_dual_mov_b32 v38, v17 :: v_dual_lshlrev_b32 v37, 3, v7
	v_lshlrev_b64_e32 v[37:38], 3, v[37:38]
	s_delay_alu instid0(VALU_DEP_1) | instskip(SKIP_1) | instid1(VALU_DEP_2)
	v_add_co_u32 v97, vcc_lo, s10, v37
	s_wait_alu 0xfffd
	v_add_co_ci_u32_e64 v98, null, s11, v38, vcc_lo
	v_cmp_ge_i32_e32 vcc_lo, v6, v20
	global_load_b128 v[37:40], v[97:98], off
	s_clause 0x3
	global_load_b128 v[41:44], v[18:19], off offset:16
	global_load_b128 v[45:48], v[18:19], off offset:80
	;; [unrolled: 1-line block ×5, first 2 shown]
	s_clause 0x5
	global_load_b128 v[61:64], v[18:19], off offset:48
	global_load_b128 v[65:68], v[18:19], off offset:32
	;; [unrolled: 1-line block ×7, first 2 shown]
	s_clause 0x1
	global_load_b128 v[89:92], v[18:19], off offset:176
	global_load_b128 v[93:96], v[18:19], off offset:240
	s_wait_alu 0xfffe
	s_or_b32 s2, vcc_lo, s2
	s_wait_loadcnt 0xe
	v_fma_f64 v[7:8], v[21:22], v[37:38], v[8:9]
	v_fma_f64 v[14:15], v[25:26], v[37:38], v[14:15]
	;; [unrolled: 1-line block ×4, first 2 shown]
	s_delay_alu instid0(VALU_DEP_4)
	v_fma_f64 v[7:8], v[23:24], v[39:40], v[7:8]
	global_load_b128 v[21:24], v[97:98], off offset:48
	v_fma_f64 v[14:15], v[27:28], v[39:40], v[14:15]
	v_fma_f64 v[11:12], v[31:32], v[39:40], v[12:13]
	;; [unrolled: 1-line block ×3, first 2 shown]
	s_wait_loadcnt 0xa
	v_fma_f64 v[7:8], v[41:42], v[57:58], v[7:8]
	s_delay_alu instid0(VALU_DEP_4) | instskip(NEXT) | instid1(VALU_DEP_4)
	v_fma_f64 v[13:14], v[45:46], v[57:58], v[14:15]
	v_fma_f64 v[11:12], v[49:50], v[57:58], v[11:12]
	s_delay_alu instid0(VALU_DEP_4) | instskip(NEXT) | instid1(VALU_DEP_4)
	v_fma_f64 v[9:10], v[53:54], v[57:58], v[9:10]
	;; [unrolled: 3-line block ×3, first 2 shown]
	v_fma_f64 v[11:12], v[51:52], v[59:60], v[11:12]
	s_delay_alu instid0(VALU_DEP_4) | instskip(SKIP_1) | instid1(VALU_DEP_4)
	v_fma_f64 v[9:10], v[55:56], v[59:60], v[9:10]
	s_wait_loadcnt 0x3
	v_fma_f64 v[7:8], v[65:66], v[85:86], v[7:8]
	s_delay_alu instid0(VALU_DEP_4) | instskip(NEXT) | instid1(VALU_DEP_4)
	v_fma_f64 v[13:14], v[73:74], v[85:86], v[13:14]
	v_fma_f64 v[11:12], v[77:78], v[85:86], v[11:12]
	s_delay_alu instid0(VALU_DEP_4) | instskip(NEXT) | instid1(VALU_DEP_4)
	v_fma_f64 v[9:10], v[81:82], v[85:86], v[9:10]
	v_fma_f64 v[7:8], v[67:68], v[87:88], v[7:8]
	s_delay_alu instid0(VALU_DEP_4) | instskip(NEXT) | instid1(VALU_DEP_4)
	v_fma_f64 v[13:14], v[75:76], v[87:88], v[13:14]
	v_fma_f64 v[11:12], v[79:80], v[87:88], v[11:12]
	s_delay_alu instid0(VALU_DEP_4) | instskip(SKIP_1) | instid1(VALU_DEP_4)
	v_fma_f64 v[9:10], v[83:84], v[87:88], v[9:10]
	s_wait_loadcnt 0x0
	v_fma_f64 v[7:8], v[61:62], v[21:22], v[7:8]
	s_delay_alu instid0(VALU_DEP_4) | instskip(NEXT) | instid1(VALU_DEP_4)
	v_fma_f64 v[13:14], v[69:70], v[21:22], v[13:14]
	v_fma_f64 v[11:12], v[89:90], v[21:22], v[11:12]
	s_delay_alu instid0(VALU_DEP_4) | instskip(NEXT) | instid1(VALU_DEP_4)
	v_fma_f64 v[18:19], v[93:94], v[21:22], v[9:10]
	;; [unrolled: 3-line block ×3, first 2 shown]
	v_fma_f64 v[12:13], v[91:92], v[23:24], v[11:12]
	s_delay_alu instid0(VALU_DEP_4)
	v_fma_f64 v[10:11], v[95:96], v[23:24], v[18:19]
	s_wait_alu 0xfffe
	s_and_not1_b32 exec_lo, exec_lo, s2
	s_cbranch_execnz .LBB67_15
; %bb.16:
	s_or_b32 exec_lo, exec_lo, s2
.LBB67_17:
	s_wait_alu 0xfffe
	s_or_b32 exec_lo, exec_lo, s3
.LBB67_18:
	v_mbcnt_lo_u32_b32 v24, -1, 0
	s_delay_alu instid0(VALU_DEP_1) | instskip(NEXT) | instid1(VALU_DEP_1)
	v_xor_b32_e32 v6, 2, v24
	v_cmp_gt_i32_e32 vcc_lo, 32, v6
	s_wait_alu 0xfffd
	v_cndmask_b32_e32 v6, v24, v6, vcc_lo
	s_delay_alu instid0(VALU_DEP_1)
	v_lshlrev_b32_e32 v16, 2, v6
	ds_bpermute_b32 v6, v16, v8
	ds_bpermute_b32 v7, v16, v9
	;; [unrolled: 1-line block ×8, first 2 shown]
	s_wait_dscnt 0x6
	v_add_f64_e32 v[16:17], v[8:9], v[6:7]
	s_wait_dscnt 0x4
	v_add_f64_e32 v[14:15], v[14:15], v[18:19]
	;; [unrolled: 2-line block ×4, first 2 shown]
	v_xor_b32_e32 v10, 1, v24
	s_delay_alu instid0(VALU_DEP_1) | instskip(SKIP_3) | instid1(VALU_DEP_2)
	v_cmp_gt_i32_e32 vcc_lo, 32, v10
	s_wait_alu 0xfffd
	v_cndmask_b32_e32 v10, v24, v10, vcc_lo
	v_cmp_eq_u32_e32 vcc_lo, 3, v0
	v_lshlrev_b32_e32 v19, 2, v10
	ds_bpermute_b32 v12, v19, v16
	ds_bpermute_b32 v13, v19, v17
	;; [unrolled: 1-line block ×8, first 2 shown]
	s_and_b32 exec_lo, exec_lo, vcc_lo
	s_cbranch_execz .LBB67_23
; %bb.19:
	s_wait_dscnt 0x6
	v_add_f64_e32 v[12:13], v[16:17], v[12:13]
	s_wait_dscnt 0x4
	v_add_f64_e32 v[10:11], v[14:15], v[10:11]
	;; [unrolled: 2-line block ×4, first 2 shown]
	s_load_b64 s[0:1], s[0:1], 0x38
	s_mov_b32 s2, exec_lo
	v_cmpx_eq_f64_e32 0, v[3:4]
	s_wait_alu 0xfffe
	s_xor_b32 s2, exec_lo, s2
	s_cbranch_execz .LBB67_21
; %bb.20:
	v_mul_f64_e32 v[12:13], v[1:2], v[12:13]
	v_mul_f64_e32 v[14:15], v[1:2], v[10:11]
	;; [unrolled: 1-line block ×4, first 2 shown]
	v_lshlrev_b32_e32 v0, 2, v5
                                        ; implicit-def: $vgpr5
                                        ; implicit-def: $vgpr3_vgpr4
                                        ; implicit-def: $vgpr10_vgpr11
	s_delay_alu instid0(VALU_DEP_1) | instskip(NEXT) | instid1(VALU_DEP_1)
	v_ashrrev_i32_e32 v1, 31, v0
	v_lshlrev_b64_e32 v[0:1], 3, v[0:1]
	s_wait_kmcnt 0x0
	s_delay_alu instid0(VALU_DEP_1) | instskip(SKIP_1) | instid1(VALU_DEP_2)
	v_add_co_u32 v0, vcc_lo, s0, v0
	s_wait_alu 0xfffd
	v_add_co_ci_u32_e64 v1, null, s1, v1, vcc_lo
	s_clause 0x1
	global_store_b128 v[0:1], v[12:15], off
	global_store_b128 v[0:1], v[6:9], off offset:16
                                        ; implicit-def: $vgpr1_vgpr2
                                        ; implicit-def: $vgpr12_vgpr13
                                        ; implicit-def: $vgpr6_vgpr7
                                        ; implicit-def: $vgpr8_vgpr9
.LBB67_21:
	s_wait_alu 0xfffe
	s_and_not1_saveexec_b32 s2, s2
	s_cbranch_execz .LBB67_23
; %bb.22:
	v_lshlrev_b32_e32 v14, 2, v5
	v_mul_f64_e32 v[12:13], v[1:2], v[12:13]
	v_mul_f64_e32 v[10:11], v[1:2], v[10:11]
	;; [unrolled: 1-line block ×4, first 2 shown]
	v_ashrrev_i32_e32 v15, 31, v14
	s_delay_alu instid0(VALU_DEP_1) | instskip(SKIP_1) | instid1(VALU_DEP_1)
	v_lshlrev_b64_e32 v[14:15], 3, v[14:15]
	s_wait_kmcnt 0x0
	v_add_co_u32 v22, vcc_lo, s0, v14
	s_wait_alu 0xfffd
	s_delay_alu instid0(VALU_DEP_2)
	v_add_co_ci_u32_e64 v23, null, s1, v15, vcc_lo
	s_clause 0x1
	global_load_b128 v[14:17], v[22:23], off
	global_load_b128 v[18:21], v[22:23], off offset:16
	s_wait_loadcnt 0x1
	v_fma_f64 v[5:6], v[3:4], v[14:15], v[12:13]
	v_fma_f64 v[7:8], v[3:4], v[16:17], v[10:11]
	s_wait_loadcnt 0x0
	v_fma_f64 v[0:1], v[3:4], v[18:19], v[24:25]
	v_fma_f64 v[2:3], v[3:4], v[20:21], v[26:27]
	s_clause 0x1
	global_store_b128 v[22:23], v[5:8], off
	global_store_b128 v[22:23], v[0:3], off offset:16
.LBB67_23:
	s_nop 0
	s_sendmsg sendmsg(MSG_DEALLOC_VGPRS)
	s_endpgm
	.section	.rodata,"a",@progbits
	.p2align	6, 0x0
	.amdhsa_kernel _ZN9rocsparseL19gebsrmvn_4xn_kernelILj128ELj8ELj4EdEEvi20rocsparse_direction_NS_24const_host_device_scalarIT2_EEPKiS6_PKS3_S8_S4_PS3_21rocsparse_index_base_b
		.amdhsa_group_segment_fixed_size 0
		.amdhsa_private_segment_fixed_size 0
		.amdhsa_kernarg_size 72
		.amdhsa_user_sgpr_count 2
		.amdhsa_user_sgpr_dispatch_ptr 0
		.amdhsa_user_sgpr_queue_ptr 0
		.amdhsa_user_sgpr_kernarg_segment_ptr 1
		.amdhsa_user_sgpr_dispatch_id 0
		.amdhsa_user_sgpr_private_segment_size 0
		.amdhsa_wavefront_size32 1
		.amdhsa_uses_dynamic_stack 0
		.amdhsa_enable_private_segment 0
		.amdhsa_system_sgpr_workgroup_id_x 1
		.amdhsa_system_sgpr_workgroup_id_y 0
		.amdhsa_system_sgpr_workgroup_id_z 0
		.amdhsa_system_sgpr_workgroup_info 0
		.amdhsa_system_vgpr_workitem_id 0
		.amdhsa_next_free_vgpr 101
		.amdhsa_next_free_sgpr 14
		.amdhsa_reserve_vcc 1
		.amdhsa_float_round_mode_32 0
		.amdhsa_float_round_mode_16_64 0
		.amdhsa_float_denorm_mode_32 3
		.amdhsa_float_denorm_mode_16_64 3
		.amdhsa_fp16_overflow 0
		.amdhsa_workgroup_processor_mode 1
		.amdhsa_memory_ordered 1
		.amdhsa_forward_progress 1
		.amdhsa_inst_pref_size 21
		.amdhsa_round_robin_scheduling 0
		.amdhsa_exception_fp_ieee_invalid_op 0
		.amdhsa_exception_fp_denorm_src 0
		.amdhsa_exception_fp_ieee_div_zero 0
		.amdhsa_exception_fp_ieee_overflow 0
		.amdhsa_exception_fp_ieee_underflow 0
		.amdhsa_exception_fp_ieee_inexact 0
		.amdhsa_exception_int_div_zero 0
	.end_amdhsa_kernel
	.section	.text._ZN9rocsparseL19gebsrmvn_4xn_kernelILj128ELj8ELj4EdEEvi20rocsparse_direction_NS_24const_host_device_scalarIT2_EEPKiS6_PKS3_S8_S4_PS3_21rocsparse_index_base_b,"axG",@progbits,_ZN9rocsparseL19gebsrmvn_4xn_kernelILj128ELj8ELj4EdEEvi20rocsparse_direction_NS_24const_host_device_scalarIT2_EEPKiS6_PKS3_S8_S4_PS3_21rocsparse_index_base_b,comdat
.Lfunc_end67:
	.size	_ZN9rocsparseL19gebsrmvn_4xn_kernelILj128ELj8ELj4EdEEvi20rocsparse_direction_NS_24const_host_device_scalarIT2_EEPKiS6_PKS3_S8_S4_PS3_21rocsparse_index_base_b, .Lfunc_end67-_ZN9rocsparseL19gebsrmvn_4xn_kernelILj128ELj8ELj4EdEEvi20rocsparse_direction_NS_24const_host_device_scalarIT2_EEPKiS6_PKS3_S8_S4_PS3_21rocsparse_index_base_b
                                        ; -- End function
	.set _ZN9rocsparseL19gebsrmvn_4xn_kernelILj128ELj8ELj4EdEEvi20rocsparse_direction_NS_24const_host_device_scalarIT2_EEPKiS6_PKS3_S8_S4_PS3_21rocsparse_index_base_b.num_vgpr, 101
	.set _ZN9rocsparseL19gebsrmvn_4xn_kernelILj128ELj8ELj4EdEEvi20rocsparse_direction_NS_24const_host_device_scalarIT2_EEPKiS6_PKS3_S8_S4_PS3_21rocsparse_index_base_b.num_agpr, 0
	.set _ZN9rocsparseL19gebsrmvn_4xn_kernelILj128ELj8ELj4EdEEvi20rocsparse_direction_NS_24const_host_device_scalarIT2_EEPKiS6_PKS3_S8_S4_PS3_21rocsparse_index_base_b.numbered_sgpr, 14
	.set _ZN9rocsparseL19gebsrmvn_4xn_kernelILj128ELj8ELj4EdEEvi20rocsparse_direction_NS_24const_host_device_scalarIT2_EEPKiS6_PKS3_S8_S4_PS3_21rocsparse_index_base_b.num_named_barrier, 0
	.set _ZN9rocsparseL19gebsrmvn_4xn_kernelILj128ELj8ELj4EdEEvi20rocsparse_direction_NS_24const_host_device_scalarIT2_EEPKiS6_PKS3_S8_S4_PS3_21rocsparse_index_base_b.private_seg_size, 0
	.set _ZN9rocsparseL19gebsrmvn_4xn_kernelILj128ELj8ELj4EdEEvi20rocsparse_direction_NS_24const_host_device_scalarIT2_EEPKiS6_PKS3_S8_S4_PS3_21rocsparse_index_base_b.uses_vcc, 1
	.set _ZN9rocsparseL19gebsrmvn_4xn_kernelILj128ELj8ELj4EdEEvi20rocsparse_direction_NS_24const_host_device_scalarIT2_EEPKiS6_PKS3_S8_S4_PS3_21rocsparse_index_base_b.uses_flat_scratch, 0
	.set _ZN9rocsparseL19gebsrmvn_4xn_kernelILj128ELj8ELj4EdEEvi20rocsparse_direction_NS_24const_host_device_scalarIT2_EEPKiS6_PKS3_S8_S4_PS3_21rocsparse_index_base_b.has_dyn_sized_stack, 0
	.set _ZN9rocsparseL19gebsrmvn_4xn_kernelILj128ELj8ELj4EdEEvi20rocsparse_direction_NS_24const_host_device_scalarIT2_EEPKiS6_PKS3_S8_S4_PS3_21rocsparse_index_base_b.has_recursion, 0
	.set _ZN9rocsparseL19gebsrmvn_4xn_kernelILj128ELj8ELj4EdEEvi20rocsparse_direction_NS_24const_host_device_scalarIT2_EEPKiS6_PKS3_S8_S4_PS3_21rocsparse_index_base_b.has_indirect_call, 0
	.section	.AMDGPU.csdata,"",@progbits
; Kernel info:
; codeLenInByte = 2568
; TotalNumSgprs: 16
; NumVgprs: 101
; ScratchSize: 0
; MemoryBound: 1
; FloatMode: 240
; IeeeMode: 1
; LDSByteSize: 0 bytes/workgroup (compile time only)
; SGPRBlocks: 0
; VGPRBlocks: 12
; NumSGPRsForWavesPerEU: 16
; NumVGPRsForWavesPerEU: 101
; Occupancy: 12
; WaveLimiterHint : 1
; COMPUTE_PGM_RSRC2:SCRATCH_EN: 0
; COMPUTE_PGM_RSRC2:USER_SGPR: 2
; COMPUTE_PGM_RSRC2:TRAP_HANDLER: 0
; COMPUTE_PGM_RSRC2:TGID_X_EN: 1
; COMPUTE_PGM_RSRC2:TGID_Y_EN: 0
; COMPUTE_PGM_RSRC2:TGID_Z_EN: 0
; COMPUTE_PGM_RSRC2:TIDIG_COMP_CNT: 0
	.section	.text._ZN9rocsparseL19gebsrmvn_4xn_kernelILj128ELj8ELj8EdEEvi20rocsparse_direction_NS_24const_host_device_scalarIT2_EEPKiS6_PKS3_S8_S4_PS3_21rocsparse_index_base_b,"axG",@progbits,_ZN9rocsparseL19gebsrmvn_4xn_kernelILj128ELj8ELj8EdEEvi20rocsparse_direction_NS_24const_host_device_scalarIT2_EEPKiS6_PKS3_S8_S4_PS3_21rocsparse_index_base_b,comdat
	.globl	_ZN9rocsparseL19gebsrmvn_4xn_kernelILj128ELj8ELj8EdEEvi20rocsparse_direction_NS_24const_host_device_scalarIT2_EEPKiS6_PKS3_S8_S4_PS3_21rocsparse_index_base_b ; -- Begin function _ZN9rocsparseL19gebsrmvn_4xn_kernelILj128ELj8ELj8EdEEvi20rocsparse_direction_NS_24const_host_device_scalarIT2_EEPKiS6_PKS3_S8_S4_PS3_21rocsparse_index_base_b
	.p2align	8
	.type	_ZN9rocsparseL19gebsrmvn_4xn_kernelILj128ELj8ELj8EdEEvi20rocsparse_direction_NS_24const_host_device_scalarIT2_EEPKiS6_PKS3_S8_S4_PS3_21rocsparse_index_base_b,@function
_ZN9rocsparseL19gebsrmvn_4xn_kernelILj128ELj8ELj8EdEEvi20rocsparse_direction_NS_24const_host_device_scalarIT2_EEPKiS6_PKS3_S8_S4_PS3_21rocsparse_index_base_b: ; @_ZN9rocsparseL19gebsrmvn_4xn_kernelILj128ELj8ELj8EdEEvi20rocsparse_direction_NS_24const_host_device_scalarIT2_EEPKiS6_PKS3_S8_S4_PS3_21rocsparse_index_base_b
; %bb.0:
	s_clause 0x2
	s_load_b64 s[12:13], s[0:1], 0x40
	s_load_b64 s[4:5], s[0:1], 0x8
	;; [unrolled: 1-line block ×3, first 2 shown]
	s_wait_kmcnt 0x0
	s_bitcmp1_b32 s13, 0
	v_dual_mov_b32 v1, s4 :: v_dual_mov_b32 v2, s5
	s_cselect_b32 s6, -1, 0
	s_delay_alu instid0(SALU_CYCLE_1)
	s_and_b32 vcc_lo, exec_lo, s6
	s_xor_b32 s6, s6, -1
	s_cbranch_vccnz .LBB68_2
; %bb.1:
	v_dual_mov_b32 v1, s4 :: v_dual_mov_b32 v2, s5
	flat_load_b64 v[1:2], v[1:2]
.LBB68_2:
	v_dual_mov_b32 v4, s3 :: v_dual_mov_b32 v3, s2
	s_and_not1_b32 vcc_lo, exec_lo, s6
	s_cbranch_vccnz .LBB68_4
; %bb.3:
	v_dual_mov_b32 v4, s3 :: v_dual_mov_b32 v3, s2
	flat_load_b64 v[3:4], v[3:4]
.LBB68_4:
	s_wait_loadcnt_dscnt 0x0
	v_cmp_neq_f64_e32 vcc_lo, 0, v[1:2]
	v_cmp_neq_f64_e64 s2, 1.0, v[3:4]
	s_or_b32 s2, vcc_lo, s2
	s_wait_alu 0xfffe
	s_and_saveexec_b32 s3, s2
	s_cbranch_execz .LBB68_23
; %bb.5:
	s_load_b64 s[2:3], s[0:1], 0x0
	v_lshrrev_b32_e32 v5, 3, v0
	s_delay_alu instid0(VALU_DEP_1) | instskip(SKIP_1) | instid1(VALU_DEP_1)
	v_lshl_or_b32 v5, ttmp9, 4, v5
	s_wait_kmcnt 0x0
	v_cmp_gt_i32_e32 vcc_lo, s2, v5
	s_and_b32 exec_lo, exec_lo, vcc_lo
	s_cbranch_execz .LBB68_23
; %bb.6:
	s_load_b256 s[4:11], s[0:1], 0x10
	v_ashrrev_i32_e32 v6, 31, v5
	v_and_b32_e32 v0, 7, v0
	s_cmp_lg_u32 s3, 0
	s_delay_alu instid0(VALU_DEP_2) | instskip(SKIP_1) | instid1(VALU_DEP_1)
	v_lshlrev_b64_e32 v[6:7], 2, v[5:6]
	s_wait_kmcnt 0x0
	v_add_co_u32 v6, vcc_lo, s4, v6
	s_delay_alu instid0(VALU_DEP_1) | instskip(SKIP_4) | instid1(VALU_DEP_2)
	v_add_co_ci_u32_e64 v7, null, s5, v7, vcc_lo
	global_load_b64 v[6:7], v[6:7], off
	s_wait_loadcnt 0x0
	v_subrev_nc_u32_e32 v6, s12, v6
	v_subrev_nc_u32_e32 v20, s12, v7
	v_add_nc_u32_e32 v6, v6, v0
	s_delay_alu instid0(VALU_DEP_1)
	v_cmp_lt_i32_e64 s2, v6, v20
	s_cbranch_scc0 .LBB68_12
; %bb.7:
	v_mov_b32_e32 v8, 0
	v_dual_mov_b32 v12, 0 :: v_dual_mov_b32 v9, 0
	v_dual_mov_b32 v10, 0 :: v_dual_mov_b32 v13, 0
	;; [unrolled: 1-line block ×3, first 2 shown]
	v_mov_b32_e32 v15, 0
	s_and_saveexec_b32 s3, s2
	s_cbranch_execz .LBB68_11
; %bb.8:
	v_mov_b32_e32 v10, 0
	v_dual_mov_b32 v8, 0 :: v_dual_mov_b32 v17, 0
	v_dual_mov_b32 v11, 0 :: v_dual_mov_b32 v12, 0
	v_mov_b32_e32 v14, 0
	v_dual_mov_b32 v9, 0 :: v_dual_lshlrev_b32 v16, 5, v6
	v_mov_b32_e32 v13, 0
	v_dual_mov_b32 v15, 0 :: v_dual_mov_b32 v18, v6
	s_mov_b32 s4, 0
.LBB68_9:                               ; =>This Inner Loop Header: Depth=1
	s_delay_alu instid0(VALU_DEP_1) | instskip(NEXT) | instid1(VALU_DEP_1)
	v_ashrrev_i32_e32 v19, 31, v18
	v_lshlrev_b64_e32 v[21:22], 2, v[18:19]
	v_add_nc_u32_e32 v18, 8, v18
	s_delay_alu instid0(VALU_DEP_2) | instskip(SKIP_1) | instid1(VALU_DEP_3)
	v_add_co_u32 v21, vcc_lo, s6, v21
	s_wait_alu 0xfffd
	v_add_co_ci_u32_e64 v22, null, s7, v22, vcc_lo
	global_load_b32 v7, v[21:22], off
	v_lshlrev_b64_e32 v[21:22], 3, v[16:17]
	v_add_nc_u32_e32 v16, 0x100, v16
	s_delay_alu instid0(VALU_DEP_2) | instskip(SKIP_1) | instid1(VALU_DEP_3)
	v_add_co_u32 v97, vcc_lo, s8, v21
	s_wait_alu 0xfffd
	v_add_co_ci_u32_e64 v98, null, s9, v22, vcc_lo
	global_load_b128 v[21:24], v[97:98], off offset:16
	s_wait_loadcnt 0x1
	v_subrev_nc_u32_e32 v7, s12, v7
	s_delay_alu instid0(VALU_DEP_1) | instskip(NEXT) | instid1(VALU_DEP_1)
	v_dual_mov_b32 v26, v17 :: v_dual_lshlrev_b32 v25, 3, v7
	v_lshlrev_b64_e32 v[25:26], 3, v[25:26]
	s_delay_alu instid0(VALU_DEP_1) | instskip(SKIP_1) | instid1(VALU_DEP_2)
	v_add_co_u32 v89, vcc_lo, s10, v25
	s_wait_alu 0xfffd
	v_add_co_ci_u32_e64 v90, null, s11, v26, vcc_lo
	v_cmp_ge_i32_e32 vcc_lo, v18, v20
	global_load_b128 v[25:28], v[97:98], off
	global_load_b128 v[29:32], v[89:90], off
	s_clause 0x3
	global_load_b128 v[33:36], v[97:98], off offset:32
	global_load_b128 v[37:40], v[97:98], off offset:48
	global_load_b128 v[41:44], v[97:98], off offset:64
	global_load_b128 v[45:48], v[97:98], off offset:80
	global_load_b128 v[49:52], v[89:90], off offset:16
	s_clause 0x3
	global_load_b128 v[53:56], v[97:98], off offset:96
	global_load_b128 v[57:60], v[97:98], off offset:112
	global_load_b128 v[61:64], v[97:98], off offset:144
	global_load_b128 v[65:68], v[97:98], off offset:128
	global_load_b128 v[69:72], v[89:90], off offset:32
	;; [unrolled: 6-line block ×3, first 2 shown]
	s_clause 0x1
	global_load_b128 v[93:96], v[97:98], off offset:224
	global_load_b128 v[97:100], v[97:98], off offset:240
	s_wait_alu 0xfffe
	s_or_b32 s4, vcc_lo, s4
	s_wait_loadcnt 0x11
	v_fma_f64 v[7:8], v[25:26], v[29:30], v[8:9]
	v_fma_f64 v[14:15], v[27:28], v[29:30], v[14:15]
	;; [unrolled: 1-line block ×4, first 2 shown]
	s_wait_loadcnt 0x10
	s_delay_alu instid0(VALU_DEP_4) | instskip(NEXT) | instid1(VALU_DEP_4)
	v_fma_f64 v[7:8], v[33:34], v[31:32], v[7:8]
	v_fma_f64 v[14:15], v[35:36], v[31:32], v[14:15]
	s_wait_loadcnt 0xf
	s_delay_alu instid0(VALU_DEP_4) | instskip(NEXT) | instid1(VALU_DEP_4)
	v_fma_f64 v[11:12], v[37:38], v[31:32], v[12:13]
	v_fma_f64 v[9:10], v[39:40], v[31:32], v[9:10]
	s_wait_loadcnt 0xc
	s_delay_alu instid0(VALU_DEP_4) | instskip(NEXT) | instid1(VALU_DEP_4)
	v_fma_f64 v[7:8], v[41:42], v[49:50], v[7:8]
	v_fma_f64 v[13:14], v[43:44], v[49:50], v[14:15]
	s_delay_alu instid0(VALU_DEP_4) | instskip(NEXT) | instid1(VALU_DEP_4)
	v_fma_f64 v[11:12], v[45:46], v[49:50], v[11:12]
	v_fma_f64 v[9:10], v[47:48], v[49:50], v[9:10]
	s_wait_loadcnt 0xb
	s_delay_alu instid0(VALU_DEP_4) | instskip(NEXT) | instid1(VALU_DEP_4)
	v_fma_f64 v[7:8], v[53:54], v[51:52], v[7:8]
	v_fma_f64 v[13:14], v[55:56], v[51:52], v[13:14]
	s_wait_loadcnt 0xa
	s_delay_alu instid0(VALU_DEP_4) | instskip(NEXT) | instid1(VALU_DEP_4)
	v_fma_f64 v[11:12], v[57:58], v[51:52], v[11:12]
	v_fma_f64 v[9:10], v[59:60], v[51:52], v[9:10]
	s_wait_loadcnt 0x7
	s_delay_alu instid0(VALU_DEP_4) | instskip(NEXT) | instid1(VALU_DEP_4)
	v_fma_f64 v[7:8], v[65:66], v[69:70], v[7:8]
	v_fma_f64 v[13:14], v[67:68], v[69:70], v[13:14]
	s_delay_alu instid0(VALU_DEP_4) | instskip(NEXT) | instid1(VALU_DEP_4)
	v_fma_f64 v[11:12], v[61:62], v[69:70], v[11:12]
	v_fma_f64 v[9:10], v[63:64], v[69:70], v[9:10]
	;; [unrolled: 15-line block ×3, first 2 shown]
	s_wait_loadcnt 0x1
	s_delay_alu instid0(VALU_DEP_4) | instskip(NEXT) | instid1(VALU_DEP_4)
	v_fma_f64 v[8:9], v[93:94], v[91:92], v[7:8]
	v_fma_f64 v[14:15], v[95:96], v[91:92], v[13:14]
	s_wait_loadcnt 0x0
	s_delay_alu instid0(VALU_DEP_4) | instskip(NEXT) | instid1(VALU_DEP_4)
	v_fma_f64 v[12:13], v[97:98], v[91:92], v[11:12]
	v_fma_f64 v[10:11], v[99:100], v[91:92], v[21:22]
	s_wait_alu 0xfffe
	s_and_not1_b32 exec_lo, exec_lo, s4
	s_cbranch_execnz .LBB68_9
; %bb.10:
	s_or_b32 exec_lo, exec_lo, s4
.LBB68_11:
	s_wait_alu 0xfffe
	s_or_b32 exec_lo, exec_lo, s3
	s_cbranch_execz .LBB68_13
	s_branch .LBB68_18
.LBB68_12:
                                        ; implicit-def: $vgpr8_vgpr9
                                        ; implicit-def: $vgpr10_vgpr11
                                        ; implicit-def: $vgpr12_vgpr13
                                        ; implicit-def: $vgpr14_vgpr15
.LBB68_13:
	v_mov_b32_e32 v8, 0
	v_dual_mov_b32 v12, 0 :: v_dual_mov_b32 v9, 0
	v_dual_mov_b32 v10, 0 :: v_dual_mov_b32 v13, 0
	;; [unrolled: 1-line block ×3, first 2 shown]
	v_mov_b32_e32 v15, 0
	s_and_saveexec_b32 s3, s2
	s_cbranch_execz .LBB68_17
; %bb.14:
	v_mov_b32_e32 v8, 0
	v_mov_b32_e32 v10, 0
	;; [unrolled: 1-line block ×3, first 2 shown]
	v_dual_mov_b32 v14, 0 :: v_dual_mov_b32 v17, 0
	v_dual_mov_b32 v9, 0 :: v_dual_lshlrev_b32 v16, 5, v6
	v_mov_b32_e32 v11, 0
	v_mov_b32_e32 v13, 0
	v_mov_b32_e32 v15, 0
	s_mov_b32 s2, 0
.LBB68_15:                              ; =>This Inner Loop Header: Depth=1
	v_ashrrev_i32_e32 v7, 31, v6
	s_delay_alu instid0(VALU_DEP_1) | instskip(SKIP_1) | instid1(VALU_DEP_2)
	v_lshlrev_b64_e32 v[18:19], 2, v[6:7]
	v_add_nc_u32_e32 v6, 8, v6
	v_add_co_u32 v18, vcc_lo, s6, v18
	s_wait_alu 0xfffd
	s_delay_alu instid0(VALU_DEP_3) | instskip(SKIP_3) | instid1(VALU_DEP_2)
	v_add_co_ci_u32_e64 v19, null, s7, v19, vcc_lo
	global_load_b32 v7, v[18:19], off
	v_lshlrev_b64_e32 v[18:19], 3, v[16:17]
	v_add_nc_u32_e32 v16, 0x100, v16
	v_add_co_u32 v18, vcc_lo, s8, v18
	s_wait_alu 0xfffd
	s_delay_alu instid0(VALU_DEP_3)
	v_add_co_ci_u32_e64 v19, null, s9, v19, vcc_lo
	s_clause 0x3
	global_load_b128 v[21:24], v[18:19], off
	global_load_b128 v[25:28], v[18:19], off offset:64
	global_load_b128 v[29:32], v[18:19], off offset:128
	global_load_b128 v[33:36], v[18:19], off offset:192
	s_wait_loadcnt 0x4
	v_subrev_nc_u32_e32 v7, s12, v7
	s_delay_alu instid0(VALU_DEP_1) | instskip(NEXT) | instid1(VALU_DEP_1)
	v_dual_mov_b32 v38, v17 :: v_dual_lshlrev_b32 v37, 3, v7
	v_lshlrev_b64_e32 v[37:38], 3, v[37:38]
	s_delay_alu instid0(VALU_DEP_1) | instskip(SKIP_1) | instid1(VALU_DEP_2)
	v_add_co_u32 v97, vcc_lo, s10, v37
	s_wait_alu 0xfffd
	v_add_co_ci_u32_e64 v98, null, s11, v38, vcc_lo
	v_cmp_ge_i32_e32 vcc_lo, v6, v20
	global_load_b128 v[37:40], v[97:98], off
	s_clause 0x3
	global_load_b128 v[41:44], v[18:19], off offset:16
	global_load_b128 v[45:48], v[18:19], off offset:80
	;; [unrolled: 1-line block ×5, first 2 shown]
	s_clause 0x5
	global_load_b128 v[61:64], v[18:19], off offset:48
	global_load_b128 v[65:68], v[18:19], off offset:32
	;; [unrolled: 1-line block ×7, first 2 shown]
	s_clause 0x1
	global_load_b128 v[89:92], v[18:19], off offset:176
	global_load_b128 v[93:96], v[18:19], off offset:240
	s_wait_alu 0xfffe
	s_or_b32 s2, vcc_lo, s2
	s_wait_loadcnt 0xe
	v_fma_f64 v[7:8], v[21:22], v[37:38], v[8:9]
	v_fma_f64 v[14:15], v[25:26], v[37:38], v[14:15]
	v_fma_f64 v[12:13], v[29:30], v[37:38], v[12:13]
	v_fma_f64 v[9:10], v[33:34], v[37:38], v[10:11]
	s_delay_alu instid0(VALU_DEP_4)
	v_fma_f64 v[7:8], v[23:24], v[39:40], v[7:8]
	global_load_b128 v[21:24], v[97:98], off offset:48
	v_fma_f64 v[14:15], v[27:28], v[39:40], v[14:15]
	v_fma_f64 v[11:12], v[31:32], v[39:40], v[12:13]
	;; [unrolled: 1-line block ×3, first 2 shown]
	s_wait_loadcnt 0xa
	v_fma_f64 v[7:8], v[41:42], v[57:58], v[7:8]
	s_delay_alu instid0(VALU_DEP_4) | instskip(NEXT) | instid1(VALU_DEP_4)
	v_fma_f64 v[13:14], v[45:46], v[57:58], v[14:15]
	v_fma_f64 v[11:12], v[49:50], v[57:58], v[11:12]
	s_delay_alu instid0(VALU_DEP_4) | instskip(NEXT) | instid1(VALU_DEP_4)
	v_fma_f64 v[9:10], v[53:54], v[57:58], v[9:10]
	;; [unrolled: 3-line block ×3, first 2 shown]
	v_fma_f64 v[11:12], v[51:52], v[59:60], v[11:12]
	s_delay_alu instid0(VALU_DEP_4) | instskip(SKIP_1) | instid1(VALU_DEP_4)
	v_fma_f64 v[9:10], v[55:56], v[59:60], v[9:10]
	s_wait_loadcnt 0x3
	v_fma_f64 v[7:8], v[65:66], v[85:86], v[7:8]
	s_delay_alu instid0(VALU_DEP_4) | instskip(NEXT) | instid1(VALU_DEP_4)
	v_fma_f64 v[13:14], v[73:74], v[85:86], v[13:14]
	v_fma_f64 v[11:12], v[77:78], v[85:86], v[11:12]
	s_delay_alu instid0(VALU_DEP_4) | instskip(NEXT) | instid1(VALU_DEP_4)
	v_fma_f64 v[9:10], v[81:82], v[85:86], v[9:10]
	;; [unrolled: 3-line block ×3, first 2 shown]
	v_fma_f64 v[11:12], v[79:80], v[87:88], v[11:12]
	s_delay_alu instid0(VALU_DEP_4) | instskip(SKIP_1) | instid1(VALU_DEP_4)
	v_fma_f64 v[9:10], v[83:84], v[87:88], v[9:10]
	s_wait_loadcnt 0x0
	v_fma_f64 v[7:8], v[61:62], v[21:22], v[7:8]
	s_delay_alu instid0(VALU_DEP_4) | instskip(NEXT) | instid1(VALU_DEP_4)
	v_fma_f64 v[13:14], v[69:70], v[21:22], v[13:14]
	v_fma_f64 v[11:12], v[89:90], v[21:22], v[11:12]
	s_delay_alu instid0(VALU_DEP_4) | instskip(NEXT) | instid1(VALU_DEP_4)
	v_fma_f64 v[18:19], v[93:94], v[21:22], v[9:10]
	;; [unrolled: 3-line block ×3, first 2 shown]
	v_fma_f64 v[12:13], v[91:92], v[23:24], v[11:12]
	s_delay_alu instid0(VALU_DEP_4)
	v_fma_f64 v[10:11], v[95:96], v[23:24], v[18:19]
	s_wait_alu 0xfffe
	s_and_not1_b32 exec_lo, exec_lo, s2
	s_cbranch_execnz .LBB68_15
; %bb.16:
	s_or_b32 exec_lo, exec_lo, s2
.LBB68_17:
	s_wait_alu 0xfffe
	s_or_b32 exec_lo, exec_lo, s3
.LBB68_18:
	v_mbcnt_lo_u32_b32 v24, -1, 0
	s_delay_alu instid0(VALU_DEP_1) | instskip(NEXT) | instid1(VALU_DEP_1)
	v_xor_b32_e32 v6, 4, v24
	v_cmp_gt_i32_e32 vcc_lo, 32, v6
	s_wait_alu 0xfffd
	v_cndmask_b32_e32 v6, v24, v6, vcc_lo
	s_delay_alu instid0(VALU_DEP_1)
	v_lshlrev_b32_e32 v21, 2, v6
	ds_bpermute_b32 v6, v21, v8
	ds_bpermute_b32 v7, v21, v9
	;; [unrolled: 1-line block ×8, first 2 shown]
	s_wait_dscnt 0x6
	v_add_f64_e32 v[6:7], v[8:9], v[6:7]
	s_wait_dscnt 0x4
	v_add_f64_e32 v[8:9], v[14:15], v[16:17]
	;; [unrolled: 2-line block ×4, first 2 shown]
	v_xor_b32_e32 v10, 2, v24
	s_delay_alu instid0(VALU_DEP_1) | instskip(SKIP_2) | instid1(VALU_DEP_1)
	v_cmp_gt_i32_e32 vcc_lo, 32, v10
	s_wait_alu 0xfffd
	v_cndmask_b32_e32 v10, v24, v10, vcc_lo
	v_lshlrev_b32_e32 v12, 2, v10
	ds_bpermute_b32 v10, v12, v6
	ds_bpermute_b32 v11, v12, v7
	;; [unrolled: 1-line block ×8, first 2 shown]
	s_wait_dscnt 0x6
	v_add_f64_e32 v[12:13], v[6:7], v[10:11]
	s_wait_dscnt 0x4
	v_add_f64_e32 v[10:11], v[8:9], v[18:19]
	s_wait_dscnt 0x2
	v_add_f64_e32 v[6:7], v[14:15], v[20:21]
	v_xor_b32_e32 v14, 1, v24
	s_wait_dscnt 0x0
	v_add_f64_e32 v[8:9], v[16:17], v[22:23]
	s_delay_alu instid0(VALU_DEP_2) | instskip(SKIP_3) | instid1(VALU_DEP_2)
	v_cmp_gt_i32_e32 vcc_lo, 32, v14
	s_wait_alu 0xfffd
	v_cndmask_b32_e32 v14, v24, v14, vcc_lo
	v_cmp_eq_u32_e32 vcc_lo, 7, v0
	v_lshlrev_b32_e32 v15, 2, v14
	ds_bpermute_b32 v20, v15, v12
	ds_bpermute_b32 v21, v15, v13
	ds_bpermute_b32 v18, v15, v10
	ds_bpermute_b32 v19, v15, v11
	ds_bpermute_b32 v16, v15, v6
	ds_bpermute_b32 v17, v15, v7
	ds_bpermute_b32 v14, v15, v8
	ds_bpermute_b32 v15, v15, v9
	s_and_b32 exec_lo, exec_lo, vcc_lo
	s_cbranch_execz .LBB68_23
; %bb.19:
	s_wait_dscnt 0x6
	v_add_f64_e32 v[12:13], v[12:13], v[20:21]
	s_wait_dscnt 0x4
	v_add_f64_e32 v[10:11], v[10:11], v[18:19]
	;; [unrolled: 2-line block ×4, first 2 shown]
	s_load_b64 s[0:1], s[0:1], 0x38
	s_mov_b32 s2, exec_lo
	v_cmpx_eq_f64_e32 0, v[3:4]
	s_wait_alu 0xfffe
	s_xor_b32 s2, exec_lo, s2
	s_cbranch_execz .LBB68_21
; %bb.20:
	v_mul_f64_e32 v[12:13], v[1:2], v[12:13]
	v_mul_f64_e32 v[14:15], v[1:2], v[10:11]
	;; [unrolled: 1-line block ×4, first 2 shown]
	v_lshlrev_b32_e32 v0, 2, v5
                                        ; implicit-def: $vgpr5
                                        ; implicit-def: $vgpr3_vgpr4
                                        ; implicit-def: $vgpr10_vgpr11
	s_delay_alu instid0(VALU_DEP_1) | instskip(NEXT) | instid1(VALU_DEP_1)
	v_ashrrev_i32_e32 v1, 31, v0
	v_lshlrev_b64_e32 v[0:1], 3, v[0:1]
	s_wait_kmcnt 0x0
	s_delay_alu instid0(VALU_DEP_1) | instskip(SKIP_1) | instid1(VALU_DEP_2)
	v_add_co_u32 v0, vcc_lo, s0, v0
	s_wait_alu 0xfffd
	v_add_co_ci_u32_e64 v1, null, s1, v1, vcc_lo
	s_clause 0x1
	global_store_b128 v[0:1], v[12:15], off
	global_store_b128 v[0:1], v[6:9], off offset:16
                                        ; implicit-def: $vgpr1_vgpr2
                                        ; implicit-def: $vgpr12_vgpr13
                                        ; implicit-def: $vgpr6_vgpr7
                                        ; implicit-def: $vgpr8_vgpr9
.LBB68_21:
	s_wait_alu 0xfffe
	s_and_not1_saveexec_b32 s2, s2
	s_cbranch_execz .LBB68_23
; %bb.22:
	v_lshlrev_b32_e32 v14, 2, v5
	v_mul_f64_e32 v[12:13], v[1:2], v[12:13]
	v_mul_f64_e32 v[10:11], v[1:2], v[10:11]
	;; [unrolled: 1-line block ×4, first 2 shown]
	v_ashrrev_i32_e32 v15, 31, v14
	s_delay_alu instid0(VALU_DEP_1) | instskip(SKIP_1) | instid1(VALU_DEP_1)
	v_lshlrev_b64_e32 v[14:15], 3, v[14:15]
	s_wait_kmcnt 0x0
	v_add_co_u32 v22, vcc_lo, s0, v14
	s_wait_alu 0xfffd
	s_delay_alu instid0(VALU_DEP_2)
	v_add_co_ci_u32_e64 v23, null, s1, v15, vcc_lo
	s_clause 0x1
	global_load_b128 v[14:17], v[22:23], off
	global_load_b128 v[18:21], v[22:23], off offset:16
	s_wait_loadcnt 0x1
	v_fma_f64 v[5:6], v[3:4], v[14:15], v[12:13]
	v_fma_f64 v[7:8], v[3:4], v[16:17], v[10:11]
	s_wait_loadcnt 0x0
	v_fma_f64 v[0:1], v[3:4], v[18:19], v[24:25]
	v_fma_f64 v[2:3], v[3:4], v[20:21], v[26:27]
	s_clause 0x1
	global_store_b128 v[22:23], v[5:8], off
	global_store_b128 v[22:23], v[0:3], off offset:16
.LBB68_23:
	s_nop 0
	s_sendmsg sendmsg(MSG_DEALLOC_VGPRS)
	s_endpgm
	.section	.rodata,"a",@progbits
	.p2align	6, 0x0
	.amdhsa_kernel _ZN9rocsparseL19gebsrmvn_4xn_kernelILj128ELj8ELj8EdEEvi20rocsparse_direction_NS_24const_host_device_scalarIT2_EEPKiS6_PKS3_S8_S4_PS3_21rocsparse_index_base_b
		.amdhsa_group_segment_fixed_size 0
		.amdhsa_private_segment_fixed_size 0
		.amdhsa_kernarg_size 72
		.amdhsa_user_sgpr_count 2
		.amdhsa_user_sgpr_dispatch_ptr 0
		.amdhsa_user_sgpr_queue_ptr 0
		.amdhsa_user_sgpr_kernarg_segment_ptr 1
		.amdhsa_user_sgpr_dispatch_id 0
		.amdhsa_user_sgpr_private_segment_size 0
		.amdhsa_wavefront_size32 1
		.amdhsa_uses_dynamic_stack 0
		.amdhsa_enable_private_segment 0
		.amdhsa_system_sgpr_workgroup_id_x 1
		.amdhsa_system_sgpr_workgroup_id_y 0
		.amdhsa_system_sgpr_workgroup_id_z 0
		.amdhsa_system_sgpr_workgroup_info 0
		.amdhsa_system_vgpr_workitem_id 0
		.amdhsa_next_free_vgpr 101
		.amdhsa_next_free_sgpr 14
		.amdhsa_reserve_vcc 1
		.amdhsa_float_round_mode_32 0
		.amdhsa_float_round_mode_16_64 0
		.amdhsa_float_denorm_mode_32 3
		.amdhsa_float_denorm_mode_16_64 3
		.amdhsa_fp16_overflow 0
		.amdhsa_workgroup_processor_mode 1
		.amdhsa_memory_ordered 1
		.amdhsa_forward_progress 1
		.amdhsa_inst_pref_size 21
		.amdhsa_round_robin_scheduling 0
		.amdhsa_exception_fp_ieee_invalid_op 0
		.amdhsa_exception_fp_denorm_src 0
		.amdhsa_exception_fp_ieee_div_zero 0
		.amdhsa_exception_fp_ieee_overflow 0
		.amdhsa_exception_fp_ieee_underflow 0
		.amdhsa_exception_fp_ieee_inexact 0
		.amdhsa_exception_int_div_zero 0
	.end_amdhsa_kernel
	.section	.text._ZN9rocsparseL19gebsrmvn_4xn_kernelILj128ELj8ELj8EdEEvi20rocsparse_direction_NS_24const_host_device_scalarIT2_EEPKiS6_PKS3_S8_S4_PS3_21rocsparse_index_base_b,"axG",@progbits,_ZN9rocsparseL19gebsrmvn_4xn_kernelILj128ELj8ELj8EdEEvi20rocsparse_direction_NS_24const_host_device_scalarIT2_EEPKiS6_PKS3_S8_S4_PS3_21rocsparse_index_base_b,comdat
.Lfunc_end68:
	.size	_ZN9rocsparseL19gebsrmvn_4xn_kernelILj128ELj8ELj8EdEEvi20rocsparse_direction_NS_24const_host_device_scalarIT2_EEPKiS6_PKS3_S8_S4_PS3_21rocsparse_index_base_b, .Lfunc_end68-_ZN9rocsparseL19gebsrmvn_4xn_kernelILj128ELj8ELj8EdEEvi20rocsparse_direction_NS_24const_host_device_scalarIT2_EEPKiS6_PKS3_S8_S4_PS3_21rocsparse_index_base_b
                                        ; -- End function
	.set _ZN9rocsparseL19gebsrmvn_4xn_kernelILj128ELj8ELj8EdEEvi20rocsparse_direction_NS_24const_host_device_scalarIT2_EEPKiS6_PKS3_S8_S4_PS3_21rocsparse_index_base_b.num_vgpr, 101
	.set _ZN9rocsparseL19gebsrmvn_4xn_kernelILj128ELj8ELj8EdEEvi20rocsparse_direction_NS_24const_host_device_scalarIT2_EEPKiS6_PKS3_S8_S4_PS3_21rocsparse_index_base_b.num_agpr, 0
	.set _ZN9rocsparseL19gebsrmvn_4xn_kernelILj128ELj8ELj8EdEEvi20rocsparse_direction_NS_24const_host_device_scalarIT2_EEPKiS6_PKS3_S8_S4_PS3_21rocsparse_index_base_b.numbered_sgpr, 14
	.set _ZN9rocsparseL19gebsrmvn_4xn_kernelILj128ELj8ELj8EdEEvi20rocsparse_direction_NS_24const_host_device_scalarIT2_EEPKiS6_PKS3_S8_S4_PS3_21rocsparse_index_base_b.num_named_barrier, 0
	.set _ZN9rocsparseL19gebsrmvn_4xn_kernelILj128ELj8ELj8EdEEvi20rocsparse_direction_NS_24const_host_device_scalarIT2_EEPKiS6_PKS3_S8_S4_PS3_21rocsparse_index_base_b.private_seg_size, 0
	.set _ZN9rocsparseL19gebsrmvn_4xn_kernelILj128ELj8ELj8EdEEvi20rocsparse_direction_NS_24const_host_device_scalarIT2_EEPKiS6_PKS3_S8_S4_PS3_21rocsparse_index_base_b.uses_vcc, 1
	.set _ZN9rocsparseL19gebsrmvn_4xn_kernelILj128ELj8ELj8EdEEvi20rocsparse_direction_NS_24const_host_device_scalarIT2_EEPKiS6_PKS3_S8_S4_PS3_21rocsparse_index_base_b.uses_flat_scratch, 0
	.set _ZN9rocsparseL19gebsrmvn_4xn_kernelILj128ELj8ELj8EdEEvi20rocsparse_direction_NS_24const_host_device_scalarIT2_EEPKiS6_PKS3_S8_S4_PS3_21rocsparse_index_base_b.has_dyn_sized_stack, 0
	.set _ZN9rocsparseL19gebsrmvn_4xn_kernelILj128ELj8ELj8EdEEvi20rocsparse_direction_NS_24const_host_device_scalarIT2_EEPKiS6_PKS3_S8_S4_PS3_21rocsparse_index_base_b.has_recursion, 0
	.set _ZN9rocsparseL19gebsrmvn_4xn_kernelILj128ELj8ELj8EdEEvi20rocsparse_direction_NS_24const_host_device_scalarIT2_EEPKiS6_PKS3_S8_S4_PS3_21rocsparse_index_base_b.has_indirect_call, 0
	.section	.AMDGPU.csdata,"",@progbits
; Kernel info:
; codeLenInByte = 2688
; TotalNumSgprs: 16
; NumVgprs: 101
; ScratchSize: 0
; MemoryBound: 1
; FloatMode: 240
; IeeeMode: 1
; LDSByteSize: 0 bytes/workgroup (compile time only)
; SGPRBlocks: 0
; VGPRBlocks: 12
; NumSGPRsForWavesPerEU: 16
; NumVGPRsForWavesPerEU: 101
; Occupancy: 12
; WaveLimiterHint : 1
; COMPUTE_PGM_RSRC2:SCRATCH_EN: 0
; COMPUTE_PGM_RSRC2:USER_SGPR: 2
; COMPUTE_PGM_RSRC2:TRAP_HANDLER: 0
; COMPUTE_PGM_RSRC2:TGID_X_EN: 1
; COMPUTE_PGM_RSRC2:TGID_Y_EN: 0
; COMPUTE_PGM_RSRC2:TGID_Z_EN: 0
; COMPUTE_PGM_RSRC2:TIDIG_COMP_CNT: 0
	.section	.text._ZN9rocsparseL19gebsrmvn_4xn_kernelILj128ELj8ELj16EdEEvi20rocsparse_direction_NS_24const_host_device_scalarIT2_EEPKiS6_PKS3_S8_S4_PS3_21rocsparse_index_base_b,"axG",@progbits,_ZN9rocsparseL19gebsrmvn_4xn_kernelILj128ELj8ELj16EdEEvi20rocsparse_direction_NS_24const_host_device_scalarIT2_EEPKiS6_PKS3_S8_S4_PS3_21rocsparse_index_base_b,comdat
	.globl	_ZN9rocsparseL19gebsrmvn_4xn_kernelILj128ELj8ELj16EdEEvi20rocsparse_direction_NS_24const_host_device_scalarIT2_EEPKiS6_PKS3_S8_S4_PS3_21rocsparse_index_base_b ; -- Begin function _ZN9rocsparseL19gebsrmvn_4xn_kernelILj128ELj8ELj16EdEEvi20rocsparse_direction_NS_24const_host_device_scalarIT2_EEPKiS6_PKS3_S8_S4_PS3_21rocsparse_index_base_b
	.p2align	8
	.type	_ZN9rocsparseL19gebsrmvn_4xn_kernelILj128ELj8ELj16EdEEvi20rocsparse_direction_NS_24const_host_device_scalarIT2_EEPKiS6_PKS3_S8_S4_PS3_21rocsparse_index_base_b,@function
_ZN9rocsparseL19gebsrmvn_4xn_kernelILj128ELj8ELj16EdEEvi20rocsparse_direction_NS_24const_host_device_scalarIT2_EEPKiS6_PKS3_S8_S4_PS3_21rocsparse_index_base_b: ; @_ZN9rocsparseL19gebsrmvn_4xn_kernelILj128ELj8ELj16EdEEvi20rocsparse_direction_NS_24const_host_device_scalarIT2_EEPKiS6_PKS3_S8_S4_PS3_21rocsparse_index_base_b
; %bb.0:
	s_clause 0x2
	s_load_b64 s[12:13], s[0:1], 0x40
	s_load_b64 s[4:5], s[0:1], 0x8
	;; [unrolled: 1-line block ×3, first 2 shown]
	s_wait_kmcnt 0x0
	s_bitcmp1_b32 s13, 0
	v_dual_mov_b32 v1, s4 :: v_dual_mov_b32 v2, s5
	s_cselect_b32 s6, -1, 0
	s_delay_alu instid0(SALU_CYCLE_1)
	s_and_b32 vcc_lo, exec_lo, s6
	s_xor_b32 s6, s6, -1
	s_cbranch_vccnz .LBB69_2
; %bb.1:
	v_dual_mov_b32 v1, s4 :: v_dual_mov_b32 v2, s5
	flat_load_b64 v[1:2], v[1:2]
.LBB69_2:
	v_dual_mov_b32 v4, s3 :: v_dual_mov_b32 v3, s2
	s_and_not1_b32 vcc_lo, exec_lo, s6
	s_cbranch_vccnz .LBB69_4
; %bb.3:
	v_dual_mov_b32 v4, s3 :: v_dual_mov_b32 v3, s2
	flat_load_b64 v[3:4], v[3:4]
.LBB69_4:
	s_wait_loadcnt_dscnt 0x0
	v_cmp_neq_f64_e32 vcc_lo, 0, v[1:2]
	v_cmp_neq_f64_e64 s2, 1.0, v[3:4]
	s_or_b32 s2, vcc_lo, s2
	s_wait_alu 0xfffe
	s_and_saveexec_b32 s3, s2
	s_cbranch_execz .LBB69_23
; %bb.5:
	s_load_b64 s[2:3], s[0:1], 0x0
	v_lshrrev_b32_e32 v5, 4, v0
	s_delay_alu instid0(VALU_DEP_1) | instskip(SKIP_1) | instid1(VALU_DEP_1)
	v_lshl_or_b32 v5, ttmp9, 3, v5
	s_wait_kmcnt 0x0
	v_cmp_gt_i32_e32 vcc_lo, s2, v5
	s_and_b32 exec_lo, exec_lo, vcc_lo
	s_cbranch_execz .LBB69_23
; %bb.6:
	s_load_b256 s[4:11], s[0:1], 0x10
	v_ashrrev_i32_e32 v6, 31, v5
	v_and_b32_e32 v0, 15, v0
	s_cmp_lg_u32 s3, 0
	s_delay_alu instid0(VALU_DEP_2) | instskip(SKIP_1) | instid1(VALU_DEP_1)
	v_lshlrev_b64_e32 v[6:7], 2, v[5:6]
	s_wait_kmcnt 0x0
	v_add_co_u32 v6, vcc_lo, s4, v6
	s_delay_alu instid0(VALU_DEP_1) | instskip(SKIP_4) | instid1(VALU_DEP_2)
	v_add_co_ci_u32_e64 v7, null, s5, v7, vcc_lo
	global_load_b64 v[6:7], v[6:7], off
	s_wait_loadcnt 0x0
	v_subrev_nc_u32_e32 v6, s12, v6
	v_subrev_nc_u32_e32 v20, s12, v7
	v_add_nc_u32_e32 v8, v6, v0
	s_delay_alu instid0(VALU_DEP_1)
	v_cmp_lt_i32_e64 s2, v8, v20
	s_cbranch_scc0 .LBB69_12
; %bb.7:
	v_mov_b32_e32 v6, 0
	v_dual_mov_b32 v12, 0 :: v_dual_mov_b32 v7, 0
	v_dual_mov_b32 v10, 0 :: v_dual_mov_b32 v13, 0
	;; [unrolled: 1-line block ×3, first 2 shown]
	v_mov_b32_e32 v15, 0
	s_and_saveexec_b32 s3, s2
	s_cbranch_execz .LBB69_11
; %bb.8:
	v_mov_b32_e32 v10, 0
	v_dual_mov_b32 v6, 0 :: v_dual_mov_b32 v17, 0
	v_dual_mov_b32 v11, 0 :: v_dual_mov_b32 v12, 0
	v_mov_b32_e32 v14, 0
	v_dual_mov_b32 v7, 0 :: v_dual_lshlrev_b32 v16, 5, v8
	v_mov_b32_e32 v13, 0
	v_dual_mov_b32 v15, 0 :: v_dual_mov_b32 v18, v8
	s_mov_b32 s4, 0
.LBB69_9:                               ; =>This Inner Loop Header: Depth=1
	s_delay_alu instid0(VALU_DEP_1) | instskip(NEXT) | instid1(VALU_DEP_1)
	v_ashrrev_i32_e32 v19, 31, v18
	v_lshlrev_b64_e32 v[21:22], 2, v[18:19]
	v_add_nc_u32_e32 v18, 16, v18
	s_delay_alu instid0(VALU_DEP_2) | instskip(SKIP_1) | instid1(VALU_DEP_3)
	v_add_co_u32 v21, vcc_lo, s6, v21
	s_wait_alu 0xfffd
	v_add_co_ci_u32_e64 v22, null, s7, v22, vcc_lo
	global_load_b32 v9, v[21:22], off
	v_lshlrev_b64_e32 v[21:22], 3, v[16:17]
	v_add_nc_u32_e32 v16, 0x200, v16
	s_delay_alu instid0(VALU_DEP_2) | instskip(SKIP_1) | instid1(VALU_DEP_3)
	v_add_co_u32 v97, vcc_lo, s8, v21
	s_wait_alu 0xfffd
	v_add_co_ci_u32_e64 v98, null, s9, v22, vcc_lo
	global_load_b128 v[21:24], v[97:98], off offset:16
	s_wait_loadcnt 0x1
	v_subrev_nc_u32_e32 v9, s12, v9
	s_delay_alu instid0(VALU_DEP_1) | instskip(NEXT) | instid1(VALU_DEP_1)
	v_dual_mov_b32 v26, v17 :: v_dual_lshlrev_b32 v25, 3, v9
	v_lshlrev_b64_e32 v[25:26], 3, v[25:26]
	s_delay_alu instid0(VALU_DEP_1) | instskip(SKIP_1) | instid1(VALU_DEP_2)
	v_add_co_u32 v89, vcc_lo, s10, v25
	s_wait_alu 0xfffd
	v_add_co_ci_u32_e64 v90, null, s11, v26, vcc_lo
	v_cmp_ge_i32_e32 vcc_lo, v18, v20
	global_load_b128 v[25:28], v[97:98], off
	global_load_b128 v[29:32], v[89:90], off
	s_clause 0x3
	global_load_b128 v[33:36], v[97:98], off offset:32
	global_load_b128 v[37:40], v[97:98], off offset:48
	global_load_b128 v[41:44], v[97:98], off offset:64
	global_load_b128 v[45:48], v[97:98], off offset:80
	global_load_b128 v[49:52], v[89:90], off offset:16
	s_clause 0x3
	global_load_b128 v[53:56], v[97:98], off offset:96
	global_load_b128 v[57:60], v[97:98], off offset:112
	global_load_b128 v[61:64], v[97:98], off offset:144
	global_load_b128 v[65:68], v[97:98], off offset:128
	global_load_b128 v[69:72], v[89:90], off offset:32
	;; [unrolled: 6-line block ×3, first 2 shown]
	s_clause 0x1
	global_load_b128 v[93:96], v[97:98], off offset:224
	global_load_b128 v[97:100], v[97:98], off offset:240
	s_wait_alu 0xfffe
	s_or_b32 s4, vcc_lo, s4
	s_wait_loadcnt 0x11
	v_fma_f64 v[6:7], v[25:26], v[29:30], v[6:7]
	v_fma_f64 v[14:15], v[27:28], v[29:30], v[14:15]
	;; [unrolled: 1-line block ×4, first 2 shown]
	s_wait_loadcnt 0x10
	s_delay_alu instid0(VALU_DEP_4) | instskip(NEXT) | instid1(VALU_DEP_4)
	v_fma_f64 v[6:7], v[33:34], v[31:32], v[6:7]
	v_fma_f64 v[14:15], v[35:36], v[31:32], v[14:15]
	s_wait_loadcnt 0xf
	s_delay_alu instid0(VALU_DEP_4) | instskip(NEXT) | instid1(VALU_DEP_4)
	v_fma_f64 v[11:12], v[37:38], v[31:32], v[12:13]
	v_fma_f64 v[9:10], v[39:40], v[31:32], v[9:10]
	s_wait_loadcnt 0xc
	s_delay_alu instid0(VALU_DEP_4) | instskip(NEXT) | instid1(VALU_DEP_4)
	v_fma_f64 v[6:7], v[41:42], v[49:50], v[6:7]
	v_fma_f64 v[13:14], v[43:44], v[49:50], v[14:15]
	s_delay_alu instid0(VALU_DEP_4) | instskip(NEXT) | instid1(VALU_DEP_4)
	v_fma_f64 v[11:12], v[45:46], v[49:50], v[11:12]
	v_fma_f64 v[9:10], v[47:48], v[49:50], v[9:10]
	s_wait_loadcnt 0xb
	s_delay_alu instid0(VALU_DEP_4) | instskip(NEXT) | instid1(VALU_DEP_4)
	v_fma_f64 v[6:7], v[53:54], v[51:52], v[6:7]
	v_fma_f64 v[13:14], v[55:56], v[51:52], v[13:14]
	s_wait_loadcnt 0xa
	s_delay_alu instid0(VALU_DEP_4) | instskip(NEXT) | instid1(VALU_DEP_4)
	v_fma_f64 v[11:12], v[57:58], v[51:52], v[11:12]
	v_fma_f64 v[9:10], v[59:60], v[51:52], v[9:10]
	s_wait_loadcnt 0x7
	s_delay_alu instid0(VALU_DEP_4) | instskip(NEXT) | instid1(VALU_DEP_4)
	v_fma_f64 v[6:7], v[65:66], v[69:70], v[6:7]
	v_fma_f64 v[13:14], v[67:68], v[69:70], v[13:14]
	s_delay_alu instid0(VALU_DEP_4) | instskip(NEXT) | instid1(VALU_DEP_4)
	v_fma_f64 v[11:12], v[61:62], v[69:70], v[11:12]
	v_fma_f64 v[9:10], v[63:64], v[69:70], v[9:10]
	;; [unrolled: 15-line block ×3, first 2 shown]
	s_wait_loadcnt 0x1
	s_delay_alu instid0(VALU_DEP_4) | instskip(NEXT) | instid1(VALU_DEP_4)
	v_fma_f64 v[6:7], v[93:94], v[91:92], v[6:7]
	v_fma_f64 v[14:15], v[95:96], v[91:92], v[13:14]
	s_wait_loadcnt 0x0
	s_delay_alu instid0(VALU_DEP_4) | instskip(NEXT) | instid1(VALU_DEP_4)
	v_fma_f64 v[12:13], v[97:98], v[91:92], v[11:12]
	v_fma_f64 v[10:11], v[99:100], v[91:92], v[9:10]
	s_wait_alu 0xfffe
	s_and_not1_b32 exec_lo, exec_lo, s4
	s_cbranch_execnz .LBB69_9
; %bb.10:
	s_or_b32 exec_lo, exec_lo, s4
.LBB69_11:
	s_wait_alu 0xfffe
	s_or_b32 exec_lo, exec_lo, s3
	s_cbranch_execz .LBB69_13
	s_branch .LBB69_18
.LBB69_12:
                                        ; implicit-def: $vgpr6_vgpr7
                                        ; implicit-def: $vgpr10_vgpr11
                                        ; implicit-def: $vgpr12_vgpr13
                                        ; implicit-def: $vgpr14_vgpr15
.LBB69_13:
	v_mov_b32_e32 v6, 0
	v_dual_mov_b32 v12, 0 :: v_dual_mov_b32 v7, 0
	v_dual_mov_b32 v10, 0 :: v_dual_mov_b32 v13, 0
	;; [unrolled: 1-line block ×3, first 2 shown]
	v_mov_b32_e32 v15, 0
	s_and_saveexec_b32 s3, s2
	s_cbranch_execz .LBB69_17
; %bb.14:
	v_mov_b32_e32 v6, 0
	v_mov_b32_e32 v10, 0
	;; [unrolled: 1-line block ×3, first 2 shown]
	v_dual_mov_b32 v14, 0 :: v_dual_mov_b32 v17, 0
	v_dual_mov_b32 v7, 0 :: v_dual_lshlrev_b32 v16, 5, v8
	v_mov_b32_e32 v11, 0
	v_mov_b32_e32 v13, 0
	;; [unrolled: 1-line block ×3, first 2 shown]
	s_mov_b32 s2, 0
.LBB69_15:                              ; =>This Inner Loop Header: Depth=1
	v_ashrrev_i32_e32 v9, 31, v8
	s_delay_alu instid0(VALU_DEP_1) | instskip(SKIP_1) | instid1(VALU_DEP_2)
	v_lshlrev_b64_e32 v[18:19], 2, v[8:9]
	v_add_nc_u32_e32 v8, 16, v8
	v_add_co_u32 v18, vcc_lo, s6, v18
	s_wait_alu 0xfffd
	s_delay_alu instid0(VALU_DEP_3) | instskip(SKIP_3) | instid1(VALU_DEP_2)
	v_add_co_ci_u32_e64 v19, null, s7, v19, vcc_lo
	global_load_b32 v9, v[18:19], off
	v_lshlrev_b64_e32 v[18:19], 3, v[16:17]
	v_add_nc_u32_e32 v16, 0x200, v16
	v_add_co_u32 v18, vcc_lo, s8, v18
	s_wait_alu 0xfffd
	s_delay_alu instid0(VALU_DEP_3)
	v_add_co_ci_u32_e64 v19, null, s9, v19, vcc_lo
	s_clause 0x3
	global_load_b128 v[21:24], v[18:19], off
	global_load_b128 v[25:28], v[18:19], off offset:64
	global_load_b128 v[29:32], v[18:19], off offset:128
	;; [unrolled: 1-line block ×3, first 2 shown]
	s_wait_loadcnt 0x4
	v_subrev_nc_u32_e32 v9, s12, v9
	s_delay_alu instid0(VALU_DEP_1) | instskip(NEXT) | instid1(VALU_DEP_1)
	v_dual_mov_b32 v38, v17 :: v_dual_lshlrev_b32 v37, 3, v9
	v_lshlrev_b64_e32 v[37:38], 3, v[37:38]
	s_delay_alu instid0(VALU_DEP_1) | instskip(SKIP_1) | instid1(VALU_DEP_2)
	v_add_co_u32 v97, vcc_lo, s10, v37
	s_wait_alu 0xfffd
	v_add_co_ci_u32_e64 v98, null, s11, v38, vcc_lo
	v_cmp_ge_i32_e32 vcc_lo, v8, v20
	global_load_b128 v[37:40], v[97:98], off
	s_clause 0x3
	global_load_b128 v[41:44], v[18:19], off offset:16
	global_load_b128 v[45:48], v[18:19], off offset:80
	;; [unrolled: 1-line block ×5, first 2 shown]
	s_clause 0x5
	global_load_b128 v[61:64], v[18:19], off offset:48
	global_load_b128 v[65:68], v[18:19], off offset:32
	;; [unrolled: 1-line block ×7, first 2 shown]
	s_clause 0x1
	global_load_b128 v[89:92], v[18:19], off offset:176
	global_load_b128 v[93:96], v[18:19], off offset:240
	s_wait_alu 0xfffe
	s_or_b32 s2, vcc_lo, s2
	s_wait_loadcnt 0xe
	v_fma_f64 v[6:7], v[21:22], v[37:38], v[6:7]
	v_fma_f64 v[14:15], v[25:26], v[37:38], v[14:15]
	;; [unrolled: 1-line block ×4, first 2 shown]
	s_delay_alu instid0(VALU_DEP_4)
	v_fma_f64 v[6:7], v[23:24], v[39:40], v[6:7]
	global_load_b128 v[21:24], v[97:98], off offset:48
	v_fma_f64 v[14:15], v[27:28], v[39:40], v[14:15]
	v_fma_f64 v[11:12], v[31:32], v[39:40], v[12:13]
	v_fma_f64 v[9:10], v[35:36], v[39:40], v[9:10]
	s_wait_loadcnt 0xa
	v_fma_f64 v[6:7], v[41:42], v[57:58], v[6:7]
	s_delay_alu instid0(VALU_DEP_4) | instskip(NEXT) | instid1(VALU_DEP_4)
	v_fma_f64 v[13:14], v[45:46], v[57:58], v[14:15]
	v_fma_f64 v[11:12], v[49:50], v[57:58], v[11:12]
	s_delay_alu instid0(VALU_DEP_4) | instskip(NEXT) | instid1(VALU_DEP_4)
	v_fma_f64 v[9:10], v[53:54], v[57:58], v[9:10]
	;; [unrolled: 3-line block ×3, first 2 shown]
	v_fma_f64 v[11:12], v[51:52], v[59:60], v[11:12]
	s_delay_alu instid0(VALU_DEP_4) | instskip(SKIP_1) | instid1(VALU_DEP_4)
	v_fma_f64 v[9:10], v[55:56], v[59:60], v[9:10]
	s_wait_loadcnt 0x3
	v_fma_f64 v[6:7], v[65:66], v[85:86], v[6:7]
	s_delay_alu instid0(VALU_DEP_4) | instskip(NEXT) | instid1(VALU_DEP_4)
	v_fma_f64 v[13:14], v[73:74], v[85:86], v[13:14]
	v_fma_f64 v[11:12], v[77:78], v[85:86], v[11:12]
	s_delay_alu instid0(VALU_DEP_4) | instskip(NEXT) | instid1(VALU_DEP_4)
	v_fma_f64 v[9:10], v[81:82], v[85:86], v[9:10]
	;; [unrolled: 3-line block ×3, first 2 shown]
	v_fma_f64 v[11:12], v[79:80], v[87:88], v[11:12]
	s_delay_alu instid0(VALU_DEP_4) | instskip(SKIP_1) | instid1(VALU_DEP_4)
	v_fma_f64 v[9:10], v[83:84], v[87:88], v[9:10]
	s_wait_loadcnt 0x0
	v_fma_f64 v[6:7], v[61:62], v[21:22], v[6:7]
	s_delay_alu instid0(VALU_DEP_4) | instskip(NEXT) | instid1(VALU_DEP_4)
	v_fma_f64 v[13:14], v[69:70], v[21:22], v[13:14]
	v_fma_f64 v[11:12], v[89:90], v[21:22], v[11:12]
	s_delay_alu instid0(VALU_DEP_4) | instskip(NEXT) | instid1(VALU_DEP_4)
	v_fma_f64 v[9:10], v[93:94], v[21:22], v[9:10]
	;; [unrolled: 3-line block ×3, first 2 shown]
	v_fma_f64 v[12:13], v[91:92], v[23:24], v[11:12]
	s_delay_alu instid0(VALU_DEP_4)
	v_fma_f64 v[10:11], v[95:96], v[23:24], v[9:10]
	s_wait_alu 0xfffe
	s_and_not1_b32 exec_lo, exec_lo, s2
	s_cbranch_execnz .LBB69_15
; %bb.16:
	s_or_b32 exec_lo, exec_lo, s2
.LBB69_17:
	s_wait_alu 0xfffe
	s_or_b32 exec_lo, exec_lo, s3
.LBB69_18:
	v_mbcnt_lo_u32_b32 v24, -1, 0
	s_delay_alu instid0(VALU_DEP_1) | instskip(NEXT) | instid1(VALU_DEP_1)
	v_xor_b32_e32 v8, 8, v24
	v_cmp_gt_i32_e32 vcc_lo, 32, v8
	s_wait_alu 0xfffd
	v_cndmask_b32_e32 v8, v24, v8, vcc_lo
	s_delay_alu instid0(VALU_DEP_1)
	v_lshlrev_b32_e32 v21, 2, v8
	ds_bpermute_b32 v8, v21, v6
	ds_bpermute_b32 v9, v21, v7
	;; [unrolled: 1-line block ×4, first 2 shown]
	s_wait_dscnt 0x2
	v_add_f64_e32 v[6:7], v[6:7], v[8:9]
	s_wait_dscnt 0x0
	v_add_f64_e32 v[8:9], v[14:15], v[16:17]
	v_xor_b32_e32 v14, 4, v24
	s_delay_alu instid0(VALU_DEP_1)
	v_cmp_gt_i32_e32 vcc_lo, 32, v14
	s_wait_alu 0xfffd
	v_cndmask_b32_e32 v14, v24, v14, vcc_lo
	ds_bpermute_b32 v18, v21, v12
	ds_bpermute_b32 v19, v21, v13
	ds_bpermute_b32 v20, v21, v10
	ds_bpermute_b32 v21, v21, v11
	s_wait_dscnt 0x2
	v_add_f64_e32 v[12:13], v[12:13], v[18:19]
	s_wait_dscnt 0x0
	v_add_f64_e32 v[10:11], v[10:11], v[20:21]
	v_lshlrev_b32_e32 v21, 2, v14
	ds_bpermute_b32 v14, v21, v6
	ds_bpermute_b32 v15, v21, v7
	;; [unrolled: 1-line block ×4, first 2 shown]
	s_wait_dscnt 0x2
	v_add_f64_e32 v[6:7], v[6:7], v[14:15]
	s_wait_dscnt 0x0
	v_add_f64_e32 v[8:9], v[8:9], v[16:17]
	ds_bpermute_b32 v18, v21, v12
	ds_bpermute_b32 v19, v21, v13
	;; [unrolled: 1-line block ×4, first 2 shown]
	s_wait_dscnt 0x2
	v_add_f64_e32 v[14:15], v[12:13], v[18:19]
	s_wait_dscnt 0x0
	v_add_f64_e32 v[16:17], v[10:11], v[20:21]
	v_xor_b32_e32 v10, 2, v24
	s_delay_alu instid0(VALU_DEP_1) | instskip(SKIP_2) | instid1(VALU_DEP_1)
	v_cmp_gt_i32_e32 vcc_lo, 32, v10
	s_wait_alu 0xfffd
	v_cndmask_b32_e32 v10, v24, v10, vcc_lo
	v_lshlrev_b32_e32 v12, 2, v10
	ds_bpermute_b32 v10, v12, v6
	ds_bpermute_b32 v11, v12, v7
	;; [unrolled: 1-line block ×8, first 2 shown]
	s_wait_dscnt 0x6
	v_add_f64_e32 v[12:13], v[6:7], v[10:11]
	s_wait_dscnt 0x4
	v_add_f64_e32 v[10:11], v[8:9], v[18:19]
	;; [unrolled: 2-line block ×3, first 2 shown]
	v_xor_b32_e32 v14, 1, v24
	s_wait_dscnt 0x0
	v_add_f64_e32 v[8:9], v[16:17], v[22:23]
	s_delay_alu instid0(VALU_DEP_2) | instskip(SKIP_3) | instid1(VALU_DEP_2)
	v_cmp_gt_i32_e32 vcc_lo, 32, v14
	s_wait_alu 0xfffd
	v_cndmask_b32_e32 v14, v24, v14, vcc_lo
	v_cmp_eq_u32_e32 vcc_lo, 15, v0
	v_lshlrev_b32_e32 v15, 2, v14
	ds_bpermute_b32 v20, v15, v12
	ds_bpermute_b32 v21, v15, v13
	;; [unrolled: 1-line block ×8, first 2 shown]
	s_and_b32 exec_lo, exec_lo, vcc_lo
	s_cbranch_execz .LBB69_23
; %bb.19:
	s_wait_dscnt 0x6
	v_add_f64_e32 v[12:13], v[12:13], v[20:21]
	s_wait_dscnt 0x4
	v_add_f64_e32 v[10:11], v[10:11], v[18:19]
	;; [unrolled: 2-line block ×4, first 2 shown]
	s_load_b64 s[0:1], s[0:1], 0x38
	s_mov_b32 s2, exec_lo
	v_cmpx_eq_f64_e32 0, v[3:4]
	s_wait_alu 0xfffe
	s_xor_b32 s2, exec_lo, s2
	s_cbranch_execz .LBB69_21
; %bb.20:
	v_mul_f64_e32 v[12:13], v[1:2], v[12:13]
	v_mul_f64_e32 v[14:15], v[1:2], v[10:11]
	;; [unrolled: 1-line block ×4, first 2 shown]
	v_lshlrev_b32_e32 v0, 2, v5
                                        ; implicit-def: $vgpr5
                                        ; implicit-def: $vgpr3_vgpr4
                                        ; implicit-def: $vgpr10_vgpr11
	s_delay_alu instid0(VALU_DEP_1) | instskip(NEXT) | instid1(VALU_DEP_1)
	v_ashrrev_i32_e32 v1, 31, v0
	v_lshlrev_b64_e32 v[0:1], 3, v[0:1]
	s_wait_kmcnt 0x0
	s_delay_alu instid0(VALU_DEP_1) | instskip(SKIP_1) | instid1(VALU_DEP_2)
	v_add_co_u32 v0, vcc_lo, s0, v0
	s_wait_alu 0xfffd
	v_add_co_ci_u32_e64 v1, null, s1, v1, vcc_lo
	s_clause 0x1
	global_store_b128 v[0:1], v[12:15], off
	global_store_b128 v[0:1], v[6:9], off offset:16
                                        ; implicit-def: $vgpr1_vgpr2
                                        ; implicit-def: $vgpr12_vgpr13
                                        ; implicit-def: $vgpr6_vgpr7
                                        ; implicit-def: $vgpr8_vgpr9
.LBB69_21:
	s_wait_alu 0xfffe
	s_and_not1_saveexec_b32 s2, s2
	s_cbranch_execz .LBB69_23
; %bb.22:
	v_lshlrev_b32_e32 v14, 2, v5
	v_mul_f64_e32 v[12:13], v[1:2], v[12:13]
	v_mul_f64_e32 v[10:11], v[1:2], v[10:11]
	;; [unrolled: 1-line block ×4, first 2 shown]
	v_ashrrev_i32_e32 v15, 31, v14
	s_delay_alu instid0(VALU_DEP_1) | instskip(SKIP_1) | instid1(VALU_DEP_1)
	v_lshlrev_b64_e32 v[14:15], 3, v[14:15]
	s_wait_kmcnt 0x0
	v_add_co_u32 v22, vcc_lo, s0, v14
	s_wait_alu 0xfffd
	s_delay_alu instid0(VALU_DEP_2)
	v_add_co_ci_u32_e64 v23, null, s1, v15, vcc_lo
	s_clause 0x1
	global_load_b128 v[14:17], v[22:23], off
	global_load_b128 v[18:21], v[22:23], off offset:16
	s_wait_loadcnt 0x1
	v_fma_f64 v[5:6], v[3:4], v[14:15], v[12:13]
	v_fma_f64 v[7:8], v[3:4], v[16:17], v[10:11]
	s_wait_loadcnt 0x0
	v_fma_f64 v[0:1], v[3:4], v[18:19], v[24:25]
	v_fma_f64 v[2:3], v[3:4], v[20:21], v[26:27]
	s_clause 0x1
	global_store_b128 v[22:23], v[5:8], off
	global_store_b128 v[22:23], v[0:3], off offset:16
.LBB69_23:
	s_nop 0
	s_sendmsg sendmsg(MSG_DEALLOC_VGPRS)
	s_endpgm
	.section	.rodata,"a",@progbits
	.p2align	6, 0x0
	.amdhsa_kernel _ZN9rocsparseL19gebsrmvn_4xn_kernelILj128ELj8ELj16EdEEvi20rocsparse_direction_NS_24const_host_device_scalarIT2_EEPKiS6_PKS3_S8_S4_PS3_21rocsparse_index_base_b
		.amdhsa_group_segment_fixed_size 0
		.amdhsa_private_segment_fixed_size 0
		.amdhsa_kernarg_size 72
		.amdhsa_user_sgpr_count 2
		.amdhsa_user_sgpr_dispatch_ptr 0
		.amdhsa_user_sgpr_queue_ptr 0
		.amdhsa_user_sgpr_kernarg_segment_ptr 1
		.amdhsa_user_sgpr_dispatch_id 0
		.amdhsa_user_sgpr_private_segment_size 0
		.amdhsa_wavefront_size32 1
		.amdhsa_uses_dynamic_stack 0
		.amdhsa_enable_private_segment 0
		.amdhsa_system_sgpr_workgroup_id_x 1
		.amdhsa_system_sgpr_workgroup_id_y 0
		.amdhsa_system_sgpr_workgroup_id_z 0
		.amdhsa_system_sgpr_workgroup_info 0
		.amdhsa_system_vgpr_workitem_id 0
		.amdhsa_next_free_vgpr 101
		.amdhsa_next_free_sgpr 14
		.amdhsa_reserve_vcc 1
		.amdhsa_float_round_mode_32 0
		.amdhsa_float_round_mode_16_64 0
		.amdhsa_float_denorm_mode_32 3
		.amdhsa_float_denorm_mode_16_64 3
		.amdhsa_fp16_overflow 0
		.amdhsa_workgroup_processor_mode 1
		.amdhsa_memory_ordered 1
		.amdhsa_forward_progress 1
		.amdhsa_inst_pref_size 22
		.amdhsa_round_robin_scheduling 0
		.amdhsa_exception_fp_ieee_invalid_op 0
		.amdhsa_exception_fp_denorm_src 0
		.amdhsa_exception_fp_ieee_div_zero 0
		.amdhsa_exception_fp_ieee_overflow 0
		.amdhsa_exception_fp_ieee_underflow 0
		.amdhsa_exception_fp_ieee_inexact 0
		.amdhsa_exception_int_div_zero 0
	.end_amdhsa_kernel
	.section	.text._ZN9rocsparseL19gebsrmvn_4xn_kernelILj128ELj8ELj16EdEEvi20rocsparse_direction_NS_24const_host_device_scalarIT2_EEPKiS6_PKS3_S8_S4_PS3_21rocsparse_index_base_b,"axG",@progbits,_ZN9rocsparseL19gebsrmvn_4xn_kernelILj128ELj8ELj16EdEEvi20rocsparse_direction_NS_24const_host_device_scalarIT2_EEPKiS6_PKS3_S8_S4_PS3_21rocsparse_index_base_b,comdat
.Lfunc_end69:
	.size	_ZN9rocsparseL19gebsrmvn_4xn_kernelILj128ELj8ELj16EdEEvi20rocsparse_direction_NS_24const_host_device_scalarIT2_EEPKiS6_PKS3_S8_S4_PS3_21rocsparse_index_base_b, .Lfunc_end69-_ZN9rocsparseL19gebsrmvn_4xn_kernelILj128ELj8ELj16EdEEvi20rocsparse_direction_NS_24const_host_device_scalarIT2_EEPKiS6_PKS3_S8_S4_PS3_21rocsparse_index_base_b
                                        ; -- End function
	.set _ZN9rocsparseL19gebsrmvn_4xn_kernelILj128ELj8ELj16EdEEvi20rocsparse_direction_NS_24const_host_device_scalarIT2_EEPKiS6_PKS3_S8_S4_PS3_21rocsparse_index_base_b.num_vgpr, 101
	.set _ZN9rocsparseL19gebsrmvn_4xn_kernelILj128ELj8ELj16EdEEvi20rocsparse_direction_NS_24const_host_device_scalarIT2_EEPKiS6_PKS3_S8_S4_PS3_21rocsparse_index_base_b.num_agpr, 0
	.set _ZN9rocsparseL19gebsrmvn_4xn_kernelILj128ELj8ELj16EdEEvi20rocsparse_direction_NS_24const_host_device_scalarIT2_EEPKiS6_PKS3_S8_S4_PS3_21rocsparse_index_base_b.numbered_sgpr, 14
	.set _ZN9rocsparseL19gebsrmvn_4xn_kernelILj128ELj8ELj16EdEEvi20rocsparse_direction_NS_24const_host_device_scalarIT2_EEPKiS6_PKS3_S8_S4_PS3_21rocsparse_index_base_b.num_named_barrier, 0
	.set _ZN9rocsparseL19gebsrmvn_4xn_kernelILj128ELj8ELj16EdEEvi20rocsparse_direction_NS_24const_host_device_scalarIT2_EEPKiS6_PKS3_S8_S4_PS3_21rocsparse_index_base_b.private_seg_size, 0
	.set _ZN9rocsparseL19gebsrmvn_4xn_kernelILj128ELj8ELj16EdEEvi20rocsparse_direction_NS_24const_host_device_scalarIT2_EEPKiS6_PKS3_S8_S4_PS3_21rocsparse_index_base_b.uses_vcc, 1
	.set _ZN9rocsparseL19gebsrmvn_4xn_kernelILj128ELj8ELj16EdEEvi20rocsparse_direction_NS_24const_host_device_scalarIT2_EEPKiS6_PKS3_S8_S4_PS3_21rocsparse_index_base_b.uses_flat_scratch, 0
	.set _ZN9rocsparseL19gebsrmvn_4xn_kernelILj128ELj8ELj16EdEEvi20rocsparse_direction_NS_24const_host_device_scalarIT2_EEPKiS6_PKS3_S8_S4_PS3_21rocsparse_index_base_b.has_dyn_sized_stack, 0
	.set _ZN9rocsparseL19gebsrmvn_4xn_kernelILj128ELj8ELj16EdEEvi20rocsparse_direction_NS_24const_host_device_scalarIT2_EEPKiS6_PKS3_S8_S4_PS3_21rocsparse_index_base_b.has_recursion, 0
	.set _ZN9rocsparseL19gebsrmvn_4xn_kernelILj128ELj8ELj16EdEEvi20rocsparse_direction_NS_24const_host_device_scalarIT2_EEPKiS6_PKS3_S8_S4_PS3_21rocsparse_index_base_b.has_indirect_call, 0
	.section	.AMDGPU.csdata,"",@progbits
; Kernel info:
; codeLenInByte = 2808
; TotalNumSgprs: 16
; NumVgprs: 101
; ScratchSize: 0
; MemoryBound: 1
; FloatMode: 240
; IeeeMode: 1
; LDSByteSize: 0 bytes/workgroup (compile time only)
; SGPRBlocks: 0
; VGPRBlocks: 12
; NumSGPRsForWavesPerEU: 16
; NumVGPRsForWavesPerEU: 101
; Occupancy: 12
; WaveLimiterHint : 1
; COMPUTE_PGM_RSRC2:SCRATCH_EN: 0
; COMPUTE_PGM_RSRC2:USER_SGPR: 2
; COMPUTE_PGM_RSRC2:TRAP_HANDLER: 0
; COMPUTE_PGM_RSRC2:TGID_X_EN: 1
; COMPUTE_PGM_RSRC2:TGID_Y_EN: 0
; COMPUTE_PGM_RSRC2:TGID_Z_EN: 0
; COMPUTE_PGM_RSRC2:TIDIG_COMP_CNT: 0
	.section	.text._ZN9rocsparseL19gebsrmvn_4xn_kernelILj128ELj8ELj32EdEEvi20rocsparse_direction_NS_24const_host_device_scalarIT2_EEPKiS6_PKS3_S8_S4_PS3_21rocsparse_index_base_b,"axG",@progbits,_ZN9rocsparseL19gebsrmvn_4xn_kernelILj128ELj8ELj32EdEEvi20rocsparse_direction_NS_24const_host_device_scalarIT2_EEPKiS6_PKS3_S8_S4_PS3_21rocsparse_index_base_b,comdat
	.globl	_ZN9rocsparseL19gebsrmvn_4xn_kernelILj128ELj8ELj32EdEEvi20rocsparse_direction_NS_24const_host_device_scalarIT2_EEPKiS6_PKS3_S8_S4_PS3_21rocsparse_index_base_b ; -- Begin function _ZN9rocsparseL19gebsrmvn_4xn_kernelILj128ELj8ELj32EdEEvi20rocsparse_direction_NS_24const_host_device_scalarIT2_EEPKiS6_PKS3_S8_S4_PS3_21rocsparse_index_base_b
	.p2align	8
	.type	_ZN9rocsparseL19gebsrmvn_4xn_kernelILj128ELj8ELj32EdEEvi20rocsparse_direction_NS_24const_host_device_scalarIT2_EEPKiS6_PKS3_S8_S4_PS3_21rocsparse_index_base_b,@function
_ZN9rocsparseL19gebsrmvn_4xn_kernelILj128ELj8ELj32EdEEvi20rocsparse_direction_NS_24const_host_device_scalarIT2_EEPKiS6_PKS3_S8_S4_PS3_21rocsparse_index_base_b: ; @_ZN9rocsparseL19gebsrmvn_4xn_kernelILj128ELj8ELj32EdEEvi20rocsparse_direction_NS_24const_host_device_scalarIT2_EEPKiS6_PKS3_S8_S4_PS3_21rocsparse_index_base_b
; %bb.0:
	s_clause 0x2
	s_load_b64 s[12:13], s[0:1], 0x40
	s_load_b64 s[4:5], s[0:1], 0x8
	;; [unrolled: 1-line block ×3, first 2 shown]
	s_wait_kmcnt 0x0
	s_bitcmp1_b32 s13, 0
	v_dual_mov_b32 v1, s4 :: v_dual_mov_b32 v2, s5
	s_cselect_b32 s6, -1, 0
	s_delay_alu instid0(SALU_CYCLE_1)
	s_and_b32 vcc_lo, exec_lo, s6
	s_xor_b32 s6, s6, -1
	s_cbranch_vccnz .LBB70_2
; %bb.1:
	v_dual_mov_b32 v1, s4 :: v_dual_mov_b32 v2, s5
	flat_load_b64 v[1:2], v[1:2]
.LBB70_2:
	v_dual_mov_b32 v4, s3 :: v_dual_mov_b32 v3, s2
	s_and_not1_b32 vcc_lo, exec_lo, s6
	s_cbranch_vccnz .LBB70_4
; %bb.3:
	v_dual_mov_b32 v4, s3 :: v_dual_mov_b32 v3, s2
	flat_load_b64 v[3:4], v[3:4]
.LBB70_4:
	s_wait_loadcnt_dscnt 0x0
	v_cmp_neq_f64_e32 vcc_lo, 0, v[1:2]
	v_cmp_neq_f64_e64 s2, 1.0, v[3:4]
	s_or_b32 s2, vcc_lo, s2
	s_wait_alu 0xfffe
	s_and_saveexec_b32 s3, s2
	s_cbranch_execz .LBB70_23
; %bb.5:
	s_load_b64 s[2:3], s[0:1], 0x0
	v_lshrrev_b32_e32 v5, 5, v0
	s_delay_alu instid0(VALU_DEP_1) | instskip(SKIP_1) | instid1(VALU_DEP_1)
	v_lshl_or_b32 v5, ttmp9, 2, v5
	s_wait_kmcnt 0x0
	v_cmp_gt_i32_e32 vcc_lo, s2, v5
	s_and_b32 exec_lo, exec_lo, vcc_lo
	s_cbranch_execz .LBB70_23
; %bb.6:
	s_load_b256 s[4:11], s[0:1], 0x10
	v_ashrrev_i32_e32 v6, 31, v5
	v_and_b32_e32 v0, 31, v0
	s_cmp_lg_u32 s3, 0
	s_delay_alu instid0(VALU_DEP_2) | instskip(SKIP_1) | instid1(VALU_DEP_1)
	v_lshlrev_b64_e32 v[6:7], 2, v[5:6]
	s_wait_kmcnt 0x0
	v_add_co_u32 v6, vcc_lo, s4, v6
	s_delay_alu instid0(VALU_DEP_1) | instskip(SKIP_4) | instid1(VALU_DEP_2)
	v_add_co_ci_u32_e64 v7, null, s5, v7, vcc_lo
	global_load_b64 v[6:7], v[6:7], off
	s_wait_loadcnt 0x0
	v_subrev_nc_u32_e32 v6, s12, v6
	v_subrev_nc_u32_e32 v19, s12, v7
	v_add_nc_u32_e32 v14, v6, v0
	s_delay_alu instid0(VALU_DEP_1)
	v_cmp_lt_i32_e64 s2, v14, v19
	s_cbranch_scc0 .LBB70_12
; %bb.7:
	v_mov_b32_e32 v6, 0
	v_dual_mov_b32 v10, 0 :: v_dual_mov_b32 v7, 0
	v_dual_mov_b32 v8, 0 :: v_dual_mov_b32 v11, 0
	;; [unrolled: 1-line block ×3, first 2 shown]
	v_mov_b32_e32 v13, 0
	s_and_saveexec_b32 s3, s2
	s_cbranch_execz .LBB70_11
; %bb.8:
	v_dual_mov_b32 v8, 0 :: v_dual_lshlrev_b32 v15, 5, v14
	v_dual_mov_b32 v6, 0 :: v_dual_mov_b32 v9, 0
	v_mov_b32_e32 v10, 0
	v_dual_mov_b32 v12, 0 :: v_dual_mov_b32 v17, v14
	v_dual_mov_b32 v7, 0 :: v_dual_mov_b32 v16, 0
	v_mov_b32_e32 v11, 0
	v_mov_b32_e32 v13, 0
	s_mov_b32 s4, 0
.LBB70_9:                               ; =>This Inner Loop Header: Depth=1
	v_ashrrev_i32_e32 v18, 31, v17
	s_delay_alu instid0(VALU_DEP_1) | instskip(SKIP_1) | instid1(VALU_DEP_2)
	v_lshlrev_b64_e32 v[20:21], 2, v[17:18]
	v_add_nc_u32_e32 v17, 32, v17
	v_add_co_u32 v20, vcc_lo, s6, v20
	s_wait_alu 0xfffd
	s_delay_alu instid0(VALU_DEP_3) | instskip(SKIP_3) | instid1(VALU_DEP_2)
	v_add_co_ci_u32_e64 v21, null, s7, v21, vcc_lo
	global_load_b32 v18, v[20:21], off
	v_lshlrev_b64_e32 v[20:21], 3, v[15:16]
	v_add_nc_u32_e32 v15, 0x400, v15
	v_add_co_u32 v96, vcc_lo, s8, v20
	s_wait_alu 0xfffd
	s_delay_alu instid0(VALU_DEP_3) | instskip(SKIP_3) | instid1(VALU_DEP_1)
	v_add_co_ci_u32_e64 v97, null, s9, v21, vcc_lo
	global_load_b128 v[20:23], v[96:97], off offset:16
	s_wait_loadcnt 0x1
	v_subrev_nc_u32_e32 v18, s12, v18
	v_dual_mov_b32 v25, v16 :: v_dual_lshlrev_b32 v24, 3, v18
	s_delay_alu instid0(VALU_DEP_1) | instskip(NEXT) | instid1(VALU_DEP_1)
	v_lshlrev_b64_e32 v[24:25], 3, v[24:25]
	v_add_co_u32 v88, vcc_lo, s10, v24
	s_wait_alu 0xfffd
	s_delay_alu instid0(VALU_DEP_2)
	v_add_co_ci_u32_e64 v89, null, s11, v25, vcc_lo
	v_cmp_ge_i32_e32 vcc_lo, v17, v19
	global_load_b128 v[24:27], v[96:97], off
	global_load_b128 v[28:31], v[88:89], off
	s_clause 0x3
	global_load_b128 v[32:35], v[96:97], off offset:32
	global_load_b128 v[36:39], v[96:97], off offset:48
	global_load_b128 v[40:43], v[96:97], off offset:64
	global_load_b128 v[44:47], v[96:97], off offset:80
	global_load_b128 v[48:51], v[88:89], off offset:16
	s_clause 0x3
	global_load_b128 v[52:55], v[96:97], off offset:96
	global_load_b128 v[56:59], v[96:97], off offset:112
	global_load_b128 v[60:63], v[96:97], off offset:144
	global_load_b128 v[64:67], v[96:97], off offset:128
	global_load_b128 v[68:71], v[88:89], off offset:32
	;; [unrolled: 6-line block ×3, first 2 shown]
	s_clause 0x1
	global_load_b128 v[92:95], v[96:97], off offset:224
	global_load_b128 v[96:99], v[96:97], off offset:240
	s_wait_alu 0xfffe
	s_or_b32 s4, vcc_lo, s4
	s_wait_loadcnt 0x11
	v_fma_f64 v[6:7], v[24:25], v[28:29], v[6:7]
	v_fma_f64 v[12:13], v[26:27], v[28:29], v[12:13]
	;; [unrolled: 1-line block ×4, first 2 shown]
	s_wait_loadcnt 0x10
	s_delay_alu instid0(VALU_DEP_4) | instskip(NEXT) | instid1(VALU_DEP_4)
	v_fma_f64 v[6:7], v[32:33], v[30:31], v[6:7]
	v_fma_f64 v[12:13], v[34:35], v[30:31], v[12:13]
	s_wait_loadcnt 0xf
	s_delay_alu instid0(VALU_DEP_4) | instskip(NEXT) | instid1(VALU_DEP_4)
	v_fma_f64 v[10:11], v[36:37], v[30:31], v[10:11]
	v_fma_f64 v[8:9], v[38:39], v[30:31], v[8:9]
	s_wait_loadcnt 0xc
	s_delay_alu instid0(VALU_DEP_4) | instskip(NEXT) | instid1(VALU_DEP_4)
	v_fma_f64 v[6:7], v[40:41], v[48:49], v[6:7]
	v_fma_f64 v[12:13], v[42:43], v[48:49], v[12:13]
	s_delay_alu instid0(VALU_DEP_4) | instskip(NEXT) | instid1(VALU_DEP_4)
	v_fma_f64 v[10:11], v[44:45], v[48:49], v[10:11]
	v_fma_f64 v[8:9], v[46:47], v[48:49], v[8:9]
	s_wait_loadcnt 0xb
	s_delay_alu instid0(VALU_DEP_4) | instskip(NEXT) | instid1(VALU_DEP_4)
	v_fma_f64 v[6:7], v[52:53], v[50:51], v[6:7]
	v_fma_f64 v[12:13], v[54:55], v[50:51], v[12:13]
	s_wait_loadcnt 0xa
	s_delay_alu instid0(VALU_DEP_4) | instskip(NEXT) | instid1(VALU_DEP_4)
	v_fma_f64 v[10:11], v[56:57], v[50:51], v[10:11]
	v_fma_f64 v[8:9], v[58:59], v[50:51], v[8:9]
	s_wait_loadcnt 0x7
	s_delay_alu instid0(VALU_DEP_4) | instskip(NEXT) | instid1(VALU_DEP_4)
	v_fma_f64 v[6:7], v[64:65], v[68:69], v[6:7]
	v_fma_f64 v[12:13], v[66:67], v[68:69], v[12:13]
	s_delay_alu instid0(VALU_DEP_4) | instskip(NEXT) | instid1(VALU_DEP_4)
	v_fma_f64 v[10:11], v[60:61], v[68:69], v[10:11]
	v_fma_f64 v[8:9], v[62:63], v[68:69], v[8:9]
	;; [unrolled: 15-line block ×3, first 2 shown]
	s_wait_loadcnt 0x1
	s_delay_alu instid0(VALU_DEP_4) | instskip(NEXT) | instid1(VALU_DEP_4)
	v_fma_f64 v[6:7], v[92:93], v[90:91], v[6:7]
	v_fma_f64 v[12:13], v[94:95], v[90:91], v[12:13]
	s_wait_loadcnt 0x0
	s_delay_alu instid0(VALU_DEP_4) | instskip(NEXT) | instid1(VALU_DEP_4)
	v_fma_f64 v[10:11], v[96:97], v[90:91], v[10:11]
	v_fma_f64 v[8:9], v[98:99], v[90:91], v[8:9]
	s_wait_alu 0xfffe
	s_and_not1_b32 exec_lo, exec_lo, s4
	s_cbranch_execnz .LBB70_9
; %bb.10:
	s_or_b32 exec_lo, exec_lo, s4
.LBB70_11:
	s_wait_alu 0xfffe
	s_or_b32 exec_lo, exec_lo, s3
	s_cbranch_execz .LBB70_13
	s_branch .LBB70_18
.LBB70_12:
                                        ; implicit-def: $vgpr6_vgpr7
                                        ; implicit-def: $vgpr8_vgpr9
                                        ; implicit-def: $vgpr10_vgpr11
                                        ; implicit-def: $vgpr12_vgpr13
.LBB70_13:
	v_mov_b32_e32 v6, 0
	v_dual_mov_b32 v10, 0 :: v_dual_mov_b32 v7, 0
	v_dual_mov_b32 v8, 0 :: v_dual_mov_b32 v11, 0
	;; [unrolled: 1-line block ×3, first 2 shown]
	v_mov_b32_e32 v13, 0
	s_and_saveexec_b32 s3, s2
	s_cbranch_execz .LBB70_17
; %bb.14:
	v_mov_b32_e32 v6, 0
	v_mov_b32_e32 v8, 0
	;; [unrolled: 1-line block ×3, first 2 shown]
	v_dual_mov_b32 v12, 0 :: v_dual_mov_b32 v17, 0
	v_dual_mov_b32 v7, 0 :: v_dual_lshlrev_b32 v16, 5, v14
	v_mov_b32_e32 v9, 0
	v_mov_b32_e32 v11, 0
	;; [unrolled: 1-line block ×3, first 2 shown]
	s_mov_b32 s2, 0
.LBB70_15:                              ; =>This Inner Loop Header: Depth=1
	v_ashrrev_i32_e32 v15, 31, v14
	s_delay_alu instid0(VALU_DEP_1) | instskip(SKIP_1) | instid1(VALU_DEP_2)
	v_lshlrev_b64_e32 v[20:21], 2, v[14:15]
	v_add_nc_u32_e32 v14, 32, v14
	v_add_co_u32 v20, vcc_lo, s6, v20
	s_wait_alu 0xfffd
	s_delay_alu instid0(VALU_DEP_3) | instskip(SKIP_3) | instid1(VALU_DEP_2)
	v_add_co_ci_u32_e64 v21, null, s7, v21, vcc_lo
	global_load_b32 v15, v[20:21], off
	v_lshlrev_b64_e32 v[20:21], 3, v[16:17]
	v_add_nc_u32_e32 v16, 0x400, v16
	v_add_co_u32 v92, vcc_lo, s8, v20
	s_wait_alu 0xfffd
	s_delay_alu instid0(VALU_DEP_3)
	v_add_co_ci_u32_e64 v93, null, s9, v21, vcc_lo
	s_clause 0x3
	global_load_b128 v[20:23], v[92:93], off
	global_load_b128 v[24:27], v[92:93], off offset:64
	global_load_b128 v[28:31], v[92:93], off offset:128
	;; [unrolled: 1-line block ×3, first 2 shown]
	s_wait_loadcnt 0x4
	v_subrev_nc_u32_e32 v15, s12, v15
	s_delay_alu instid0(VALU_DEP_1) | instskip(NEXT) | instid1(VALU_DEP_1)
	v_dual_mov_b32 v37, v17 :: v_dual_lshlrev_b32 v36, 3, v15
	v_lshlrev_b64_e32 v[36:37], 3, v[36:37]
	s_delay_alu instid0(VALU_DEP_1) | instskip(SKIP_1) | instid1(VALU_DEP_2)
	v_add_co_u32 v96, vcc_lo, s10, v36
	s_wait_alu 0xfffd
	v_add_co_ci_u32_e64 v97, null, s11, v37, vcc_lo
	v_cmp_ge_i32_e32 vcc_lo, v14, v19
	global_load_b128 v[36:39], v[96:97], off
	s_clause 0x3
	global_load_b128 v[40:43], v[92:93], off offset:16
	global_load_b128 v[44:47], v[92:93], off offset:80
	;; [unrolled: 1-line block ×5, first 2 shown]
	s_clause 0x5
	global_load_b128 v[60:63], v[92:93], off offset:48
	global_load_b128 v[64:67], v[92:93], off offset:32
	;; [unrolled: 1-line block ×7, first 2 shown]
	s_clause 0x1
	global_load_b128 v[88:91], v[92:93], off offset:176
	global_load_b128 v[92:95], v[92:93], off offset:240
	s_wait_alu 0xfffe
	s_or_b32 s2, vcc_lo, s2
	s_wait_loadcnt 0xe
	v_fma_f64 v[6:7], v[20:21], v[36:37], v[6:7]
	v_fma_f64 v[12:13], v[24:25], v[36:37], v[12:13]
	;; [unrolled: 1-line block ×4, first 2 shown]
	s_delay_alu instid0(VALU_DEP_4)
	v_fma_f64 v[6:7], v[22:23], v[38:39], v[6:7]
	global_load_b128 v[20:23], v[96:97], off offset:48
	v_fma_f64 v[12:13], v[26:27], v[38:39], v[12:13]
	v_fma_f64 v[10:11], v[30:31], v[38:39], v[10:11]
	;; [unrolled: 1-line block ×3, first 2 shown]
	s_wait_loadcnt 0xa
	v_fma_f64 v[6:7], v[40:41], v[56:57], v[6:7]
	s_delay_alu instid0(VALU_DEP_4) | instskip(NEXT) | instid1(VALU_DEP_4)
	v_fma_f64 v[12:13], v[44:45], v[56:57], v[12:13]
	v_fma_f64 v[10:11], v[48:49], v[56:57], v[10:11]
	s_delay_alu instid0(VALU_DEP_4) | instskip(NEXT) | instid1(VALU_DEP_4)
	v_fma_f64 v[8:9], v[52:53], v[56:57], v[8:9]
	;; [unrolled: 3-line block ×3, first 2 shown]
	v_fma_f64 v[10:11], v[50:51], v[58:59], v[10:11]
	s_delay_alu instid0(VALU_DEP_4) | instskip(SKIP_1) | instid1(VALU_DEP_4)
	v_fma_f64 v[8:9], v[54:55], v[58:59], v[8:9]
	s_wait_loadcnt 0x3
	v_fma_f64 v[6:7], v[64:65], v[84:85], v[6:7]
	s_delay_alu instid0(VALU_DEP_4) | instskip(NEXT) | instid1(VALU_DEP_4)
	v_fma_f64 v[12:13], v[72:73], v[84:85], v[12:13]
	v_fma_f64 v[10:11], v[76:77], v[84:85], v[10:11]
	s_delay_alu instid0(VALU_DEP_4) | instskip(NEXT) | instid1(VALU_DEP_4)
	v_fma_f64 v[8:9], v[80:81], v[84:85], v[8:9]
	;; [unrolled: 3-line block ×3, first 2 shown]
	v_fma_f64 v[10:11], v[78:79], v[86:87], v[10:11]
	s_delay_alu instid0(VALU_DEP_4) | instskip(SKIP_1) | instid1(VALU_DEP_4)
	v_fma_f64 v[8:9], v[82:83], v[86:87], v[8:9]
	s_wait_loadcnt 0x0
	v_fma_f64 v[6:7], v[60:61], v[20:21], v[6:7]
	s_delay_alu instid0(VALU_DEP_4) | instskip(NEXT) | instid1(VALU_DEP_4)
	v_fma_f64 v[12:13], v[68:69], v[20:21], v[12:13]
	v_fma_f64 v[10:11], v[88:89], v[20:21], v[10:11]
	s_delay_alu instid0(VALU_DEP_4) | instskip(NEXT) | instid1(VALU_DEP_4)
	v_fma_f64 v[8:9], v[92:93], v[20:21], v[8:9]
	;; [unrolled: 3-line block ×3, first 2 shown]
	v_fma_f64 v[10:11], v[90:91], v[22:23], v[10:11]
	s_delay_alu instid0(VALU_DEP_4)
	v_fma_f64 v[8:9], v[94:95], v[22:23], v[8:9]
	s_wait_alu 0xfffe
	s_and_not1_b32 exec_lo, exec_lo, s2
	s_cbranch_execnz .LBB70_15
; %bb.16:
	s_or_b32 exec_lo, exec_lo, s2
.LBB70_17:
	s_wait_alu 0xfffe
	s_or_b32 exec_lo, exec_lo, s3
.LBB70_18:
	v_mbcnt_lo_u32_b32 v24, -1, 0
	s_delay_alu instid0(VALU_DEP_1) | instskip(NEXT) | instid1(VALU_DEP_1)
	v_xor_b32_e32 v14, 16, v24
	v_cmp_gt_i32_e32 vcc_lo, 32, v14
	s_wait_alu 0xfffd
	v_cndmask_b32_e32 v14, v24, v14, vcc_lo
	s_delay_alu instid0(VALU_DEP_1)
	v_lshlrev_b32_e32 v21, 2, v14
	ds_bpermute_b32 v14, v21, v6
	ds_bpermute_b32 v15, v21, v7
	;; [unrolled: 1-line block ×8, first 2 shown]
	s_wait_dscnt 0x6
	v_add_f64_e32 v[6:7], v[6:7], v[14:15]
	v_xor_b32_e32 v14, 8, v24
	s_wait_dscnt 0x4
	v_add_f64_e32 v[12:13], v[12:13], v[16:17]
	s_wait_dscnt 0x2
	v_add_f64_e32 v[10:11], v[10:11], v[18:19]
	;; [unrolled: 2-line block ×3, first 2 shown]
	v_cmp_gt_i32_e32 vcc_lo, 32, v14
	s_wait_alu 0xfffd
	v_cndmask_b32_e32 v14, v24, v14, vcc_lo
	s_delay_alu instid0(VALU_DEP_1)
	v_lshlrev_b32_e32 v21, 2, v14
	ds_bpermute_b32 v14, v21, v6
	ds_bpermute_b32 v15, v21, v7
	;; [unrolled: 1-line block ×8, first 2 shown]
	s_wait_dscnt 0x6
	v_add_f64_e32 v[6:7], v[6:7], v[14:15]
	v_xor_b32_e32 v14, 4, v24
	s_wait_dscnt 0x4
	v_add_f64_e32 v[12:13], v[12:13], v[16:17]
	s_wait_dscnt 0x2
	v_add_f64_e32 v[10:11], v[10:11], v[18:19]
	;; [unrolled: 2-line block ×3, first 2 shown]
	v_cmp_gt_i32_e32 vcc_lo, 32, v14
	s_wait_alu 0xfffd
	v_cndmask_b32_e32 v14, v24, v14, vcc_lo
	s_delay_alu instid0(VALU_DEP_1)
	v_lshlrev_b32_e32 v21, 2, v14
	ds_bpermute_b32 v14, v21, v6
	ds_bpermute_b32 v15, v21, v7
	;; [unrolled: 1-line block ×8, first 2 shown]
	s_wait_dscnt 0x6
	v_add_f64_e32 v[6:7], v[6:7], v[14:15]
	s_wait_dscnt 0x4
	v_add_f64_e32 v[14:15], v[12:13], v[16:17]
	;; [unrolled: 2-line block ×3, first 2 shown]
	v_xor_b32_e32 v10, 2, v24
	s_wait_dscnt 0x0
	v_add_f64_e32 v[8:9], v[8:9], v[20:21]
	s_delay_alu instid0(VALU_DEP_2) | instskip(SKIP_2) | instid1(VALU_DEP_1)
	v_cmp_gt_i32_e32 vcc_lo, 32, v10
	s_wait_alu 0xfffd
	v_cndmask_b32_e32 v10, v24, v10, vcc_lo
	v_lshlrev_b32_e32 v12, 2, v10
	ds_bpermute_b32 v10, v12, v6
	ds_bpermute_b32 v11, v12, v7
	;; [unrolled: 1-line block ×8, first 2 shown]
	s_wait_dscnt 0x6
	v_add_f64_e32 v[12:13], v[6:7], v[10:11]
	s_wait_dscnt 0x4
	v_add_f64_e32 v[10:11], v[14:15], v[18:19]
	v_xor_b32_e32 v14, 1, v24
	s_wait_dscnt 0x2
	v_add_f64_e32 v[6:7], v[16:17], v[20:21]
	s_wait_dscnt 0x0
	v_add_f64_e32 v[8:9], v[8:9], v[22:23]
	v_cmp_gt_i32_e32 vcc_lo, 32, v14
	s_wait_alu 0xfffd
	v_cndmask_b32_e32 v14, v24, v14, vcc_lo
	v_cmp_eq_u32_e32 vcc_lo, 31, v0
	s_delay_alu instid0(VALU_DEP_2)
	v_lshlrev_b32_e32 v15, 2, v14
	ds_bpermute_b32 v20, v15, v12
	ds_bpermute_b32 v21, v15, v13
	;; [unrolled: 1-line block ×8, first 2 shown]
	s_and_b32 exec_lo, exec_lo, vcc_lo
	s_cbranch_execz .LBB70_23
; %bb.19:
	s_wait_dscnt 0x6
	v_add_f64_e32 v[12:13], v[12:13], v[20:21]
	s_wait_dscnt 0x4
	v_add_f64_e32 v[10:11], v[10:11], v[18:19]
	;; [unrolled: 2-line block ×4, first 2 shown]
	s_load_b64 s[0:1], s[0:1], 0x38
	s_mov_b32 s2, exec_lo
	v_cmpx_eq_f64_e32 0, v[3:4]
	s_wait_alu 0xfffe
	s_xor_b32 s2, exec_lo, s2
	s_cbranch_execz .LBB70_21
; %bb.20:
	v_mul_f64_e32 v[12:13], v[1:2], v[12:13]
	v_mul_f64_e32 v[14:15], v[1:2], v[10:11]
	;; [unrolled: 1-line block ×4, first 2 shown]
	v_lshlrev_b32_e32 v0, 2, v5
                                        ; implicit-def: $vgpr5
                                        ; implicit-def: $vgpr3_vgpr4
                                        ; implicit-def: $vgpr10_vgpr11
	s_delay_alu instid0(VALU_DEP_1) | instskip(NEXT) | instid1(VALU_DEP_1)
	v_ashrrev_i32_e32 v1, 31, v0
	v_lshlrev_b64_e32 v[0:1], 3, v[0:1]
	s_wait_kmcnt 0x0
	s_delay_alu instid0(VALU_DEP_1) | instskip(SKIP_1) | instid1(VALU_DEP_2)
	v_add_co_u32 v0, vcc_lo, s0, v0
	s_wait_alu 0xfffd
	v_add_co_ci_u32_e64 v1, null, s1, v1, vcc_lo
	s_clause 0x1
	global_store_b128 v[0:1], v[12:15], off
	global_store_b128 v[0:1], v[6:9], off offset:16
                                        ; implicit-def: $vgpr1_vgpr2
                                        ; implicit-def: $vgpr12_vgpr13
                                        ; implicit-def: $vgpr6_vgpr7
                                        ; implicit-def: $vgpr8_vgpr9
.LBB70_21:
	s_wait_alu 0xfffe
	s_and_not1_saveexec_b32 s2, s2
	s_cbranch_execz .LBB70_23
; %bb.22:
	v_lshlrev_b32_e32 v14, 2, v5
	v_mul_f64_e32 v[12:13], v[1:2], v[12:13]
	v_mul_f64_e32 v[10:11], v[1:2], v[10:11]
	;; [unrolled: 1-line block ×4, first 2 shown]
	v_ashrrev_i32_e32 v15, 31, v14
	s_delay_alu instid0(VALU_DEP_1) | instskip(SKIP_1) | instid1(VALU_DEP_1)
	v_lshlrev_b64_e32 v[14:15], 3, v[14:15]
	s_wait_kmcnt 0x0
	v_add_co_u32 v22, vcc_lo, s0, v14
	s_wait_alu 0xfffd
	s_delay_alu instid0(VALU_DEP_2)
	v_add_co_ci_u32_e64 v23, null, s1, v15, vcc_lo
	s_clause 0x1
	global_load_b128 v[14:17], v[22:23], off
	global_load_b128 v[18:21], v[22:23], off offset:16
	s_wait_loadcnt 0x1
	v_fma_f64 v[5:6], v[3:4], v[14:15], v[12:13]
	v_fma_f64 v[7:8], v[3:4], v[16:17], v[10:11]
	s_wait_loadcnt 0x0
	v_fma_f64 v[0:1], v[3:4], v[18:19], v[24:25]
	v_fma_f64 v[2:3], v[3:4], v[20:21], v[26:27]
	s_clause 0x1
	global_store_b128 v[22:23], v[5:8], off
	global_store_b128 v[22:23], v[0:3], off offset:16
.LBB70_23:
	s_nop 0
	s_sendmsg sendmsg(MSG_DEALLOC_VGPRS)
	s_endpgm
	.section	.rodata,"a",@progbits
	.p2align	6, 0x0
	.amdhsa_kernel _ZN9rocsparseL19gebsrmvn_4xn_kernelILj128ELj8ELj32EdEEvi20rocsparse_direction_NS_24const_host_device_scalarIT2_EEPKiS6_PKS3_S8_S4_PS3_21rocsparse_index_base_b
		.amdhsa_group_segment_fixed_size 0
		.amdhsa_private_segment_fixed_size 0
		.amdhsa_kernarg_size 72
		.amdhsa_user_sgpr_count 2
		.amdhsa_user_sgpr_dispatch_ptr 0
		.amdhsa_user_sgpr_queue_ptr 0
		.amdhsa_user_sgpr_kernarg_segment_ptr 1
		.amdhsa_user_sgpr_dispatch_id 0
		.amdhsa_user_sgpr_private_segment_size 0
		.amdhsa_wavefront_size32 1
		.amdhsa_uses_dynamic_stack 0
		.amdhsa_enable_private_segment 0
		.amdhsa_system_sgpr_workgroup_id_x 1
		.amdhsa_system_sgpr_workgroup_id_y 0
		.amdhsa_system_sgpr_workgroup_id_z 0
		.amdhsa_system_sgpr_workgroup_info 0
		.amdhsa_system_vgpr_workitem_id 0
		.amdhsa_next_free_vgpr 100
		.amdhsa_next_free_sgpr 14
		.amdhsa_reserve_vcc 1
		.amdhsa_float_round_mode_32 0
		.amdhsa_float_round_mode_16_64 0
		.amdhsa_float_denorm_mode_32 3
		.amdhsa_float_denorm_mode_16_64 3
		.amdhsa_fp16_overflow 0
		.amdhsa_workgroup_processor_mode 1
		.amdhsa_memory_ordered 1
		.amdhsa_forward_progress 1
		.amdhsa_inst_pref_size 23
		.amdhsa_round_robin_scheduling 0
		.amdhsa_exception_fp_ieee_invalid_op 0
		.amdhsa_exception_fp_denorm_src 0
		.amdhsa_exception_fp_ieee_div_zero 0
		.amdhsa_exception_fp_ieee_overflow 0
		.amdhsa_exception_fp_ieee_underflow 0
		.amdhsa_exception_fp_ieee_inexact 0
		.amdhsa_exception_int_div_zero 0
	.end_amdhsa_kernel
	.section	.text._ZN9rocsparseL19gebsrmvn_4xn_kernelILj128ELj8ELj32EdEEvi20rocsparse_direction_NS_24const_host_device_scalarIT2_EEPKiS6_PKS3_S8_S4_PS3_21rocsparse_index_base_b,"axG",@progbits,_ZN9rocsparseL19gebsrmvn_4xn_kernelILj128ELj8ELj32EdEEvi20rocsparse_direction_NS_24const_host_device_scalarIT2_EEPKiS6_PKS3_S8_S4_PS3_21rocsparse_index_base_b,comdat
.Lfunc_end70:
	.size	_ZN9rocsparseL19gebsrmvn_4xn_kernelILj128ELj8ELj32EdEEvi20rocsparse_direction_NS_24const_host_device_scalarIT2_EEPKiS6_PKS3_S8_S4_PS3_21rocsparse_index_base_b, .Lfunc_end70-_ZN9rocsparseL19gebsrmvn_4xn_kernelILj128ELj8ELj32EdEEvi20rocsparse_direction_NS_24const_host_device_scalarIT2_EEPKiS6_PKS3_S8_S4_PS3_21rocsparse_index_base_b
                                        ; -- End function
	.set _ZN9rocsparseL19gebsrmvn_4xn_kernelILj128ELj8ELj32EdEEvi20rocsparse_direction_NS_24const_host_device_scalarIT2_EEPKiS6_PKS3_S8_S4_PS3_21rocsparse_index_base_b.num_vgpr, 100
	.set _ZN9rocsparseL19gebsrmvn_4xn_kernelILj128ELj8ELj32EdEEvi20rocsparse_direction_NS_24const_host_device_scalarIT2_EEPKiS6_PKS3_S8_S4_PS3_21rocsparse_index_base_b.num_agpr, 0
	.set _ZN9rocsparseL19gebsrmvn_4xn_kernelILj128ELj8ELj32EdEEvi20rocsparse_direction_NS_24const_host_device_scalarIT2_EEPKiS6_PKS3_S8_S4_PS3_21rocsparse_index_base_b.numbered_sgpr, 14
	.set _ZN9rocsparseL19gebsrmvn_4xn_kernelILj128ELj8ELj32EdEEvi20rocsparse_direction_NS_24const_host_device_scalarIT2_EEPKiS6_PKS3_S8_S4_PS3_21rocsparse_index_base_b.num_named_barrier, 0
	.set _ZN9rocsparseL19gebsrmvn_4xn_kernelILj128ELj8ELj32EdEEvi20rocsparse_direction_NS_24const_host_device_scalarIT2_EEPKiS6_PKS3_S8_S4_PS3_21rocsparse_index_base_b.private_seg_size, 0
	.set _ZN9rocsparseL19gebsrmvn_4xn_kernelILj128ELj8ELj32EdEEvi20rocsparse_direction_NS_24const_host_device_scalarIT2_EEPKiS6_PKS3_S8_S4_PS3_21rocsparse_index_base_b.uses_vcc, 1
	.set _ZN9rocsparseL19gebsrmvn_4xn_kernelILj128ELj8ELj32EdEEvi20rocsparse_direction_NS_24const_host_device_scalarIT2_EEPKiS6_PKS3_S8_S4_PS3_21rocsparse_index_base_b.uses_flat_scratch, 0
	.set _ZN9rocsparseL19gebsrmvn_4xn_kernelILj128ELj8ELj32EdEEvi20rocsparse_direction_NS_24const_host_device_scalarIT2_EEPKiS6_PKS3_S8_S4_PS3_21rocsparse_index_base_b.has_dyn_sized_stack, 0
	.set _ZN9rocsparseL19gebsrmvn_4xn_kernelILj128ELj8ELj32EdEEvi20rocsparse_direction_NS_24const_host_device_scalarIT2_EEPKiS6_PKS3_S8_S4_PS3_21rocsparse_index_base_b.has_recursion, 0
	.set _ZN9rocsparseL19gebsrmvn_4xn_kernelILj128ELj8ELj32EdEEvi20rocsparse_direction_NS_24const_host_device_scalarIT2_EEPKiS6_PKS3_S8_S4_PS3_21rocsparse_index_base_b.has_indirect_call, 0
	.section	.AMDGPU.csdata,"",@progbits
; Kernel info:
; codeLenInByte = 2928
; TotalNumSgprs: 16
; NumVgprs: 100
; ScratchSize: 0
; MemoryBound: 1
; FloatMode: 240
; IeeeMode: 1
; LDSByteSize: 0 bytes/workgroup (compile time only)
; SGPRBlocks: 0
; VGPRBlocks: 12
; NumSGPRsForWavesPerEU: 16
; NumVGPRsForWavesPerEU: 100
; Occupancy: 12
; WaveLimiterHint : 1
; COMPUTE_PGM_RSRC2:SCRATCH_EN: 0
; COMPUTE_PGM_RSRC2:USER_SGPR: 2
; COMPUTE_PGM_RSRC2:TRAP_HANDLER: 0
; COMPUTE_PGM_RSRC2:TGID_X_EN: 1
; COMPUTE_PGM_RSRC2:TGID_Y_EN: 0
; COMPUTE_PGM_RSRC2:TGID_Z_EN: 0
; COMPUTE_PGM_RSRC2:TIDIG_COMP_CNT: 0
	.section	.text._ZN9rocsparseL19gebsrmvn_4xn_kernelILj128ELj8ELj64EdEEvi20rocsparse_direction_NS_24const_host_device_scalarIT2_EEPKiS6_PKS3_S8_S4_PS3_21rocsparse_index_base_b,"axG",@progbits,_ZN9rocsparseL19gebsrmvn_4xn_kernelILj128ELj8ELj64EdEEvi20rocsparse_direction_NS_24const_host_device_scalarIT2_EEPKiS6_PKS3_S8_S4_PS3_21rocsparse_index_base_b,comdat
	.globl	_ZN9rocsparseL19gebsrmvn_4xn_kernelILj128ELj8ELj64EdEEvi20rocsparse_direction_NS_24const_host_device_scalarIT2_EEPKiS6_PKS3_S8_S4_PS3_21rocsparse_index_base_b ; -- Begin function _ZN9rocsparseL19gebsrmvn_4xn_kernelILj128ELj8ELj64EdEEvi20rocsparse_direction_NS_24const_host_device_scalarIT2_EEPKiS6_PKS3_S8_S4_PS3_21rocsparse_index_base_b
	.p2align	8
	.type	_ZN9rocsparseL19gebsrmvn_4xn_kernelILj128ELj8ELj64EdEEvi20rocsparse_direction_NS_24const_host_device_scalarIT2_EEPKiS6_PKS3_S8_S4_PS3_21rocsparse_index_base_b,@function
_ZN9rocsparseL19gebsrmvn_4xn_kernelILj128ELj8ELj64EdEEvi20rocsparse_direction_NS_24const_host_device_scalarIT2_EEPKiS6_PKS3_S8_S4_PS3_21rocsparse_index_base_b: ; @_ZN9rocsparseL19gebsrmvn_4xn_kernelILj128ELj8ELj64EdEEvi20rocsparse_direction_NS_24const_host_device_scalarIT2_EEPKiS6_PKS3_S8_S4_PS3_21rocsparse_index_base_b
; %bb.0:
	s_clause 0x2
	s_load_b64 s[12:13], s[0:1], 0x40
	s_load_b64 s[4:5], s[0:1], 0x8
	;; [unrolled: 1-line block ×3, first 2 shown]
	s_wait_kmcnt 0x0
	s_bitcmp1_b32 s13, 0
	v_dual_mov_b32 v1, s4 :: v_dual_mov_b32 v2, s5
	s_cselect_b32 s6, -1, 0
	s_delay_alu instid0(SALU_CYCLE_1)
	s_and_b32 vcc_lo, exec_lo, s6
	s_xor_b32 s6, s6, -1
	s_cbranch_vccnz .LBB71_2
; %bb.1:
	v_dual_mov_b32 v1, s4 :: v_dual_mov_b32 v2, s5
	flat_load_b64 v[1:2], v[1:2]
.LBB71_2:
	v_dual_mov_b32 v4, s3 :: v_dual_mov_b32 v3, s2
	s_and_not1_b32 vcc_lo, exec_lo, s6
	s_cbranch_vccnz .LBB71_4
; %bb.3:
	v_dual_mov_b32 v4, s3 :: v_dual_mov_b32 v3, s2
	flat_load_b64 v[3:4], v[3:4]
.LBB71_4:
	s_wait_loadcnt_dscnt 0x0
	v_cmp_neq_f64_e32 vcc_lo, 0, v[1:2]
	v_cmp_neq_f64_e64 s2, 1.0, v[3:4]
	s_or_b32 s2, vcc_lo, s2
	s_wait_alu 0xfffe
	s_and_saveexec_b32 s3, s2
	s_cbranch_execz .LBB71_23
; %bb.5:
	s_load_b64 s[2:3], s[0:1], 0x0
	v_lshrrev_b32_e32 v5, 6, v0
	s_delay_alu instid0(VALU_DEP_1) | instskip(SKIP_1) | instid1(VALU_DEP_1)
	v_lshl_or_b32 v5, ttmp9, 1, v5
	s_wait_kmcnt 0x0
	v_cmp_gt_i32_e32 vcc_lo, s2, v5
	s_and_b32 exec_lo, exec_lo, vcc_lo
	s_cbranch_execz .LBB71_23
; %bb.6:
	s_load_b256 s[4:11], s[0:1], 0x10
	v_ashrrev_i32_e32 v6, 31, v5
	v_and_b32_e32 v0, 63, v0
	s_cmp_lg_u32 s3, 0
	s_delay_alu instid0(VALU_DEP_2) | instskip(SKIP_1) | instid1(VALU_DEP_1)
	v_lshlrev_b64_e32 v[6:7], 2, v[5:6]
	s_wait_kmcnt 0x0
	v_add_co_u32 v6, vcc_lo, s4, v6
	s_delay_alu instid0(VALU_DEP_1) | instskip(SKIP_4) | instid1(VALU_DEP_2)
	v_add_co_ci_u32_e64 v7, null, s5, v7, vcc_lo
	global_load_b64 v[6:7], v[6:7], off
	s_wait_loadcnt 0x0
	v_subrev_nc_u32_e32 v6, s12, v6
	v_subrev_nc_u32_e32 v19, s12, v7
	v_add_nc_u32_e32 v14, v6, v0
	s_delay_alu instid0(VALU_DEP_1)
	v_cmp_lt_i32_e64 s2, v14, v19
	s_cbranch_scc0 .LBB71_12
; %bb.7:
	v_mov_b32_e32 v6, 0
	v_dual_mov_b32 v10, 0 :: v_dual_mov_b32 v7, 0
	v_dual_mov_b32 v8, 0 :: v_dual_mov_b32 v11, 0
	;; [unrolled: 1-line block ×3, first 2 shown]
	v_mov_b32_e32 v13, 0
	s_and_saveexec_b32 s3, s2
	s_cbranch_execz .LBB71_11
; %bb.8:
	v_dual_mov_b32 v8, 0 :: v_dual_lshlrev_b32 v15, 5, v14
	v_dual_mov_b32 v6, 0 :: v_dual_mov_b32 v9, 0
	v_mov_b32_e32 v10, 0
	v_dual_mov_b32 v12, 0 :: v_dual_mov_b32 v17, v14
	v_dual_mov_b32 v7, 0 :: v_dual_mov_b32 v16, 0
	v_mov_b32_e32 v11, 0
	v_mov_b32_e32 v13, 0
	s_mov_b32 s4, 0
.LBB71_9:                               ; =>This Inner Loop Header: Depth=1
	v_ashrrev_i32_e32 v18, 31, v17
	s_delay_alu instid0(VALU_DEP_1) | instskip(SKIP_1) | instid1(VALU_DEP_2)
	v_lshlrev_b64_e32 v[20:21], 2, v[17:18]
	v_add_nc_u32_e32 v17, 64, v17
	v_add_co_u32 v20, vcc_lo, s6, v20
	s_wait_alu 0xfffd
	s_delay_alu instid0(VALU_DEP_3) | instskip(SKIP_3) | instid1(VALU_DEP_2)
	v_add_co_ci_u32_e64 v21, null, s7, v21, vcc_lo
	global_load_b32 v18, v[20:21], off
	v_lshlrev_b64_e32 v[20:21], 3, v[15:16]
	v_add_nc_u32_e32 v15, 0x800, v15
	v_add_co_u32 v96, vcc_lo, s8, v20
	s_wait_alu 0xfffd
	s_delay_alu instid0(VALU_DEP_3) | instskip(SKIP_3) | instid1(VALU_DEP_1)
	v_add_co_ci_u32_e64 v97, null, s9, v21, vcc_lo
	global_load_b128 v[20:23], v[96:97], off offset:16
	s_wait_loadcnt 0x1
	v_subrev_nc_u32_e32 v18, s12, v18
	v_dual_mov_b32 v25, v16 :: v_dual_lshlrev_b32 v24, 3, v18
	s_delay_alu instid0(VALU_DEP_1) | instskip(NEXT) | instid1(VALU_DEP_1)
	v_lshlrev_b64_e32 v[24:25], 3, v[24:25]
	v_add_co_u32 v88, vcc_lo, s10, v24
	s_wait_alu 0xfffd
	s_delay_alu instid0(VALU_DEP_2)
	v_add_co_ci_u32_e64 v89, null, s11, v25, vcc_lo
	v_cmp_ge_i32_e32 vcc_lo, v17, v19
	global_load_b128 v[24:27], v[96:97], off
	global_load_b128 v[28:31], v[88:89], off
	s_clause 0x3
	global_load_b128 v[32:35], v[96:97], off offset:32
	global_load_b128 v[36:39], v[96:97], off offset:48
	global_load_b128 v[40:43], v[96:97], off offset:64
	global_load_b128 v[44:47], v[96:97], off offset:80
	global_load_b128 v[48:51], v[88:89], off offset:16
	s_clause 0x3
	global_load_b128 v[52:55], v[96:97], off offset:96
	global_load_b128 v[56:59], v[96:97], off offset:112
	global_load_b128 v[60:63], v[96:97], off offset:144
	global_load_b128 v[64:67], v[96:97], off offset:128
	global_load_b128 v[68:71], v[88:89], off offset:32
	;; [unrolled: 6-line block ×3, first 2 shown]
	s_clause 0x1
	global_load_b128 v[92:95], v[96:97], off offset:224
	global_load_b128 v[96:99], v[96:97], off offset:240
	s_wait_alu 0xfffe
	s_or_b32 s4, vcc_lo, s4
	s_wait_loadcnt 0x11
	v_fma_f64 v[6:7], v[24:25], v[28:29], v[6:7]
	v_fma_f64 v[12:13], v[26:27], v[28:29], v[12:13]
	;; [unrolled: 1-line block ×4, first 2 shown]
	s_wait_loadcnt 0x10
	s_delay_alu instid0(VALU_DEP_4) | instskip(NEXT) | instid1(VALU_DEP_4)
	v_fma_f64 v[6:7], v[32:33], v[30:31], v[6:7]
	v_fma_f64 v[12:13], v[34:35], v[30:31], v[12:13]
	s_wait_loadcnt 0xf
	s_delay_alu instid0(VALU_DEP_4) | instskip(NEXT) | instid1(VALU_DEP_4)
	v_fma_f64 v[10:11], v[36:37], v[30:31], v[10:11]
	v_fma_f64 v[8:9], v[38:39], v[30:31], v[8:9]
	s_wait_loadcnt 0xc
	s_delay_alu instid0(VALU_DEP_4) | instskip(NEXT) | instid1(VALU_DEP_4)
	v_fma_f64 v[6:7], v[40:41], v[48:49], v[6:7]
	v_fma_f64 v[12:13], v[42:43], v[48:49], v[12:13]
	s_delay_alu instid0(VALU_DEP_4) | instskip(NEXT) | instid1(VALU_DEP_4)
	v_fma_f64 v[10:11], v[44:45], v[48:49], v[10:11]
	v_fma_f64 v[8:9], v[46:47], v[48:49], v[8:9]
	s_wait_loadcnt 0xb
	s_delay_alu instid0(VALU_DEP_4) | instskip(NEXT) | instid1(VALU_DEP_4)
	v_fma_f64 v[6:7], v[52:53], v[50:51], v[6:7]
	v_fma_f64 v[12:13], v[54:55], v[50:51], v[12:13]
	s_wait_loadcnt 0xa
	s_delay_alu instid0(VALU_DEP_4) | instskip(NEXT) | instid1(VALU_DEP_4)
	v_fma_f64 v[10:11], v[56:57], v[50:51], v[10:11]
	v_fma_f64 v[8:9], v[58:59], v[50:51], v[8:9]
	s_wait_loadcnt 0x7
	s_delay_alu instid0(VALU_DEP_4) | instskip(NEXT) | instid1(VALU_DEP_4)
	v_fma_f64 v[6:7], v[64:65], v[68:69], v[6:7]
	v_fma_f64 v[12:13], v[66:67], v[68:69], v[12:13]
	s_delay_alu instid0(VALU_DEP_4) | instskip(NEXT) | instid1(VALU_DEP_4)
	v_fma_f64 v[10:11], v[60:61], v[68:69], v[10:11]
	v_fma_f64 v[8:9], v[62:63], v[68:69], v[8:9]
	;; [unrolled: 15-line block ×3, first 2 shown]
	s_wait_loadcnt 0x1
	s_delay_alu instid0(VALU_DEP_4) | instskip(NEXT) | instid1(VALU_DEP_4)
	v_fma_f64 v[6:7], v[92:93], v[90:91], v[6:7]
	v_fma_f64 v[12:13], v[94:95], v[90:91], v[12:13]
	s_wait_loadcnt 0x0
	s_delay_alu instid0(VALU_DEP_4) | instskip(NEXT) | instid1(VALU_DEP_4)
	v_fma_f64 v[10:11], v[96:97], v[90:91], v[10:11]
	v_fma_f64 v[8:9], v[98:99], v[90:91], v[8:9]
	s_wait_alu 0xfffe
	s_and_not1_b32 exec_lo, exec_lo, s4
	s_cbranch_execnz .LBB71_9
; %bb.10:
	s_or_b32 exec_lo, exec_lo, s4
.LBB71_11:
	s_wait_alu 0xfffe
	s_or_b32 exec_lo, exec_lo, s3
	s_cbranch_execz .LBB71_13
	s_branch .LBB71_18
.LBB71_12:
                                        ; implicit-def: $vgpr6_vgpr7
                                        ; implicit-def: $vgpr8_vgpr9
                                        ; implicit-def: $vgpr10_vgpr11
                                        ; implicit-def: $vgpr12_vgpr13
.LBB71_13:
	v_mov_b32_e32 v6, 0
	v_dual_mov_b32 v10, 0 :: v_dual_mov_b32 v7, 0
	v_dual_mov_b32 v8, 0 :: v_dual_mov_b32 v11, 0
	v_dual_mov_b32 v12, 0 :: v_dual_mov_b32 v9, 0
	v_mov_b32_e32 v13, 0
	s_and_saveexec_b32 s3, s2
	s_cbranch_execz .LBB71_17
; %bb.14:
	v_mov_b32_e32 v6, 0
	v_mov_b32_e32 v8, 0
	v_mov_b32_e32 v10, 0
	v_dual_mov_b32 v12, 0 :: v_dual_mov_b32 v17, 0
	v_dual_mov_b32 v7, 0 :: v_dual_lshlrev_b32 v16, 5, v14
	v_mov_b32_e32 v9, 0
	v_mov_b32_e32 v11, 0
	;; [unrolled: 1-line block ×3, first 2 shown]
	s_mov_b32 s2, 0
.LBB71_15:                              ; =>This Inner Loop Header: Depth=1
	v_ashrrev_i32_e32 v15, 31, v14
	s_delay_alu instid0(VALU_DEP_1) | instskip(SKIP_1) | instid1(VALU_DEP_2)
	v_lshlrev_b64_e32 v[20:21], 2, v[14:15]
	v_add_nc_u32_e32 v14, 64, v14
	v_add_co_u32 v20, vcc_lo, s6, v20
	s_wait_alu 0xfffd
	s_delay_alu instid0(VALU_DEP_3) | instskip(SKIP_3) | instid1(VALU_DEP_2)
	v_add_co_ci_u32_e64 v21, null, s7, v21, vcc_lo
	global_load_b32 v15, v[20:21], off
	v_lshlrev_b64_e32 v[20:21], 3, v[16:17]
	v_add_nc_u32_e32 v16, 0x800, v16
	v_add_co_u32 v92, vcc_lo, s8, v20
	s_wait_alu 0xfffd
	s_delay_alu instid0(VALU_DEP_3)
	v_add_co_ci_u32_e64 v93, null, s9, v21, vcc_lo
	s_clause 0x3
	global_load_b128 v[20:23], v[92:93], off
	global_load_b128 v[24:27], v[92:93], off offset:64
	global_load_b128 v[28:31], v[92:93], off offset:128
	;; [unrolled: 1-line block ×3, first 2 shown]
	s_wait_loadcnt 0x4
	v_subrev_nc_u32_e32 v15, s12, v15
	s_delay_alu instid0(VALU_DEP_1) | instskip(NEXT) | instid1(VALU_DEP_1)
	v_dual_mov_b32 v37, v17 :: v_dual_lshlrev_b32 v36, 3, v15
	v_lshlrev_b64_e32 v[36:37], 3, v[36:37]
	s_delay_alu instid0(VALU_DEP_1) | instskip(SKIP_1) | instid1(VALU_DEP_2)
	v_add_co_u32 v96, vcc_lo, s10, v36
	s_wait_alu 0xfffd
	v_add_co_ci_u32_e64 v97, null, s11, v37, vcc_lo
	v_cmp_ge_i32_e32 vcc_lo, v14, v19
	global_load_b128 v[36:39], v[96:97], off
	s_clause 0x3
	global_load_b128 v[40:43], v[92:93], off offset:16
	global_load_b128 v[44:47], v[92:93], off offset:80
	;; [unrolled: 1-line block ×5, first 2 shown]
	s_clause 0x5
	global_load_b128 v[60:63], v[92:93], off offset:48
	global_load_b128 v[64:67], v[92:93], off offset:32
	;; [unrolled: 1-line block ×7, first 2 shown]
	s_clause 0x1
	global_load_b128 v[88:91], v[92:93], off offset:176
	global_load_b128 v[92:95], v[92:93], off offset:240
	s_wait_alu 0xfffe
	s_or_b32 s2, vcc_lo, s2
	s_wait_loadcnt 0xe
	v_fma_f64 v[6:7], v[20:21], v[36:37], v[6:7]
	v_fma_f64 v[12:13], v[24:25], v[36:37], v[12:13]
	;; [unrolled: 1-line block ×4, first 2 shown]
	s_delay_alu instid0(VALU_DEP_4)
	v_fma_f64 v[6:7], v[22:23], v[38:39], v[6:7]
	global_load_b128 v[20:23], v[96:97], off offset:48
	v_fma_f64 v[12:13], v[26:27], v[38:39], v[12:13]
	v_fma_f64 v[10:11], v[30:31], v[38:39], v[10:11]
	;; [unrolled: 1-line block ×3, first 2 shown]
	s_wait_loadcnt 0xa
	v_fma_f64 v[6:7], v[40:41], v[56:57], v[6:7]
	s_delay_alu instid0(VALU_DEP_4) | instskip(NEXT) | instid1(VALU_DEP_4)
	v_fma_f64 v[12:13], v[44:45], v[56:57], v[12:13]
	v_fma_f64 v[10:11], v[48:49], v[56:57], v[10:11]
	s_delay_alu instid0(VALU_DEP_4) | instskip(NEXT) | instid1(VALU_DEP_4)
	v_fma_f64 v[8:9], v[52:53], v[56:57], v[8:9]
	;; [unrolled: 3-line block ×3, first 2 shown]
	v_fma_f64 v[10:11], v[50:51], v[58:59], v[10:11]
	s_delay_alu instid0(VALU_DEP_4) | instskip(SKIP_1) | instid1(VALU_DEP_4)
	v_fma_f64 v[8:9], v[54:55], v[58:59], v[8:9]
	s_wait_loadcnt 0x3
	v_fma_f64 v[6:7], v[64:65], v[84:85], v[6:7]
	s_delay_alu instid0(VALU_DEP_4) | instskip(NEXT) | instid1(VALU_DEP_4)
	v_fma_f64 v[12:13], v[72:73], v[84:85], v[12:13]
	v_fma_f64 v[10:11], v[76:77], v[84:85], v[10:11]
	s_delay_alu instid0(VALU_DEP_4) | instskip(NEXT) | instid1(VALU_DEP_4)
	v_fma_f64 v[8:9], v[80:81], v[84:85], v[8:9]
	;; [unrolled: 3-line block ×3, first 2 shown]
	v_fma_f64 v[10:11], v[78:79], v[86:87], v[10:11]
	s_delay_alu instid0(VALU_DEP_4) | instskip(SKIP_1) | instid1(VALU_DEP_4)
	v_fma_f64 v[8:9], v[82:83], v[86:87], v[8:9]
	s_wait_loadcnt 0x0
	v_fma_f64 v[6:7], v[60:61], v[20:21], v[6:7]
	s_delay_alu instid0(VALU_DEP_4) | instskip(NEXT) | instid1(VALU_DEP_4)
	v_fma_f64 v[12:13], v[68:69], v[20:21], v[12:13]
	v_fma_f64 v[10:11], v[88:89], v[20:21], v[10:11]
	s_delay_alu instid0(VALU_DEP_4) | instskip(NEXT) | instid1(VALU_DEP_4)
	v_fma_f64 v[8:9], v[92:93], v[20:21], v[8:9]
	v_fma_f64 v[6:7], v[62:63], v[22:23], v[6:7]
	s_delay_alu instid0(VALU_DEP_4) | instskip(NEXT) | instid1(VALU_DEP_4)
	v_fma_f64 v[12:13], v[70:71], v[22:23], v[12:13]
	v_fma_f64 v[10:11], v[90:91], v[22:23], v[10:11]
	s_delay_alu instid0(VALU_DEP_4)
	v_fma_f64 v[8:9], v[94:95], v[22:23], v[8:9]
	s_wait_alu 0xfffe
	s_and_not1_b32 exec_lo, exec_lo, s2
	s_cbranch_execnz .LBB71_15
; %bb.16:
	s_or_b32 exec_lo, exec_lo, s2
.LBB71_17:
	s_wait_alu 0xfffe
	s_or_b32 exec_lo, exec_lo, s3
.LBB71_18:
	v_mbcnt_lo_u32_b32 v24, -1, 0
	s_delay_alu instid0(VALU_DEP_1) | instskip(NEXT) | instid1(VALU_DEP_1)
	v_or_b32_e32 v14, 32, v24
	v_cmp_gt_i32_e32 vcc_lo, 32, v14
	s_wait_alu 0xfffd
	v_cndmask_b32_e32 v14, v24, v14, vcc_lo
	s_delay_alu instid0(VALU_DEP_1)
	v_lshlrev_b32_e32 v21, 2, v14
	ds_bpermute_b32 v14, v21, v6
	ds_bpermute_b32 v15, v21, v7
	ds_bpermute_b32 v16, v21, v12
	ds_bpermute_b32 v17, v21, v13
	ds_bpermute_b32 v18, v21, v10
	ds_bpermute_b32 v19, v21, v11
	ds_bpermute_b32 v20, v21, v8
	ds_bpermute_b32 v21, v21, v9
	s_wait_dscnt 0x6
	v_add_f64_e32 v[6:7], v[6:7], v[14:15]
	v_xor_b32_e32 v14, 16, v24
	s_wait_dscnt 0x4
	v_add_f64_e32 v[12:13], v[12:13], v[16:17]
	s_wait_dscnt 0x2
	v_add_f64_e32 v[10:11], v[10:11], v[18:19]
	s_wait_dscnt 0x0
	v_add_f64_e32 v[8:9], v[8:9], v[20:21]
	v_cmp_gt_i32_e32 vcc_lo, 32, v14
	s_wait_alu 0xfffd
	v_cndmask_b32_e32 v14, v24, v14, vcc_lo
	s_delay_alu instid0(VALU_DEP_1)
	v_lshlrev_b32_e32 v21, 2, v14
	ds_bpermute_b32 v14, v21, v6
	ds_bpermute_b32 v15, v21, v7
	ds_bpermute_b32 v16, v21, v12
	ds_bpermute_b32 v17, v21, v13
	ds_bpermute_b32 v18, v21, v10
	ds_bpermute_b32 v19, v21, v11
	ds_bpermute_b32 v20, v21, v8
	ds_bpermute_b32 v21, v21, v9
	s_wait_dscnt 0x6
	v_add_f64_e32 v[6:7], v[6:7], v[14:15]
	v_xor_b32_e32 v14, 8, v24
	s_wait_dscnt 0x4
	v_add_f64_e32 v[12:13], v[12:13], v[16:17]
	s_wait_dscnt 0x2
	v_add_f64_e32 v[10:11], v[10:11], v[18:19]
	s_wait_dscnt 0x0
	v_add_f64_e32 v[8:9], v[8:9], v[20:21]
	v_cmp_gt_i32_e32 vcc_lo, 32, v14
	s_wait_alu 0xfffd
	v_cndmask_b32_e32 v14, v24, v14, vcc_lo
	s_delay_alu instid0(VALU_DEP_1)
	v_lshlrev_b32_e32 v21, 2, v14
	ds_bpermute_b32 v14, v21, v6
	ds_bpermute_b32 v15, v21, v7
	ds_bpermute_b32 v16, v21, v12
	ds_bpermute_b32 v17, v21, v13
	ds_bpermute_b32 v18, v21, v10
	ds_bpermute_b32 v19, v21, v11
	ds_bpermute_b32 v20, v21, v8
	ds_bpermute_b32 v21, v21, v9
	s_wait_dscnt 0x6
	v_add_f64_e32 v[6:7], v[6:7], v[14:15]
	v_xor_b32_e32 v14, 4, v24
	s_wait_dscnt 0x4
	v_add_f64_e32 v[12:13], v[12:13], v[16:17]
	s_wait_dscnt 0x2
	v_add_f64_e32 v[10:11], v[10:11], v[18:19]
	s_wait_dscnt 0x0
	v_add_f64_e32 v[8:9], v[8:9], v[20:21]
	v_cmp_gt_i32_e32 vcc_lo, 32, v14
	s_wait_alu 0xfffd
	v_cndmask_b32_e32 v14, v24, v14, vcc_lo
	s_delay_alu instid0(VALU_DEP_1)
	v_lshlrev_b32_e32 v21, 2, v14
	ds_bpermute_b32 v14, v21, v6
	ds_bpermute_b32 v15, v21, v7
	;; [unrolled: 1-line block ×8, first 2 shown]
	s_wait_dscnt 0x6
	v_add_f64_e32 v[6:7], v[6:7], v[14:15]
	s_wait_dscnt 0x4
	v_add_f64_e32 v[14:15], v[12:13], v[16:17]
	s_wait_dscnt 0x2
	v_add_f64_e32 v[16:17], v[10:11], v[18:19]
	v_xor_b32_e32 v10, 2, v24
	s_wait_dscnt 0x0
	v_add_f64_e32 v[8:9], v[8:9], v[20:21]
	s_delay_alu instid0(VALU_DEP_2) | instskip(SKIP_2) | instid1(VALU_DEP_1)
	v_cmp_gt_i32_e32 vcc_lo, 32, v10
	s_wait_alu 0xfffd
	v_cndmask_b32_e32 v10, v24, v10, vcc_lo
	v_lshlrev_b32_e32 v12, 2, v10
	ds_bpermute_b32 v10, v12, v6
	ds_bpermute_b32 v11, v12, v7
	;; [unrolled: 1-line block ×8, first 2 shown]
	s_wait_dscnt 0x6
	v_add_f64_e32 v[12:13], v[6:7], v[10:11]
	s_wait_dscnt 0x4
	v_add_f64_e32 v[10:11], v[14:15], v[18:19]
	v_xor_b32_e32 v14, 1, v24
	s_wait_dscnt 0x2
	v_add_f64_e32 v[6:7], v[16:17], v[20:21]
	s_wait_dscnt 0x0
	v_add_f64_e32 v[8:9], v[8:9], v[22:23]
	v_cmp_gt_i32_e32 vcc_lo, 32, v14
	s_wait_alu 0xfffd
	v_cndmask_b32_e32 v14, v24, v14, vcc_lo
	v_cmp_eq_u32_e32 vcc_lo, 63, v0
	s_delay_alu instid0(VALU_DEP_2)
	v_lshlrev_b32_e32 v15, 2, v14
	ds_bpermute_b32 v20, v15, v12
	ds_bpermute_b32 v21, v15, v13
	;; [unrolled: 1-line block ×8, first 2 shown]
	s_and_b32 exec_lo, exec_lo, vcc_lo
	s_cbranch_execz .LBB71_23
; %bb.19:
	s_wait_dscnt 0x6
	v_add_f64_e32 v[12:13], v[12:13], v[20:21]
	s_wait_dscnt 0x4
	v_add_f64_e32 v[10:11], v[10:11], v[18:19]
	;; [unrolled: 2-line block ×4, first 2 shown]
	s_load_b64 s[0:1], s[0:1], 0x38
	s_mov_b32 s2, exec_lo
	v_cmpx_eq_f64_e32 0, v[3:4]
	s_wait_alu 0xfffe
	s_xor_b32 s2, exec_lo, s2
	s_cbranch_execz .LBB71_21
; %bb.20:
	v_mul_f64_e32 v[12:13], v[1:2], v[12:13]
	v_mul_f64_e32 v[14:15], v[1:2], v[10:11]
	;; [unrolled: 1-line block ×4, first 2 shown]
	v_lshlrev_b32_e32 v0, 2, v5
                                        ; implicit-def: $vgpr5
                                        ; implicit-def: $vgpr3_vgpr4
                                        ; implicit-def: $vgpr10_vgpr11
	s_delay_alu instid0(VALU_DEP_1) | instskip(NEXT) | instid1(VALU_DEP_1)
	v_ashrrev_i32_e32 v1, 31, v0
	v_lshlrev_b64_e32 v[0:1], 3, v[0:1]
	s_wait_kmcnt 0x0
	s_delay_alu instid0(VALU_DEP_1) | instskip(SKIP_1) | instid1(VALU_DEP_2)
	v_add_co_u32 v0, vcc_lo, s0, v0
	s_wait_alu 0xfffd
	v_add_co_ci_u32_e64 v1, null, s1, v1, vcc_lo
	s_clause 0x1
	global_store_b128 v[0:1], v[12:15], off
	global_store_b128 v[0:1], v[6:9], off offset:16
                                        ; implicit-def: $vgpr1_vgpr2
                                        ; implicit-def: $vgpr12_vgpr13
                                        ; implicit-def: $vgpr6_vgpr7
                                        ; implicit-def: $vgpr8_vgpr9
.LBB71_21:
	s_wait_alu 0xfffe
	s_and_not1_saveexec_b32 s2, s2
	s_cbranch_execz .LBB71_23
; %bb.22:
	v_lshlrev_b32_e32 v14, 2, v5
	v_mul_f64_e32 v[12:13], v[1:2], v[12:13]
	v_mul_f64_e32 v[10:11], v[1:2], v[10:11]
	;; [unrolled: 1-line block ×4, first 2 shown]
	v_ashrrev_i32_e32 v15, 31, v14
	s_delay_alu instid0(VALU_DEP_1) | instskip(SKIP_1) | instid1(VALU_DEP_1)
	v_lshlrev_b64_e32 v[14:15], 3, v[14:15]
	s_wait_kmcnt 0x0
	v_add_co_u32 v22, vcc_lo, s0, v14
	s_wait_alu 0xfffd
	s_delay_alu instid0(VALU_DEP_2)
	v_add_co_ci_u32_e64 v23, null, s1, v15, vcc_lo
	s_clause 0x1
	global_load_b128 v[14:17], v[22:23], off
	global_load_b128 v[18:21], v[22:23], off offset:16
	s_wait_loadcnt 0x1
	v_fma_f64 v[5:6], v[3:4], v[14:15], v[12:13]
	v_fma_f64 v[7:8], v[3:4], v[16:17], v[10:11]
	s_wait_loadcnt 0x0
	v_fma_f64 v[0:1], v[3:4], v[18:19], v[24:25]
	v_fma_f64 v[2:3], v[3:4], v[20:21], v[26:27]
	s_clause 0x1
	global_store_b128 v[22:23], v[5:8], off
	global_store_b128 v[22:23], v[0:3], off offset:16
.LBB71_23:
	s_nop 0
	s_sendmsg sendmsg(MSG_DEALLOC_VGPRS)
	s_endpgm
	.section	.rodata,"a",@progbits
	.p2align	6, 0x0
	.amdhsa_kernel _ZN9rocsparseL19gebsrmvn_4xn_kernelILj128ELj8ELj64EdEEvi20rocsparse_direction_NS_24const_host_device_scalarIT2_EEPKiS6_PKS3_S8_S4_PS3_21rocsparse_index_base_b
		.amdhsa_group_segment_fixed_size 0
		.amdhsa_private_segment_fixed_size 0
		.amdhsa_kernarg_size 72
		.amdhsa_user_sgpr_count 2
		.amdhsa_user_sgpr_dispatch_ptr 0
		.amdhsa_user_sgpr_queue_ptr 0
		.amdhsa_user_sgpr_kernarg_segment_ptr 1
		.amdhsa_user_sgpr_dispatch_id 0
		.amdhsa_user_sgpr_private_segment_size 0
		.amdhsa_wavefront_size32 1
		.amdhsa_uses_dynamic_stack 0
		.amdhsa_enable_private_segment 0
		.amdhsa_system_sgpr_workgroup_id_x 1
		.amdhsa_system_sgpr_workgroup_id_y 0
		.amdhsa_system_sgpr_workgroup_id_z 0
		.amdhsa_system_sgpr_workgroup_info 0
		.amdhsa_system_vgpr_workitem_id 0
		.amdhsa_next_free_vgpr 100
		.amdhsa_next_free_sgpr 14
		.amdhsa_reserve_vcc 1
		.amdhsa_float_round_mode_32 0
		.amdhsa_float_round_mode_16_64 0
		.amdhsa_float_denorm_mode_32 3
		.amdhsa_float_denorm_mode_16_64 3
		.amdhsa_fp16_overflow 0
		.amdhsa_workgroup_processor_mode 1
		.amdhsa_memory_ordered 1
		.amdhsa_forward_progress 1
		.amdhsa_inst_pref_size 24
		.amdhsa_round_robin_scheduling 0
		.amdhsa_exception_fp_ieee_invalid_op 0
		.amdhsa_exception_fp_denorm_src 0
		.amdhsa_exception_fp_ieee_div_zero 0
		.amdhsa_exception_fp_ieee_overflow 0
		.amdhsa_exception_fp_ieee_underflow 0
		.amdhsa_exception_fp_ieee_inexact 0
		.amdhsa_exception_int_div_zero 0
	.end_amdhsa_kernel
	.section	.text._ZN9rocsparseL19gebsrmvn_4xn_kernelILj128ELj8ELj64EdEEvi20rocsparse_direction_NS_24const_host_device_scalarIT2_EEPKiS6_PKS3_S8_S4_PS3_21rocsparse_index_base_b,"axG",@progbits,_ZN9rocsparseL19gebsrmvn_4xn_kernelILj128ELj8ELj64EdEEvi20rocsparse_direction_NS_24const_host_device_scalarIT2_EEPKiS6_PKS3_S8_S4_PS3_21rocsparse_index_base_b,comdat
.Lfunc_end71:
	.size	_ZN9rocsparseL19gebsrmvn_4xn_kernelILj128ELj8ELj64EdEEvi20rocsparse_direction_NS_24const_host_device_scalarIT2_EEPKiS6_PKS3_S8_S4_PS3_21rocsparse_index_base_b, .Lfunc_end71-_ZN9rocsparseL19gebsrmvn_4xn_kernelILj128ELj8ELj64EdEEvi20rocsparse_direction_NS_24const_host_device_scalarIT2_EEPKiS6_PKS3_S8_S4_PS3_21rocsparse_index_base_b
                                        ; -- End function
	.set _ZN9rocsparseL19gebsrmvn_4xn_kernelILj128ELj8ELj64EdEEvi20rocsparse_direction_NS_24const_host_device_scalarIT2_EEPKiS6_PKS3_S8_S4_PS3_21rocsparse_index_base_b.num_vgpr, 100
	.set _ZN9rocsparseL19gebsrmvn_4xn_kernelILj128ELj8ELj64EdEEvi20rocsparse_direction_NS_24const_host_device_scalarIT2_EEPKiS6_PKS3_S8_S4_PS3_21rocsparse_index_base_b.num_agpr, 0
	.set _ZN9rocsparseL19gebsrmvn_4xn_kernelILj128ELj8ELj64EdEEvi20rocsparse_direction_NS_24const_host_device_scalarIT2_EEPKiS6_PKS3_S8_S4_PS3_21rocsparse_index_base_b.numbered_sgpr, 14
	.set _ZN9rocsparseL19gebsrmvn_4xn_kernelILj128ELj8ELj64EdEEvi20rocsparse_direction_NS_24const_host_device_scalarIT2_EEPKiS6_PKS3_S8_S4_PS3_21rocsparse_index_base_b.num_named_barrier, 0
	.set _ZN9rocsparseL19gebsrmvn_4xn_kernelILj128ELj8ELj64EdEEvi20rocsparse_direction_NS_24const_host_device_scalarIT2_EEPKiS6_PKS3_S8_S4_PS3_21rocsparse_index_base_b.private_seg_size, 0
	.set _ZN9rocsparseL19gebsrmvn_4xn_kernelILj128ELj8ELj64EdEEvi20rocsparse_direction_NS_24const_host_device_scalarIT2_EEPKiS6_PKS3_S8_S4_PS3_21rocsparse_index_base_b.uses_vcc, 1
	.set _ZN9rocsparseL19gebsrmvn_4xn_kernelILj128ELj8ELj64EdEEvi20rocsparse_direction_NS_24const_host_device_scalarIT2_EEPKiS6_PKS3_S8_S4_PS3_21rocsparse_index_base_b.uses_flat_scratch, 0
	.set _ZN9rocsparseL19gebsrmvn_4xn_kernelILj128ELj8ELj64EdEEvi20rocsparse_direction_NS_24const_host_device_scalarIT2_EEPKiS6_PKS3_S8_S4_PS3_21rocsparse_index_base_b.has_dyn_sized_stack, 0
	.set _ZN9rocsparseL19gebsrmvn_4xn_kernelILj128ELj8ELj64EdEEvi20rocsparse_direction_NS_24const_host_device_scalarIT2_EEPKiS6_PKS3_S8_S4_PS3_21rocsparse_index_base_b.has_recursion, 0
	.set _ZN9rocsparseL19gebsrmvn_4xn_kernelILj128ELj8ELj64EdEEvi20rocsparse_direction_NS_24const_host_device_scalarIT2_EEPKiS6_PKS3_S8_S4_PS3_21rocsparse_index_base_b.has_indirect_call, 0
	.section	.AMDGPU.csdata,"",@progbits
; Kernel info:
; codeLenInByte = 3048
; TotalNumSgprs: 16
; NumVgprs: 100
; ScratchSize: 0
; MemoryBound: 1
; FloatMode: 240
; IeeeMode: 1
; LDSByteSize: 0 bytes/workgroup (compile time only)
; SGPRBlocks: 0
; VGPRBlocks: 12
; NumSGPRsForWavesPerEU: 16
; NumVGPRsForWavesPerEU: 100
; Occupancy: 12
; WaveLimiterHint : 1
; COMPUTE_PGM_RSRC2:SCRATCH_EN: 0
; COMPUTE_PGM_RSRC2:USER_SGPR: 2
; COMPUTE_PGM_RSRC2:TRAP_HANDLER: 0
; COMPUTE_PGM_RSRC2:TGID_X_EN: 1
; COMPUTE_PGM_RSRC2:TGID_Y_EN: 0
; COMPUTE_PGM_RSRC2:TGID_Z_EN: 0
; COMPUTE_PGM_RSRC2:TIDIG_COMP_CNT: 0
	.section	.text._ZN9rocsparseL23gebsrmvn_general_kernelILj64ELj16EdEEvi20rocsparse_direction_NS_24const_host_device_scalarIT1_EEPKiS6_PKS3_iiS8_S4_PS3_21rocsparse_index_base_b,"axG",@progbits,_ZN9rocsparseL23gebsrmvn_general_kernelILj64ELj16EdEEvi20rocsparse_direction_NS_24const_host_device_scalarIT1_EEPKiS6_PKS3_iiS8_S4_PS3_21rocsparse_index_base_b,comdat
	.globl	_ZN9rocsparseL23gebsrmvn_general_kernelILj64ELj16EdEEvi20rocsparse_direction_NS_24const_host_device_scalarIT1_EEPKiS6_PKS3_iiS8_S4_PS3_21rocsparse_index_base_b ; -- Begin function _ZN9rocsparseL23gebsrmvn_general_kernelILj64ELj16EdEEvi20rocsparse_direction_NS_24const_host_device_scalarIT1_EEPKiS6_PKS3_iiS8_S4_PS3_21rocsparse_index_base_b
	.p2align	8
	.type	_ZN9rocsparseL23gebsrmvn_general_kernelILj64ELj16EdEEvi20rocsparse_direction_NS_24const_host_device_scalarIT1_EEPKiS6_PKS3_iiS8_S4_PS3_21rocsparse_index_base_b,@function
_ZN9rocsparseL23gebsrmvn_general_kernelILj64ELj16EdEEvi20rocsparse_direction_NS_24const_host_device_scalarIT1_EEPKiS6_PKS3_iiS8_S4_PS3_21rocsparse_index_base_b: ; @_ZN9rocsparseL23gebsrmvn_general_kernelILj64ELj16EdEEvi20rocsparse_direction_NS_24const_host_device_scalarIT1_EEPKiS6_PKS3_iiS8_S4_PS3_21rocsparse_index_base_b
; %bb.0:
	s_clause 0x2
	s_load_b64 s[8:9], s[0:1], 0x48
	s_load_b64 s[4:5], s[0:1], 0x8
	;; [unrolled: 1-line block ×3, first 2 shown]
	s_wait_kmcnt 0x0
	s_bitcmp1_b32 s9, 0
	v_dual_mov_b32 v1, s4 :: v_dual_mov_b32 v2, s5
	s_cselect_b32 s6, -1, 0
	s_delay_alu instid0(SALU_CYCLE_1)
	s_and_b32 vcc_lo, exec_lo, s6
	s_xor_b32 s6, s6, -1
	s_cbranch_vccnz .LBB72_2
; %bb.1:
	v_dual_mov_b32 v1, s4 :: v_dual_mov_b32 v2, s5
	flat_load_b64 v[1:2], v[1:2]
.LBB72_2:
	v_dual_mov_b32 v4, s3 :: v_dual_mov_b32 v3, s2
	s_and_not1_b32 vcc_lo, exec_lo, s6
	s_cbranch_vccnz .LBB72_4
; %bb.3:
	v_dual_mov_b32 v4, s3 :: v_dual_mov_b32 v3, s2
	flat_load_b64 v[3:4], v[3:4]
.LBB72_4:
	s_wait_loadcnt_dscnt 0x0
	v_cmp_neq_f64_e32 vcc_lo, 0, v[1:2]
	v_cmp_neq_f64_e64 s2, 1.0, v[3:4]
	s_or_b32 s2, vcc_lo, s2
	s_wait_alu 0xfffe
	s_and_saveexec_b32 s3, s2
	s_cbranch_execz .LBB72_24
; %bb.5:
	s_load_b64 s[10:11], s[0:1], 0x28
	v_lshrrev_b32_e32 v5, 4, v0
	s_wait_kmcnt 0x0
	s_delay_alu instid0(VALU_DEP_1)
	v_cmp_gt_i32_e32 vcc_lo, s10, v5
	s_and_b32 exec_lo, exec_lo, vcc_lo
	s_cbranch_execz .LBB72_24
; %bb.6:
	s_clause 0x1
	s_load_b128 s[4:7], s[0:1], 0x10
	s_load_b32 s20, s[0:1], 0x4
	s_mov_b32 s2, ttmp9
	s_ashr_i32 s3, ttmp9, 31
	v_mbcnt_lo_u32_b32 v8, -1, 0
	s_wait_alu 0xfffe
	s_lshl_b64 s[2:3], s[2:3], 2
	s_mul_i32 s21, s10, ttmp9
	s_mul_i32 s23, s11, s10
	v_xor_b32_e32 v6, 8, v8
	v_xor_b32_e32 v7, 4, v8
	;; [unrolled: 1-line block ×4, first 2 shown]
	s_delay_alu instid0(VALU_DEP_4)
	v_cmp_gt_i32_e32 vcc_lo, 32, v6
	v_dual_cndmask_b32 v11, v8, v6 :: v_dual_and_b32 v0, 15, v0
	s_wait_kmcnt 0x0
	s_wait_alu 0xfffe
	s_add_nc_u64 s[2:3], s[4:5], s[2:3]
	v_cmp_gt_i32_e32 vcc_lo, 32, v7
	s_load_b64 s[16:17], s[2:3], 0x0
	v_cmp_eq_f64_e64 s2, 0, v[3:4]
	s_clause 0x2
	s_load_b64 s[4:5], s[0:1], 0x20
	s_load_b64 s[12:13], s[0:1], 0x30
	;; [unrolled: 1-line block ×3, first 2 shown]
	v_cmp_gt_i32_e64 s0, s11, v0
	v_cndmask_b32_e32 v12, v8, v7, vcc_lo
	v_cmp_gt_i32_e32 vcc_lo, 32, v9
	v_cmp_eq_u32_e64 s1, 15, v0
	s_mov_b32 s3, 0
	s_wait_kmcnt 0x0
	s_sub_co_i32 s9, s16, s8
	s_sub_co_i32 s18, s17, s8
	v_mad_co_u64_u32 v[6:7], null, s10, s9, v[5:6]
	s_wait_alu 0xfffd
	v_cndmask_b32_e32 v7, v8, v9, vcc_lo
	v_cmp_gt_i32_e32 vcc_lo, 32, v10
	s_cmp_lt_i32 s16, s17
	s_cselect_b32 s19, -1, 0
	s_cmp_lg_u32 s20, 0
	s_wait_alu 0xfffd
	v_cndmask_b32_e32 v8, v8, v10, vcc_lo
	v_mul_lo_u32 v13, s11, v6
	v_lshlrev_b32_e32 v10, 2, v11
	v_lshlrev_b32_e32 v11, 2, v12
	;; [unrolled: 1-line block ×4, first 2 shown]
	s_cselect_b32 s20, -1, 0
	s_lshl_b32 s22, s11, 2
	s_branch .LBB72_8
.LBB72_7:                               ;   in Loop: Header=BB72_8 Depth=1
	s_wait_alu 0xfffe
	s_or_b32 exec_lo, exec_lo, s16
	v_add_nc_u32_e32 v5, 4, v5
	v_add_nc_u32_e32 v13, s22, v13
	s_delay_alu instid0(VALU_DEP_2)
	v_cmp_le_i32_e32 vcc_lo, s10, v5
	s_or_b32 s3, vcc_lo, s3
	s_wait_alu 0xfffe
	s_and_not1_b32 exec_lo, exec_lo, s3
	s_cbranch_execz .LBB72_24
.LBB72_8:                               ; =>This Loop Header: Depth=1
                                        ;     Child Loop BB72_12 Depth 2
                                        ;       Child Loop BB72_15 Depth 3
	v_mov_b32_e32 v6, 0
	v_mov_b32_e32 v7, 0
	s_and_not1_b32 vcc_lo, exec_lo, s19
	s_wait_alu 0xfffe
	s_cbranch_vccnz .LBB72_19
; %bb.9:                                ;   in Loop: Header=BB72_8 Depth=1
	v_dual_mov_b32 v6, 0 :: v_dual_mov_b32 v15, v13
	v_mov_b32_e32 v7, 0
	s_mov_b32 s16, s9
	s_branch .LBB72_12
.LBB72_10:                              ;   in Loop: Header=BB72_12 Depth=2
	s_or_b32 exec_lo, exec_lo, s25
.LBB72_11:                              ;   in Loop: Header=BB72_12 Depth=2
	s_delay_alu instid0(SALU_CYCLE_1)
	s_or_b32 exec_lo, exec_lo, s24
	v_add_nc_u32_e32 v15, s23, v15
	s_wait_alu 0xfffe
	s_add_co_i32 s16, s16, 1
	s_wait_alu 0xfffe
	s_cmp_ge_i32 s16, s18
	s_cbranch_scc1 .LBB72_19
.LBB72_12:                              ;   Parent Loop BB72_8 Depth=1
                                        ; =>  This Loop Header: Depth=2
                                        ;       Child Loop BB72_15 Depth 3
	s_and_saveexec_b32 s24, s0
	s_cbranch_execz .LBB72_11
; %bb.13:                               ;   in Loop: Header=BB72_12 Depth=2
	s_wait_alu 0xfffe
	s_ashr_i32 s17, s16, 31
	v_mov_b32_e32 v16, v0
	s_wait_alu 0xfffe
	s_lshl_b64 s[26:27], s[16:17], 2
	s_mov_b32 s25, 0
	s_wait_alu 0xfffe
	s_add_nc_u64 s[26:27], s[6:7], s[26:27]
	s_load_b32 s17, s[26:27], 0x0
	s_wait_kmcnt 0x0
	s_sub_co_i32 s26, s17, s8
	s_mul_i32 s17, s16, s11
	s_wait_alu 0xfffe
	s_mul_i32 s26, s26, s11
	s_branch .LBB72_15
.LBB72_14:                              ;   in Loop: Header=BB72_15 Depth=3
	v_add_nc_u32_e32 v17, s26, v16
	s_wait_dscnt 0x0
	s_delay_alu instid0(VALU_DEP_2) | instskip(SKIP_1) | instid1(VALU_DEP_3)
	v_ashrrev_i32_e32 v9, 31, v8
	v_add_nc_u32_e32 v16, 16, v16
	v_ashrrev_i32_e32 v18, 31, v17
	s_delay_alu instid0(VALU_DEP_3) | instskip(NEXT) | instid1(VALU_DEP_2)
	v_lshlrev_b64_e32 v[8:9], 3, v[8:9]
	v_lshlrev_b64_e32 v[17:18], 3, v[17:18]
	s_delay_alu instid0(VALU_DEP_2) | instskip(SKIP_1) | instid1(VALU_DEP_3)
	v_add_co_u32 v8, vcc_lo, s4, v8
	s_wait_alu 0xfffd
	v_add_co_ci_u32_e64 v9, null, s5, v9, vcc_lo
	s_delay_alu instid0(VALU_DEP_3)
	v_add_co_u32 v17, vcc_lo, s12, v17
	s_wait_alu 0xfffd
	v_add_co_ci_u32_e64 v18, null, s13, v18, vcc_lo
	v_cmp_le_i32_e32 vcc_lo, s11, v16
	global_load_b64 v[8:9], v[8:9], off
	global_load_b64 v[17:18], v[17:18], off
	s_or_b32 s25, vcc_lo, s25
	s_wait_loadcnt 0x0
	v_fma_f64 v[6:7], v[8:9], v[17:18], v[6:7]
	s_and_not1_b32 exec_lo, exec_lo, s25
	s_cbranch_execz .LBB72_10
.LBB72_15:                              ;   Parent Loop BB72_8 Depth=1
                                        ;     Parent Loop BB72_12 Depth=2
                                        ; =>    This Inner Loop Header: Depth=3
	s_and_b32 vcc_lo, exec_lo, s20
	s_wait_alu 0xfffe
	s_cbranch_vccz .LBB72_17
; %bb.16:                               ;   in Loop: Header=BB72_15 Depth=3
	s_wait_dscnt 0x1
	v_add_nc_u32_e32 v8, s17, v16
	s_wait_dscnt 0x0
	s_delay_alu instid0(VALU_DEP_1)
	v_mad_co_u64_u32 v[8:9], null, v8, s10, v[5:6]
	s_cbranch_execnz .LBB72_14
	s_branch .LBB72_18
.LBB72_17:                              ;   in Loop: Header=BB72_15 Depth=3
                                        ; implicit-def: $vgpr8
.LBB72_18:                              ;   in Loop: Header=BB72_15 Depth=3
	s_wait_dscnt 0x1
	v_add_nc_u32_e32 v8, v15, v16
	s_branch .LBB72_14
.LBB72_19:                              ;   in Loop: Header=BB72_8 Depth=1
	s_wait_dscnt 0x1
	ds_bpermute_b32 v8, v10, v6
	s_wait_dscnt 0x1
	ds_bpermute_b32 v9, v10, v7
	s_wait_dscnt 0x0
	v_add_f64_e32 v[6:7], v[6:7], v[8:9]
	ds_bpermute_b32 v8, v11, v6
	ds_bpermute_b32 v9, v11, v7
	s_wait_dscnt 0x0
	v_add_f64_e32 v[6:7], v[6:7], v[8:9]
	ds_bpermute_b32 v8, v12, v6
	;; [unrolled: 4-line block ×3, first 2 shown]
	ds_bpermute_b32 v9, v14, v7
	s_and_saveexec_b32 s16, s1
	s_cbranch_execz .LBB72_7
; %bb.20:                               ;   in Loop: Header=BB72_8 Depth=1
	s_wait_dscnt 0x0
	v_add_f64_e32 v[6:7], v[6:7], v[8:9]
	v_add_nc_u32_e32 v8, s21, v5
	s_delay_alu instid0(VALU_DEP_1) | instskip(NEXT) | instid1(VALU_DEP_3)
	v_ashrrev_i32_e32 v9, 31, v8
	v_mul_f64_e32 v[6:7], v[1:2], v[6:7]
	s_and_saveexec_b32 s17, s2
	s_wait_alu 0xfffe
	s_xor_b32 s17, exec_lo, s17
	s_cbranch_execz .LBB72_22
; %bb.21:                               ;   in Loop: Header=BB72_8 Depth=1
	v_lshlrev_b64_e32 v[8:9], 3, v[8:9]
	s_delay_alu instid0(VALU_DEP_1) | instskip(SKIP_1) | instid1(VALU_DEP_2)
	v_add_co_u32 v8, vcc_lo, s14, v8
	s_wait_alu 0xfffd
	v_add_co_ci_u32_e64 v9, null, s15, v9, vcc_lo
	global_store_b64 v[8:9], v[6:7], off
                                        ; implicit-def: $vgpr8
                                        ; implicit-def: $vgpr6_vgpr7
.LBB72_22:                              ;   in Loop: Header=BB72_8 Depth=1
	s_wait_alu 0xfffe
	s_and_not1_saveexec_b32 s17, s17
	s_cbranch_execz .LBB72_7
; %bb.23:                               ;   in Loop: Header=BB72_8 Depth=1
	v_lshlrev_b64_e32 v[8:9], 3, v[8:9]
	s_delay_alu instid0(VALU_DEP_1) | instskip(SKIP_1) | instid1(VALU_DEP_2)
	v_add_co_u32 v8, vcc_lo, s14, v8
	s_wait_alu 0xfffd
	v_add_co_ci_u32_e64 v9, null, s15, v9, vcc_lo
	global_load_b64 v[15:16], v[8:9], off
	s_wait_loadcnt 0x0
	v_fma_f64 v[6:7], v[3:4], v[15:16], v[6:7]
	global_store_b64 v[8:9], v[6:7], off
	s_branch .LBB72_7
.LBB72_24:
	s_endpgm
	.section	.rodata,"a",@progbits
	.p2align	6, 0x0
	.amdhsa_kernel _ZN9rocsparseL23gebsrmvn_general_kernelILj64ELj16EdEEvi20rocsparse_direction_NS_24const_host_device_scalarIT1_EEPKiS6_PKS3_iiS8_S4_PS3_21rocsparse_index_base_b
		.amdhsa_group_segment_fixed_size 0
		.amdhsa_private_segment_fixed_size 0
		.amdhsa_kernarg_size 80
		.amdhsa_user_sgpr_count 2
		.amdhsa_user_sgpr_dispatch_ptr 0
		.amdhsa_user_sgpr_queue_ptr 0
		.amdhsa_user_sgpr_kernarg_segment_ptr 1
		.amdhsa_user_sgpr_dispatch_id 0
		.amdhsa_user_sgpr_private_segment_size 0
		.amdhsa_wavefront_size32 1
		.amdhsa_uses_dynamic_stack 0
		.amdhsa_enable_private_segment 0
		.amdhsa_system_sgpr_workgroup_id_x 1
		.amdhsa_system_sgpr_workgroup_id_y 0
		.amdhsa_system_sgpr_workgroup_id_z 0
		.amdhsa_system_sgpr_workgroup_info 0
		.amdhsa_system_vgpr_workitem_id 0
		.amdhsa_next_free_vgpr 19
		.amdhsa_next_free_sgpr 28
		.amdhsa_reserve_vcc 1
		.amdhsa_float_round_mode_32 0
		.amdhsa_float_round_mode_16_64 0
		.amdhsa_float_denorm_mode_32 3
		.amdhsa_float_denorm_mode_16_64 3
		.amdhsa_fp16_overflow 0
		.amdhsa_workgroup_processor_mode 1
		.amdhsa_memory_ordered 1
		.amdhsa_forward_progress 1
		.amdhsa_inst_pref_size 9
		.amdhsa_round_robin_scheduling 0
		.amdhsa_exception_fp_ieee_invalid_op 0
		.amdhsa_exception_fp_denorm_src 0
		.amdhsa_exception_fp_ieee_div_zero 0
		.amdhsa_exception_fp_ieee_overflow 0
		.amdhsa_exception_fp_ieee_underflow 0
		.amdhsa_exception_fp_ieee_inexact 0
		.amdhsa_exception_int_div_zero 0
	.end_amdhsa_kernel
	.section	.text._ZN9rocsparseL23gebsrmvn_general_kernelILj64ELj16EdEEvi20rocsparse_direction_NS_24const_host_device_scalarIT1_EEPKiS6_PKS3_iiS8_S4_PS3_21rocsparse_index_base_b,"axG",@progbits,_ZN9rocsparseL23gebsrmvn_general_kernelILj64ELj16EdEEvi20rocsparse_direction_NS_24const_host_device_scalarIT1_EEPKiS6_PKS3_iiS8_S4_PS3_21rocsparse_index_base_b,comdat
.Lfunc_end72:
	.size	_ZN9rocsparseL23gebsrmvn_general_kernelILj64ELj16EdEEvi20rocsparse_direction_NS_24const_host_device_scalarIT1_EEPKiS6_PKS3_iiS8_S4_PS3_21rocsparse_index_base_b, .Lfunc_end72-_ZN9rocsparseL23gebsrmvn_general_kernelILj64ELj16EdEEvi20rocsparse_direction_NS_24const_host_device_scalarIT1_EEPKiS6_PKS3_iiS8_S4_PS3_21rocsparse_index_base_b
                                        ; -- End function
	.set _ZN9rocsparseL23gebsrmvn_general_kernelILj64ELj16EdEEvi20rocsparse_direction_NS_24const_host_device_scalarIT1_EEPKiS6_PKS3_iiS8_S4_PS3_21rocsparse_index_base_b.num_vgpr, 19
	.set _ZN9rocsparseL23gebsrmvn_general_kernelILj64ELj16EdEEvi20rocsparse_direction_NS_24const_host_device_scalarIT1_EEPKiS6_PKS3_iiS8_S4_PS3_21rocsparse_index_base_b.num_agpr, 0
	.set _ZN9rocsparseL23gebsrmvn_general_kernelILj64ELj16EdEEvi20rocsparse_direction_NS_24const_host_device_scalarIT1_EEPKiS6_PKS3_iiS8_S4_PS3_21rocsparse_index_base_b.numbered_sgpr, 28
	.set _ZN9rocsparseL23gebsrmvn_general_kernelILj64ELj16EdEEvi20rocsparse_direction_NS_24const_host_device_scalarIT1_EEPKiS6_PKS3_iiS8_S4_PS3_21rocsparse_index_base_b.num_named_barrier, 0
	.set _ZN9rocsparseL23gebsrmvn_general_kernelILj64ELj16EdEEvi20rocsparse_direction_NS_24const_host_device_scalarIT1_EEPKiS6_PKS3_iiS8_S4_PS3_21rocsparse_index_base_b.private_seg_size, 0
	.set _ZN9rocsparseL23gebsrmvn_general_kernelILj64ELj16EdEEvi20rocsparse_direction_NS_24const_host_device_scalarIT1_EEPKiS6_PKS3_iiS8_S4_PS3_21rocsparse_index_base_b.uses_vcc, 1
	.set _ZN9rocsparseL23gebsrmvn_general_kernelILj64ELj16EdEEvi20rocsparse_direction_NS_24const_host_device_scalarIT1_EEPKiS6_PKS3_iiS8_S4_PS3_21rocsparse_index_base_b.uses_flat_scratch, 0
	.set _ZN9rocsparseL23gebsrmvn_general_kernelILj64ELj16EdEEvi20rocsparse_direction_NS_24const_host_device_scalarIT1_EEPKiS6_PKS3_iiS8_S4_PS3_21rocsparse_index_base_b.has_dyn_sized_stack, 0
	.set _ZN9rocsparseL23gebsrmvn_general_kernelILj64ELj16EdEEvi20rocsparse_direction_NS_24const_host_device_scalarIT1_EEPKiS6_PKS3_iiS8_S4_PS3_21rocsparse_index_base_b.has_recursion, 0
	.set _ZN9rocsparseL23gebsrmvn_general_kernelILj64ELj16EdEEvi20rocsparse_direction_NS_24const_host_device_scalarIT1_EEPKiS6_PKS3_iiS8_S4_PS3_21rocsparse_index_base_b.has_indirect_call, 0
	.section	.AMDGPU.csdata,"",@progbits
; Kernel info:
; codeLenInByte = 1092
; TotalNumSgprs: 30
; NumVgprs: 19
; ScratchSize: 0
; MemoryBound: 0
; FloatMode: 240
; IeeeMode: 1
; LDSByteSize: 0 bytes/workgroup (compile time only)
; SGPRBlocks: 0
; VGPRBlocks: 2
; NumSGPRsForWavesPerEU: 30
; NumVGPRsForWavesPerEU: 19
; Occupancy: 16
; WaveLimiterHint : 1
; COMPUTE_PGM_RSRC2:SCRATCH_EN: 0
; COMPUTE_PGM_RSRC2:USER_SGPR: 2
; COMPUTE_PGM_RSRC2:TRAP_HANDLER: 0
; COMPUTE_PGM_RSRC2:TGID_X_EN: 1
; COMPUTE_PGM_RSRC2:TGID_Y_EN: 0
; COMPUTE_PGM_RSRC2:TGID_Z_EN: 0
; COMPUTE_PGM_RSRC2:TIDIG_COMP_CNT: 0
	.section	.text._ZN9rocsparseL23gebsrmvn_general_kernelILj128ELj32EdEEvi20rocsparse_direction_NS_24const_host_device_scalarIT1_EEPKiS6_PKS3_iiS8_S4_PS3_21rocsparse_index_base_b,"axG",@progbits,_ZN9rocsparseL23gebsrmvn_general_kernelILj128ELj32EdEEvi20rocsparse_direction_NS_24const_host_device_scalarIT1_EEPKiS6_PKS3_iiS8_S4_PS3_21rocsparse_index_base_b,comdat
	.globl	_ZN9rocsparseL23gebsrmvn_general_kernelILj128ELj32EdEEvi20rocsparse_direction_NS_24const_host_device_scalarIT1_EEPKiS6_PKS3_iiS8_S4_PS3_21rocsparse_index_base_b ; -- Begin function _ZN9rocsparseL23gebsrmvn_general_kernelILj128ELj32EdEEvi20rocsparse_direction_NS_24const_host_device_scalarIT1_EEPKiS6_PKS3_iiS8_S4_PS3_21rocsparse_index_base_b
	.p2align	8
	.type	_ZN9rocsparseL23gebsrmvn_general_kernelILj128ELj32EdEEvi20rocsparse_direction_NS_24const_host_device_scalarIT1_EEPKiS6_PKS3_iiS8_S4_PS3_21rocsparse_index_base_b,@function
_ZN9rocsparseL23gebsrmvn_general_kernelILj128ELj32EdEEvi20rocsparse_direction_NS_24const_host_device_scalarIT1_EEPKiS6_PKS3_iiS8_S4_PS3_21rocsparse_index_base_b: ; @_ZN9rocsparseL23gebsrmvn_general_kernelILj128ELj32EdEEvi20rocsparse_direction_NS_24const_host_device_scalarIT1_EEPKiS6_PKS3_iiS8_S4_PS3_21rocsparse_index_base_b
; %bb.0:
	s_clause 0x2
	s_load_b64 s[8:9], s[0:1], 0x48
	s_load_b64 s[4:5], s[0:1], 0x8
	;; [unrolled: 1-line block ×3, first 2 shown]
	s_wait_kmcnt 0x0
	s_bitcmp1_b32 s9, 0
	v_dual_mov_b32 v1, s4 :: v_dual_mov_b32 v2, s5
	s_cselect_b32 s6, -1, 0
	s_delay_alu instid0(SALU_CYCLE_1)
	s_and_b32 vcc_lo, exec_lo, s6
	s_xor_b32 s6, s6, -1
	s_cbranch_vccnz .LBB73_2
; %bb.1:
	v_dual_mov_b32 v1, s4 :: v_dual_mov_b32 v2, s5
	flat_load_b64 v[1:2], v[1:2]
.LBB73_2:
	v_dual_mov_b32 v4, s3 :: v_dual_mov_b32 v3, s2
	s_and_not1_b32 vcc_lo, exec_lo, s6
	s_cbranch_vccnz .LBB73_4
; %bb.3:
	v_dual_mov_b32 v4, s3 :: v_dual_mov_b32 v3, s2
	flat_load_b64 v[3:4], v[3:4]
.LBB73_4:
	s_wait_loadcnt_dscnt 0x0
	v_cmp_neq_f64_e32 vcc_lo, 0, v[1:2]
	v_cmp_neq_f64_e64 s2, 1.0, v[3:4]
	s_or_b32 s2, vcc_lo, s2
	s_wait_alu 0xfffe
	s_and_saveexec_b32 s3, s2
	s_cbranch_execz .LBB73_24
; %bb.5:
	s_load_b64 s[10:11], s[0:1], 0x28
	v_lshrrev_b32_e32 v5, 5, v0
	s_wait_kmcnt 0x0
	s_delay_alu instid0(VALU_DEP_1)
	v_cmp_gt_i32_e32 vcc_lo, s10, v5
	s_and_b32 exec_lo, exec_lo, vcc_lo
	s_cbranch_execz .LBB73_24
; %bb.6:
	s_clause 0x1
	s_load_b128 s[4:7], s[0:1], 0x10
	s_load_b32 s20, s[0:1], 0x4
	v_mbcnt_lo_u32_b32 v8, -1, 0
	s_mov_b32 s2, ttmp9
	s_ashr_i32 s3, ttmp9, 31
	s_mul_i32 s21, s10, ttmp9
	s_wait_alu 0xfffe
	s_lshl_b64 s[2:3], s[2:3], 2
	v_xor_b32_e32 v6, 16, v8
	v_xor_b32_e32 v7, 8, v8
	;; [unrolled: 1-line block ×5, first 2 shown]
	v_cmp_gt_i32_e32 vcc_lo, 32, v6
	s_mul_i32 s23, s11, s10
	v_cndmask_b32_e32 v12, v8, v6, vcc_lo
	v_cmp_gt_i32_e32 vcc_lo, 32, v7
	v_and_b32_e32 v0, 31, v0
	s_wait_kmcnt 0x0
	s_wait_alu 0xfffe
	s_add_nc_u64 s[2:3], s[4:5], s[2:3]
	s_load_b64 s[16:17], s[2:3], 0x0
	s_clause 0x2
	s_load_b64 s[4:5], s[0:1], 0x20
	s_load_b64 s[12:13], s[0:1], 0x30
	;; [unrolled: 1-line block ×3, first 2 shown]
	v_cmp_eq_f64_e64 s0, 0, v[3:4]
	v_cndmask_b32_e32 v13, v8, v7, vcc_lo
	v_cmp_gt_i32_e32 vcc_lo, 32, v9
	v_cmp_gt_i32_e64 s1, s11, v0
	v_cmp_eq_u32_e64 s2, 31, v0
	s_mov_b32 s3, 0
	s_wait_alu 0xfffd
	v_cndmask_b32_e32 v9, v8, v9, vcc_lo
	v_cmp_gt_i32_e32 vcc_lo, 32, v10
	s_wait_alu 0xfffd
	v_cndmask_b32_e32 v14, v8, v10, vcc_lo
	v_cmp_gt_i32_e32 vcc_lo, 32, v11
	s_wait_kmcnt 0x0
	s_sub_co_i32 s9, s16, s8
	s_sub_co_i32 s18, s17, s8
	v_mad_co_u64_u32 v[6:7], null, s10, s9, v[5:6]
	s_wait_alu 0xfffd
	v_cndmask_b32_e32 v7, v8, v11, vcc_lo
	v_lshlrev_b32_e32 v11, 2, v13
	v_lshlrev_b32_e32 v10, 2, v12
	;; [unrolled: 1-line block ×3, first 2 shown]
	s_cmp_lt_i32 s16, s17
	v_lshlrev_b32_e32 v15, 2, v7
	v_lshlrev_b32_e32 v13, 2, v14
	v_mul_lo_u32 v14, s11, v6
	s_cselect_b32 s19, -1, 0
	s_cmp_lg_u32 s20, 0
	s_cselect_b32 s20, -1, 0
	s_lshl_b32 s22, s11, 2
	s_branch .LBB73_8
.LBB73_7:                               ;   in Loop: Header=BB73_8 Depth=1
	s_wait_alu 0xfffe
	s_or_b32 exec_lo, exec_lo, s16
	v_add_nc_u32_e32 v5, 4, v5
	v_add_nc_u32_e32 v14, s22, v14
	s_delay_alu instid0(VALU_DEP_2)
	v_cmp_le_i32_e32 vcc_lo, s10, v5
	s_or_b32 s3, vcc_lo, s3
	s_wait_alu 0xfffe
	s_and_not1_b32 exec_lo, exec_lo, s3
	s_cbranch_execz .LBB73_24
.LBB73_8:                               ; =>This Loop Header: Depth=1
                                        ;     Child Loop BB73_12 Depth 2
                                        ;       Child Loop BB73_15 Depth 3
	v_mov_b32_e32 v6, 0
	v_mov_b32_e32 v7, 0
	s_and_not1_b32 vcc_lo, exec_lo, s19
	s_wait_alu 0xfffe
	s_cbranch_vccnz .LBB73_19
; %bb.9:                                ;   in Loop: Header=BB73_8 Depth=1
	v_mov_b32_e32 v6, 0
	v_dual_mov_b32 v7, 0 :: v_dual_mov_b32 v16, v14
	s_mov_b32 s16, s9
	s_branch .LBB73_12
.LBB73_10:                              ;   in Loop: Header=BB73_12 Depth=2
	s_or_b32 exec_lo, exec_lo, s25
.LBB73_11:                              ;   in Loop: Header=BB73_12 Depth=2
	s_delay_alu instid0(SALU_CYCLE_1)
	s_or_b32 exec_lo, exec_lo, s24
	v_add_nc_u32_e32 v16, s23, v16
	s_wait_alu 0xfffe
	s_add_co_i32 s16, s16, 1
	s_wait_alu 0xfffe
	s_cmp_ge_i32 s16, s18
	s_cbranch_scc1 .LBB73_19
.LBB73_12:                              ;   Parent Loop BB73_8 Depth=1
                                        ; =>  This Loop Header: Depth=2
                                        ;       Child Loop BB73_15 Depth 3
	s_and_saveexec_b32 s24, s1
	s_cbranch_execz .LBB73_11
; %bb.13:                               ;   in Loop: Header=BB73_12 Depth=2
	s_wait_alu 0xfffe
	s_ashr_i32 s17, s16, 31
	v_mov_b32_e32 v17, v0
	s_wait_alu 0xfffe
	s_lshl_b64 s[26:27], s[16:17], 2
	s_mov_b32 s25, 0
	s_wait_alu 0xfffe
	s_add_nc_u64 s[26:27], s[6:7], s[26:27]
	s_load_b32 s17, s[26:27], 0x0
	s_wait_kmcnt 0x0
	s_sub_co_i32 s26, s17, s8
	s_mul_i32 s17, s16, s11
	s_wait_alu 0xfffe
	s_mul_i32 s26, s26, s11
	s_branch .LBB73_15
.LBB73_14:                              ;   in Loop: Header=BB73_15 Depth=3
	v_add_nc_u32_e32 v18, s26, v17
	s_wait_dscnt 0x0
	s_delay_alu instid0(VALU_DEP_2) | instskip(SKIP_1) | instid1(VALU_DEP_3)
	v_ashrrev_i32_e32 v9, 31, v8
	v_add_nc_u32_e32 v17, 32, v17
	v_ashrrev_i32_e32 v19, 31, v18
	s_delay_alu instid0(VALU_DEP_3) | instskip(NEXT) | instid1(VALU_DEP_2)
	v_lshlrev_b64_e32 v[8:9], 3, v[8:9]
	v_lshlrev_b64_e32 v[18:19], 3, v[18:19]
	s_delay_alu instid0(VALU_DEP_2) | instskip(SKIP_1) | instid1(VALU_DEP_3)
	v_add_co_u32 v8, vcc_lo, s4, v8
	s_wait_alu 0xfffd
	v_add_co_ci_u32_e64 v9, null, s5, v9, vcc_lo
	s_delay_alu instid0(VALU_DEP_3)
	v_add_co_u32 v18, vcc_lo, s12, v18
	s_wait_alu 0xfffd
	v_add_co_ci_u32_e64 v19, null, s13, v19, vcc_lo
	v_cmp_le_i32_e32 vcc_lo, s11, v17
	global_load_b64 v[8:9], v[8:9], off
	global_load_b64 v[18:19], v[18:19], off
	s_or_b32 s25, vcc_lo, s25
	s_wait_loadcnt 0x0
	v_fma_f64 v[6:7], v[8:9], v[18:19], v[6:7]
	s_and_not1_b32 exec_lo, exec_lo, s25
	s_cbranch_execz .LBB73_10
.LBB73_15:                              ;   Parent Loop BB73_8 Depth=1
                                        ;     Parent Loop BB73_12 Depth=2
                                        ; =>    This Inner Loop Header: Depth=3
	s_and_b32 vcc_lo, exec_lo, s20
	s_wait_alu 0xfffe
	s_cbranch_vccz .LBB73_17
; %bb.16:                               ;   in Loop: Header=BB73_15 Depth=3
	s_wait_dscnt 0x1
	v_add_nc_u32_e32 v8, s17, v17
	s_wait_dscnt 0x0
	s_delay_alu instid0(VALU_DEP_1)
	v_mad_co_u64_u32 v[8:9], null, v8, s10, v[5:6]
	s_cbranch_execnz .LBB73_14
	s_branch .LBB73_18
.LBB73_17:                              ;   in Loop: Header=BB73_15 Depth=3
                                        ; implicit-def: $vgpr8
.LBB73_18:                              ;   in Loop: Header=BB73_15 Depth=3
	s_wait_dscnt 0x1
	v_add_nc_u32_e32 v8, v16, v17
	s_branch .LBB73_14
.LBB73_19:                              ;   in Loop: Header=BB73_8 Depth=1
	s_wait_dscnt 0x1
	ds_bpermute_b32 v8, v10, v6
	s_wait_dscnt 0x1
	ds_bpermute_b32 v9, v10, v7
	s_wait_dscnt 0x0
	v_add_f64_e32 v[6:7], v[6:7], v[8:9]
	ds_bpermute_b32 v8, v11, v6
	ds_bpermute_b32 v9, v11, v7
	s_wait_dscnt 0x0
	v_add_f64_e32 v[6:7], v[6:7], v[8:9]
	ds_bpermute_b32 v8, v12, v6
	;; [unrolled: 4-line block ×4, first 2 shown]
	ds_bpermute_b32 v9, v15, v7
	s_and_saveexec_b32 s16, s2
	s_cbranch_execz .LBB73_7
; %bb.20:                               ;   in Loop: Header=BB73_8 Depth=1
	s_wait_dscnt 0x0
	v_add_f64_e32 v[6:7], v[6:7], v[8:9]
	v_add_nc_u32_e32 v8, s21, v5
	s_delay_alu instid0(VALU_DEP_1) | instskip(NEXT) | instid1(VALU_DEP_3)
	v_ashrrev_i32_e32 v9, 31, v8
	v_mul_f64_e32 v[6:7], v[1:2], v[6:7]
	s_and_saveexec_b32 s17, s0
	s_wait_alu 0xfffe
	s_xor_b32 s17, exec_lo, s17
	s_cbranch_execz .LBB73_22
; %bb.21:                               ;   in Loop: Header=BB73_8 Depth=1
	v_lshlrev_b64_e32 v[8:9], 3, v[8:9]
	s_delay_alu instid0(VALU_DEP_1) | instskip(SKIP_1) | instid1(VALU_DEP_2)
	v_add_co_u32 v8, vcc_lo, s14, v8
	s_wait_alu 0xfffd
	v_add_co_ci_u32_e64 v9, null, s15, v9, vcc_lo
	global_store_b64 v[8:9], v[6:7], off
                                        ; implicit-def: $vgpr8
                                        ; implicit-def: $vgpr6_vgpr7
.LBB73_22:                              ;   in Loop: Header=BB73_8 Depth=1
	s_wait_alu 0xfffe
	s_and_not1_saveexec_b32 s17, s17
	s_cbranch_execz .LBB73_7
; %bb.23:                               ;   in Loop: Header=BB73_8 Depth=1
	v_lshlrev_b64_e32 v[8:9], 3, v[8:9]
	s_delay_alu instid0(VALU_DEP_1) | instskip(SKIP_1) | instid1(VALU_DEP_2)
	v_add_co_u32 v8, vcc_lo, s14, v8
	s_wait_alu 0xfffd
	v_add_co_ci_u32_e64 v9, null, s15, v9, vcc_lo
	global_load_b64 v[16:17], v[8:9], off
	s_wait_loadcnt 0x0
	v_fma_f64 v[6:7], v[3:4], v[16:17], v[6:7]
	global_store_b64 v[8:9], v[6:7], off
	s_branch .LBB73_7
.LBB73_24:
	s_endpgm
	.section	.rodata,"a",@progbits
	.p2align	6, 0x0
	.amdhsa_kernel _ZN9rocsparseL23gebsrmvn_general_kernelILj128ELj32EdEEvi20rocsparse_direction_NS_24const_host_device_scalarIT1_EEPKiS6_PKS3_iiS8_S4_PS3_21rocsparse_index_base_b
		.amdhsa_group_segment_fixed_size 0
		.amdhsa_private_segment_fixed_size 0
		.amdhsa_kernarg_size 80
		.amdhsa_user_sgpr_count 2
		.amdhsa_user_sgpr_dispatch_ptr 0
		.amdhsa_user_sgpr_queue_ptr 0
		.amdhsa_user_sgpr_kernarg_segment_ptr 1
		.amdhsa_user_sgpr_dispatch_id 0
		.amdhsa_user_sgpr_private_segment_size 0
		.amdhsa_wavefront_size32 1
		.amdhsa_uses_dynamic_stack 0
		.amdhsa_enable_private_segment 0
		.amdhsa_system_sgpr_workgroup_id_x 1
		.amdhsa_system_sgpr_workgroup_id_y 0
		.amdhsa_system_sgpr_workgroup_id_z 0
		.amdhsa_system_sgpr_workgroup_info 0
		.amdhsa_system_vgpr_workitem_id 0
		.amdhsa_next_free_vgpr 20
		.amdhsa_next_free_sgpr 28
		.amdhsa_reserve_vcc 1
		.amdhsa_float_round_mode_32 0
		.amdhsa_float_round_mode_16_64 0
		.amdhsa_float_denorm_mode_32 3
		.amdhsa_float_denorm_mode_16_64 3
		.amdhsa_fp16_overflow 0
		.amdhsa_workgroup_processor_mode 1
		.amdhsa_memory_ordered 1
		.amdhsa_forward_progress 1
		.amdhsa_inst_pref_size 9
		.amdhsa_round_robin_scheduling 0
		.amdhsa_exception_fp_ieee_invalid_op 0
		.amdhsa_exception_fp_denorm_src 0
		.amdhsa_exception_fp_ieee_div_zero 0
		.amdhsa_exception_fp_ieee_overflow 0
		.amdhsa_exception_fp_ieee_underflow 0
		.amdhsa_exception_fp_ieee_inexact 0
		.amdhsa_exception_int_div_zero 0
	.end_amdhsa_kernel
	.section	.text._ZN9rocsparseL23gebsrmvn_general_kernelILj128ELj32EdEEvi20rocsparse_direction_NS_24const_host_device_scalarIT1_EEPKiS6_PKS3_iiS8_S4_PS3_21rocsparse_index_base_b,"axG",@progbits,_ZN9rocsparseL23gebsrmvn_general_kernelILj128ELj32EdEEvi20rocsparse_direction_NS_24const_host_device_scalarIT1_EEPKiS6_PKS3_iiS8_S4_PS3_21rocsparse_index_base_b,comdat
.Lfunc_end73:
	.size	_ZN9rocsparseL23gebsrmvn_general_kernelILj128ELj32EdEEvi20rocsparse_direction_NS_24const_host_device_scalarIT1_EEPKiS6_PKS3_iiS8_S4_PS3_21rocsparse_index_base_b, .Lfunc_end73-_ZN9rocsparseL23gebsrmvn_general_kernelILj128ELj32EdEEvi20rocsparse_direction_NS_24const_host_device_scalarIT1_EEPKiS6_PKS3_iiS8_S4_PS3_21rocsparse_index_base_b
                                        ; -- End function
	.set _ZN9rocsparseL23gebsrmvn_general_kernelILj128ELj32EdEEvi20rocsparse_direction_NS_24const_host_device_scalarIT1_EEPKiS6_PKS3_iiS8_S4_PS3_21rocsparse_index_base_b.num_vgpr, 20
	.set _ZN9rocsparseL23gebsrmvn_general_kernelILj128ELj32EdEEvi20rocsparse_direction_NS_24const_host_device_scalarIT1_EEPKiS6_PKS3_iiS8_S4_PS3_21rocsparse_index_base_b.num_agpr, 0
	.set _ZN9rocsparseL23gebsrmvn_general_kernelILj128ELj32EdEEvi20rocsparse_direction_NS_24const_host_device_scalarIT1_EEPKiS6_PKS3_iiS8_S4_PS3_21rocsparse_index_base_b.numbered_sgpr, 28
	.set _ZN9rocsparseL23gebsrmvn_general_kernelILj128ELj32EdEEvi20rocsparse_direction_NS_24const_host_device_scalarIT1_EEPKiS6_PKS3_iiS8_S4_PS3_21rocsparse_index_base_b.num_named_barrier, 0
	.set _ZN9rocsparseL23gebsrmvn_general_kernelILj128ELj32EdEEvi20rocsparse_direction_NS_24const_host_device_scalarIT1_EEPKiS6_PKS3_iiS8_S4_PS3_21rocsparse_index_base_b.private_seg_size, 0
	.set _ZN9rocsparseL23gebsrmvn_general_kernelILj128ELj32EdEEvi20rocsparse_direction_NS_24const_host_device_scalarIT1_EEPKiS6_PKS3_iiS8_S4_PS3_21rocsparse_index_base_b.uses_vcc, 1
	.set _ZN9rocsparseL23gebsrmvn_general_kernelILj128ELj32EdEEvi20rocsparse_direction_NS_24const_host_device_scalarIT1_EEPKiS6_PKS3_iiS8_S4_PS3_21rocsparse_index_base_b.uses_flat_scratch, 0
	.set _ZN9rocsparseL23gebsrmvn_general_kernelILj128ELj32EdEEvi20rocsparse_direction_NS_24const_host_device_scalarIT1_EEPKiS6_PKS3_iiS8_S4_PS3_21rocsparse_index_base_b.has_dyn_sized_stack, 0
	.set _ZN9rocsparseL23gebsrmvn_general_kernelILj128ELj32EdEEvi20rocsparse_direction_NS_24const_host_device_scalarIT1_EEPKiS6_PKS3_iiS8_S4_PS3_21rocsparse_index_base_b.has_recursion, 0
	.set _ZN9rocsparseL23gebsrmvn_general_kernelILj128ELj32EdEEvi20rocsparse_direction_NS_24const_host_device_scalarIT1_EEPKiS6_PKS3_iiS8_S4_PS3_21rocsparse_index_base_b.has_indirect_call, 0
	.section	.AMDGPU.csdata,"",@progbits
; Kernel info:
; codeLenInByte = 1132
; TotalNumSgprs: 30
; NumVgprs: 20
; ScratchSize: 0
; MemoryBound: 0
; FloatMode: 240
; IeeeMode: 1
; LDSByteSize: 0 bytes/workgroup (compile time only)
; SGPRBlocks: 0
; VGPRBlocks: 2
; NumSGPRsForWavesPerEU: 30
; NumVGPRsForWavesPerEU: 20
; Occupancy: 16
; WaveLimiterHint : 1
; COMPUTE_PGM_RSRC2:SCRATCH_EN: 0
; COMPUTE_PGM_RSRC2:USER_SGPR: 2
; COMPUTE_PGM_RSRC2:TRAP_HANDLER: 0
; COMPUTE_PGM_RSRC2:TGID_X_EN: 1
; COMPUTE_PGM_RSRC2:TGID_Y_EN: 0
; COMPUTE_PGM_RSRC2:TGID_Z_EN: 0
; COMPUTE_PGM_RSRC2:TIDIG_COMP_CNT: 0
	.section	.text._ZN9rocsparseL19gebsrmvn_4xn_kernelILj128ELj1ELj4E21rocsparse_complex_numIfEEEvi20rocsparse_direction_NS_24const_host_device_scalarIT2_EEPKiS8_PKS5_SA_S6_PS5_21rocsparse_index_base_b,"axG",@progbits,_ZN9rocsparseL19gebsrmvn_4xn_kernelILj128ELj1ELj4E21rocsparse_complex_numIfEEEvi20rocsparse_direction_NS_24const_host_device_scalarIT2_EEPKiS8_PKS5_SA_S6_PS5_21rocsparse_index_base_b,comdat
	.globl	_ZN9rocsparseL19gebsrmvn_4xn_kernelILj128ELj1ELj4E21rocsparse_complex_numIfEEEvi20rocsparse_direction_NS_24const_host_device_scalarIT2_EEPKiS8_PKS5_SA_S6_PS5_21rocsparse_index_base_b ; -- Begin function _ZN9rocsparseL19gebsrmvn_4xn_kernelILj128ELj1ELj4E21rocsparse_complex_numIfEEEvi20rocsparse_direction_NS_24const_host_device_scalarIT2_EEPKiS8_PKS5_SA_S6_PS5_21rocsparse_index_base_b
	.p2align	8
	.type	_ZN9rocsparseL19gebsrmvn_4xn_kernelILj128ELj1ELj4E21rocsparse_complex_numIfEEEvi20rocsparse_direction_NS_24const_host_device_scalarIT2_EEPKiS8_PKS5_SA_S6_PS5_21rocsparse_index_base_b,@function
_ZN9rocsparseL19gebsrmvn_4xn_kernelILj128ELj1ELj4E21rocsparse_complex_numIfEEEvi20rocsparse_direction_NS_24const_host_device_scalarIT2_EEPKiS8_PKS5_SA_S6_PS5_21rocsparse_index_base_b: ; @_ZN9rocsparseL19gebsrmvn_4xn_kernelILj128ELj1ELj4E21rocsparse_complex_numIfEEEvi20rocsparse_direction_NS_24const_host_device_scalarIT2_EEPKiS8_PKS5_SA_S6_PS5_21rocsparse_index_base_b
; %bb.0:
	s_clause 0x2
	s_load_b64 s[12:13], s[0:1], 0x40
	s_load_b64 s[2:3], s[0:1], 0x8
	;; [unrolled: 1-line block ×3, first 2 shown]
	s_add_nc_u64 s[6:7], s[0:1], 8
	s_wait_kmcnt 0x0
	s_bitcmp1_b32 s13, 0
	s_cselect_b32 s2, s6, s2
	s_cselect_b32 s3, s7, s3
	s_delay_alu instid0(SALU_CYCLE_1)
	v_dual_mov_b32 v1, s2 :: v_dual_mov_b32 v2, s3
	s_add_nc_u64 s[2:3], s[0:1], 48
	s_wait_alu 0xfffe
	s_cselect_b32 s2, s2, s4
	s_cselect_b32 s3, s3, s5
	flat_load_b64 v[1:2], v[1:2]
	s_wait_alu 0xfffe
	v_dual_mov_b32 v3, s2 :: v_dual_mov_b32 v4, s3
	flat_load_b64 v[3:4], v[3:4]
	s_wait_loadcnt_dscnt 0x101
	v_cmp_eq_f32_e32 vcc_lo, 0, v1
	v_cmp_eq_f32_e64 s2, 0, v2
	s_and_b32 s4, vcc_lo, s2
	s_mov_b32 s2, -1
	s_and_saveexec_b32 s3, s4
	s_cbranch_execz .LBB74_2
; %bb.1:
	s_wait_loadcnt_dscnt 0x0
	v_cmp_neq_f32_e32 vcc_lo, 1.0, v3
	v_cmp_neq_f32_e64 s2, 0, v4
	s_wait_alu 0xfffe
	s_or_b32 s2, vcc_lo, s2
	s_wait_alu 0xfffe
	s_or_not1_b32 s2, s2, exec_lo
.LBB74_2:
	s_wait_alu 0xfffe
	s_or_b32 exec_lo, exec_lo, s3
	s_and_saveexec_b32 s3, s2
	s_cbranch_execz .LBB74_21
; %bb.3:
	s_load_b64 s[2:3], s[0:1], 0x0
	v_lshrrev_b32_e32 v5, 2, v0
	s_delay_alu instid0(VALU_DEP_1) | instskip(SKIP_1) | instid1(VALU_DEP_1)
	v_lshl_or_b32 v5, ttmp9, 5, v5
	s_wait_kmcnt 0x0
	v_cmp_gt_i32_e32 vcc_lo, s2, v5
	s_and_b32 exec_lo, exec_lo, vcc_lo
	s_cbranch_execz .LBB74_21
; %bb.4:
	s_load_b256 s[4:11], s[0:1], 0x10
	v_ashrrev_i32_e32 v6, 31, v5
	v_and_b32_e32 v0, 3, v0
	s_cmp_lg_u32 s3, 0
	s_delay_alu instid0(VALU_DEP_2) | instskip(SKIP_1) | instid1(VALU_DEP_1)
	v_lshlrev_b64_e32 v[6:7], 2, v[5:6]
	s_wait_kmcnt 0x0
	v_add_co_u32 v6, vcc_lo, s4, v6
	s_delay_alu instid0(VALU_DEP_1) | instskip(SKIP_4) | instid1(VALU_DEP_2)
	v_add_co_ci_u32_e64 v7, null, s5, v7, vcc_lo
	global_load_b64 v[6:7], v[6:7], off
	s_wait_loadcnt 0x0
	v_subrev_nc_u32_e32 v6, s12, v6
	v_subrev_nc_u32_e32 v19, s12, v7
	v_add_nc_u32_e32 v6, v6, v0
	s_delay_alu instid0(VALU_DEP_1)
	v_cmp_lt_i32_e64 s2, v6, v19
	s_cbranch_scc0 .LBB74_10
; %bb.5:
	v_dual_mov_b32 v11, 0 :: v_dual_mov_b32 v12, 0
	v_dual_mov_b32 v13, 0 :: v_dual_mov_b32 v14, 0
	;; [unrolled: 1-line block ×4, first 2 shown]
	s_and_saveexec_b32 s3, s2
	s_cbranch_execz .LBB74_9
; %bb.6:
	v_dual_mov_b32 v8, 0 :: v_dual_lshlrev_b32 v7, 2, v6
	v_mov_b32_e32 v9, v6
	s_mov_b32 s4, 0
	s_delay_alu instid0(VALU_DEP_2)
	v_dual_mov_b32 v11, v8 :: v_dual_mov_b32 v14, v8
	v_dual_mov_b32 v13, v8 :: v_dual_mov_b32 v16, v8
	;; [unrolled: 1-line block ×4, first 2 shown]
.LBB74_7:                               ; =>This Inner Loop Header: Depth=1
	v_ashrrev_i32_e32 v10, 31, v9
	s_delay_alu instid0(VALU_DEP_1) | instskip(NEXT) | instid1(VALU_DEP_1)
	v_lshlrev_b64_e32 v[20:21], 2, v[9:10]
	v_add_co_u32 v20, vcc_lo, s6, v20
	s_wait_alu 0xfffd
	s_delay_alu instid0(VALU_DEP_2) | instskip(SKIP_2) | instid1(VALU_DEP_1)
	v_add_co_ci_u32_e64 v21, null, s7, v21, vcc_lo
	global_load_b32 v10, v[20:21], off
	v_lshlrev_b64_e32 v[20:21], 3, v[7:8]
	v_add_co_u32 v24, vcc_lo, s8, v20
	s_wait_alu 0xfffd
	s_delay_alu instid0(VALU_DEP_2)
	v_add_co_ci_u32_e64 v25, null, s9, v21, vcc_lo
	s_clause 0x1
	global_load_b128 v[20:23], v[24:25], off offset:16
	global_load_b128 v[24:27], v[24:25], off
	v_mov_b32_e32 v29, v8
	s_wait_loadcnt 0x2
	v_subrev_nc_u32_e32 v28, s12, v10
	s_delay_alu instid0(VALU_DEP_1) | instskip(NEXT) | instid1(VALU_DEP_1)
	v_lshlrev_b64_e32 v[28:29], 3, v[28:29]
	v_add_co_u32 v28, vcc_lo, s10, v28
	s_wait_alu 0xfffd
	s_delay_alu instid0(VALU_DEP_2)
	v_add_co_ci_u32_e64 v29, null, s11, v29, vcc_lo
	global_load_b64 v[28:29], v[28:29], off
	v_add_nc_u32_e32 v7, 16, v7
	s_wait_loadcnt 0x0
	v_dual_fmac_f32 v12, v22, v28 :: v_dual_add_nc_u32 v9, 4, v9
	v_fmac_f32_e32 v16, v21, v28
	v_fmac_f32_e32 v11, v25, v28
	v_fmac_f32_e32 v17, v26, v28
	v_fmac_f32_e32 v18, v27, v28
	v_fmac_f32_e32 v13, v24, v28
	v_fmac_f32_e32 v16, v20, v29
	v_dual_fmac_f32 v14, v23, v28 :: v_dual_fmac_f32 v11, v24, v29
	v_fmac_f32_e32 v15, v20, v28
	v_cmp_ge_i32_e32 vcc_lo, v9, v19
	v_fma_f32 v17, -v27, v29, v17
	v_fmac_f32_e32 v18, v26, v29
	v_fma_f32 v13, -v25, v29, v13
	v_fma_f32 v12, -v23, v29, v12
	v_fmac_f32_e32 v14, v22, v29
	v_fma_f32 v15, -v21, v29, v15
	s_wait_alu 0xfffe
	s_or_b32 s4, vcc_lo, s4
	s_wait_alu 0xfffe
	s_and_not1_b32 exec_lo, exec_lo, s4
	s_cbranch_execnz .LBB74_7
; %bb.8:
	s_or_b32 exec_lo, exec_lo, s4
.LBB74_9:
	s_wait_alu 0xfffe
	s_or_b32 exec_lo, exec_lo, s3
	s_cbranch_execz .LBB74_11
	s_branch .LBB74_16
.LBB74_10:
                                        ; implicit-def: $vgpr11
                                        ; implicit-def: $vgpr13
                                        ; implicit-def: $vgpr12
                                        ; implicit-def: $vgpr14
                                        ; implicit-def: $vgpr15
                                        ; implicit-def: $vgpr16
                                        ; implicit-def: $vgpr17
                                        ; implicit-def: $vgpr18
.LBB74_11:
	v_dual_mov_b32 v11, 0 :: v_dual_mov_b32 v12, 0
	v_dual_mov_b32 v13, 0 :: v_dual_mov_b32 v14, 0
	;; [unrolled: 1-line block ×4, first 2 shown]
	s_and_saveexec_b32 s3, s2
	s_cbranch_execz .LBB74_15
; %bb.12:
	v_dual_mov_b32 v9, 0 :: v_dual_lshlrev_b32 v8, 2, v6
	s_mov_b32 s2, 0
	s_delay_alu instid0(VALU_DEP_1)
	v_dual_mov_b32 v11, v9 :: v_dual_mov_b32 v12, v9
	v_dual_mov_b32 v13, v9 :: v_dual_mov_b32 v14, v9
	;; [unrolled: 1-line block ×4, first 2 shown]
.LBB74_13:                              ; =>This Inner Loop Header: Depth=1
	v_ashrrev_i32_e32 v7, 31, v6
	v_mov_b32_e32 v29, v9
	s_delay_alu instid0(VALU_DEP_2) | instskip(NEXT) | instid1(VALU_DEP_1)
	v_lshlrev_b64_e32 v[20:21], 2, v[6:7]
	v_add_co_u32 v20, vcc_lo, s6, v20
	s_wait_alu 0xfffd
	s_delay_alu instid0(VALU_DEP_2) | instskip(SKIP_3) | instid1(VALU_DEP_2)
	v_add_co_ci_u32_e64 v21, null, s7, v21, vcc_lo
	global_load_b32 v7, v[20:21], off
	v_lshlrev_b64_e32 v[20:21], 3, v[8:9]
	v_add_nc_u32_e32 v8, 16, v8
	v_add_co_u32 v24, vcc_lo, s8, v20
	s_wait_alu 0xfffd
	s_delay_alu instid0(VALU_DEP_3)
	v_add_co_ci_u32_e64 v25, null, s9, v21, vcc_lo
	s_clause 0x1
	global_load_b128 v[20:23], v[24:25], off offset:16
	global_load_b128 v[24:27], v[24:25], off
	s_wait_loadcnt 0x2
	v_subrev_nc_u32_e32 v28, s12, v7
	s_delay_alu instid0(VALU_DEP_1) | instskip(NEXT) | instid1(VALU_DEP_1)
	v_lshlrev_b64_e32 v[28:29], 3, v[28:29]
	v_add_co_u32 v28, vcc_lo, s10, v28
	s_wait_alu 0xfffd
	s_delay_alu instid0(VALU_DEP_2)
	v_add_co_ci_u32_e64 v29, null, s11, v29, vcc_lo
	global_load_b64 v[28:29], v[28:29], off
	s_wait_loadcnt 0x0
	v_dual_fmac_f32 v13, v24, v28 :: v_dual_add_nc_u32 v6, 4, v6
	v_fmac_f32_e32 v18, v27, v28
	v_fmac_f32_e32 v11, v25, v28
	;; [unrolled: 1-line block ×7, first 2 shown]
	v_cmp_ge_i32_e32 vcc_lo, v6, v19
	v_fma_f32 v13, -v25, v29, v13
	v_fmac_f32_e32 v18, v26, v29
	v_fmac_f32_e32 v11, v24, v29
	v_fmac_f32_e32 v16, v20, v29
	v_fma_f32 v17, -v27, v29, v17
	v_fma_f32 v12, -v23, v29, v12
	v_fmac_f32_e32 v14, v22, v29
	v_fma_f32 v15, -v21, v29, v15
	s_wait_alu 0xfffe
	s_or_b32 s2, vcc_lo, s2
	s_wait_alu 0xfffe
	s_and_not1_b32 exec_lo, exec_lo, s2
	s_cbranch_execnz .LBB74_13
; %bb.14:
	s_or_b32 exec_lo, exec_lo, s2
.LBB74_15:
	s_wait_alu 0xfffe
	s_or_b32 exec_lo, exec_lo, s3
.LBB74_16:
	v_mbcnt_lo_u32_b32 v6, -1, 0
	s_delay_alu instid0(VALU_DEP_1) | instskip(NEXT) | instid1(VALU_DEP_1)
	v_xor_b32_e32 v7, 2, v6
	v_cmp_gt_i32_e32 vcc_lo, 32, v7
	s_wait_alu 0xfffd
	v_cndmask_b32_e32 v7, v6, v7, vcc_lo
	s_delay_alu instid0(VALU_DEP_1)
	v_lshlrev_b32_e32 v7, 2, v7
	ds_bpermute_b32 v9, v7, v11
	s_wait_dscnt 0x0
	v_add_f32_e32 v10, v11, v9
	ds_bpermute_b32 v8, v7, v13
	ds_bpermute_b32 v19, v7, v17
	;; [unrolled: 1-line block ×7, first 2 shown]
	v_xor_b32_e32 v7, 1, v6
	s_delay_alu instid0(VALU_DEP_1)
	v_cmp_gt_i32_e32 vcc_lo, 32, v7
	s_wait_alu 0xfffd
	v_cndmask_b32_e32 v6, v6, v7, vcc_lo
	v_cmp_eq_u32_e32 vcc_lo, 3, v0
	s_wait_dscnt 0x5
	v_add_f32_e32 v11, v17, v19
	s_wait_dscnt 0x3
	v_add_f32_e32 v15, v15, v21
	v_dual_add_f32 v6, v13, v8 :: v_dual_lshlrev_b32 v25, 2, v6
	s_wait_dscnt 0x2
	v_dual_add_f32 v13, v18, v20 :: v_dual_add_f32 v16, v16, v22
	s_wait_dscnt 0x1
	v_add_f32_e32 v7, v12, v23
	s_wait_dscnt 0x0
	v_add_f32_e32 v9, v14, v24
	ds_bpermute_b32 v8, v25, v6
	ds_bpermute_b32 v12, v25, v10
	;; [unrolled: 1-line block ×8, first 2 shown]
	s_and_b32 exec_lo, exec_lo, vcc_lo
	s_cbranch_execz .LBB74_21
; %bb.17:
	s_load_b64 s[2:3], s[0:1], 0x38
	v_cmp_eq_f32_e32 vcc_lo, 0, v3
	v_cmp_eq_f32_e64 s0, 0, v4
	s_wait_dscnt 0x7
	v_add_f32_e32 v8, v6, v8
	s_wait_dscnt 0x1
	v_dual_add_f32 v12, v10, v12 :: v_dual_add_f32 v7, v7, v14
	s_wait_dscnt 0x0
	v_dual_add_f32 v0, v11, v18 :: v_dual_add_f32 v9, v9, v17
	v_dual_add_f32 v11, v13, v19 :: v_dual_add_f32 v6, v15, v20
	v_add_f32_e32 v10, v16, v21
	s_and_b32 s0, vcc_lo, s0
	s_wait_alu 0xfffe
	s_and_saveexec_b32 s1, s0
	s_wait_alu 0xfffe
	s_xor_b32 s0, exec_lo, s1
	s_cbranch_execz .LBB74_19
; %bb.18:
	v_dual_mul_f32 v14, v1, v12 :: v_dual_lshlrev_b32 v3, 2, v5
	v_mul_f32_e64 v13, v12, -v2
	v_mul_f32_e64 v15, v11, -v2
	v_mul_f32_e32 v16, v1, v11
	s_delay_alu instid0(VALU_DEP_4)
	v_ashrrev_i32_e32 v4, 31, v3
	v_mul_f32_e64 v17, v10, -v2
	v_mul_f32_e32 v18, v1, v10
	v_mul_f32_e64 v19, v9, -v2
	v_mul_f32_e32 v20, v1, v9
	v_lshlrev_b64_e32 v[3:4], 3, v[3:4]
	s_delay_alu instid0(VALU_DEP_4) | instskip(SKIP_1) | instid1(VALU_DEP_4)
	v_dual_fmac_f32 v13, v1, v8 :: v_dual_fmac_f32 v18, v2, v6
	v_dual_fmac_f32 v14, v2, v8 :: v_dual_fmac_f32 v17, v1, v6
	;; [unrolled: 1-line block ×3, first 2 shown]
	s_wait_kmcnt 0x0
	s_delay_alu instid0(VALU_DEP_4)
	v_add_co_u32 v3, vcc_lo, s2, v3
	s_wait_alu 0xfffd
	v_add_co_ci_u32_e64 v4, null, s3, v4, vcc_lo
	v_dual_fmac_f32 v16, v2, v0 :: v_dual_fmac_f32 v19, v1, v7
	s_clause 0x1
	global_store_b128 v[3:4], v[13:16], off
	global_store_b128 v[3:4], v[17:20], off offset:16
                                        ; implicit-def: $vgpr5
                                        ; implicit-def: $vgpr8
                                        ; implicit-def: $vgpr12
                                        ; implicit-def: $vgpr0
                                        ; implicit-def: $vgpr11
                                        ; implicit-def: $vgpr6
                                        ; implicit-def: $vgpr10
                                        ; implicit-def: $vgpr7
                                        ; implicit-def: $vgpr9
                                        ; implicit-def: $vgpr1_vgpr2
                                        ; implicit-def: $vgpr3_vgpr4
.LBB74_19:
	s_wait_alu 0xfffe
	s_and_not1_saveexec_b32 s0, s0
	s_cbranch_execz .LBB74_21
; %bb.20:
	v_dual_mul_f32 v22, v1, v12 :: v_dual_lshlrev_b32 v13, 2, v5
	v_mul_f32_e64 v5, v12, -v2
	v_mul_f32_e64 v23, v11, -v2
	;; [unrolled: 1-line block ×3, first 2 shown]
	s_delay_alu instid0(VALU_DEP_4) | instskip(NEXT) | instid1(VALU_DEP_4)
	v_ashrrev_i32_e32 v14, 31, v13
	v_fmac_f32_e32 v5, v1, v8
	s_delay_alu instid0(VALU_DEP_2) | instskip(SKIP_1) | instid1(VALU_DEP_1)
	v_lshlrev_b64_e32 v[13:14], 3, v[13:14]
	s_wait_kmcnt 0x0
	v_add_co_u32 v25, vcc_lo, s2, v13
	s_wait_alu 0xfffd
	s_delay_alu instid0(VALU_DEP_2)
	v_add_co_ci_u32_e64 v26, null, s3, v14, vcc_lo
	s_clause 0x1
	global_load_b128 v[13:16], v[25:26], off
	global_load_b128 v[17:20], v[25:26], off offset:16
	v_mul_f32_e32 v24, v1, v11
	v_mul_f32_e64 v11, v10, -v2
	s_delay_alu instid0(VALU_DEP_1) | instskip(SKIP_1) | instid1(VALU_DEP_1)
	v_dual_fmac_f32 v22, v2, v8 :: v_dual_fmac_f32 v11, v1, v6
	s_wait_loadcnt 0x1
	v_dual_fmac_f32 v27, v1, v7 :: v_dual_fmac_f32 v22, v4, v13
	s_wait_loadcnt 0x0
	s_delay_alu instid0(VALU_DEP_1) | instskip(SKIP_3) | instid1(VALU_DEP_4)
	v_dual_mul_f32 v12, v1, v9 :: v_dual_fmac_f32 v27, v3, v19
	v_fmac_f32_e32 v23, v1, v0
	v_fmac_f32_e32 v11, v3, v17
	;; [unrolled: 1-line block ×4, first 2 shown]
	s_delay_alu instid0(VALU_DEP_4) | instskip(NEXT) | instid1(VALU_DEP_4)
	v_dual_mul_f32 v10, v1, v10 :: v_dual_fmac_f32 v23, v3, v15
	v_fma_f32 v9, -v4, v18, v11
	v_fma_f32 v11, -v4, v20, v27
	s_delay_alu instid0(VALU_DEP_4) | instskip(NEXT) | instid1(VALU_DEP_4)
	v_fmac_f32_e32 v12, v4, v19
	v_dual_fmac_f32 v10, v2, v6 :: v_dual_fmac_f32 v5, v3, v13
	v_fmac_f32_e32 v24, v2, v0
	v_fma_f32 v23, -v4, v16, v23
	s_delay_alu instid0(VALU_DEP_4) | instskip(NEXT) | instid1(VALU_DEP_4)
	v_fmac_f32_e32 v12, v3, v20
	v_fmac_f32_e32 v10, v4, v17
	v_fma_f32 v21, -v4, v14, v5
	v_fmac_f32_e32 v24, v4, v15
	s_delay_alu instid0(VALU_DEP_3) | instskip(NEXT) | instid1(VALU_DEP_2)
	v_fmac_f32_e32 v10, v3, v18
	v_fmac_f32_e32 v24, v3, v16
	s_clause 0x1
	global_store_b128 v[25:26], v[21:24], off
	global_store_b128 v[25:26], v[9:12], off offset:16
.LBB74_21:
	s_endpgm
	.section	.rodata,"a",@progbits
	.p2align	6, 0x0
	.amdhsa_kernel _ZN9rocsparseL19gebsrmvn_4xn_kernelILj128ELj1ELj4E21rocsparse_complex_numIfEEEvi20rocsparse_direction_NS_24const_host_device_scalarIT2_EEPKiS8_PKS5_SA_S6_PS5_21rocsparse_index_base_b
		.amdhsa_group_segment_fixed_size 0
		.amdhsa_private_segment_fixed_size 0
		.amdhsa_kernarg_size 72
		.amdhsa_user_sgpr_count 2
		.amdhsa_user_sgpr_dispatch_ptr 0
		.amdhsa_user_sgpr_queue_ptr 0
		.amdhsa_user_sgpr_kernarg_segment_ptr 1
		.amdhsa_user_sgpr_dispatch_id 0
		.amdhsa_user_sgpr_private_segment_size 0
		.amdhsa_wavefront_size32 1
		.amdhsa_uses_dynamic_stack 0
		.amdhsa_enable_private_segment 0
		.amdhsa_system_sgpr_workgroup_id_x 1
		.amdhsa_system_sgpr_workgroup_id_y 0
		.amdhsa_system_sgpr_workgroup_id_z 0
		.amdhsa_system_sgpr_workgroup_info 0
		.amdhsa_system_vgpr_workitem_id 0
		.amdhsa_next_free_vgpr 30
		.amdhsa_next_free_sgpr 14
		.amdhsa_reserve_vcc 1
		.amdhsa_float_round_mode_32 0
		.amdhsa_float_round_mode_16_64 0
		.amdhsa_float_denorm_mode_32 3
		.amdhsa_float_denorm_mode_16_64 3
		.amdhsa_fp16_overflow 0
		.amdhsa_workgroup_processor_mode 1
		.amdhsa_memory_ordered 1
		.amdhsa_forward_progress 1
		.amdhsa_inst_pref_size 15
		.amdhsa_round_robin_scheduling 0
		.amdhsa_exception_fp_ieee_invalid_op 0
		.amdhsa_exception_fp_denorm_src 0
		.amdhsa_exception_fp_ieee_div_zero 0
		.amdhsa_exception_fp_ieee_overflow 0
		.amdhsa_exception_fp_ieee_underflow 0
		.amdhsa_exception_fp_ieee_inexact 0
		.amdhsa_exception_int_div_zero 0
	.end_amdhsa_kernel
	.section	.text._ZN9rocsparseL19gebsrmvn_4xn_kernelILj128ELj1ELj4E21rocsparse_complex_numIfEEEvi20rocsparse_direction_NS_24const_host_device_scalarIT2_EEPKiS8_PKS5_SA_S6_PS5_21rocsparse_index_base_b,"axG",@progbits,_ZN9rocsparseL19gebsrmvn_4xn_kernelILj128ELj1ELj4E21rocsparse_complex_numIfEEEvi20rocsparse_direction_NS_24const_host_device_scalarIT2_EEPKiS8_PKS5_SA_S6_PS5_21rocsparse_index_base_b,comdat
.Lfunc_end74:
	.size	_ZN9rocsparseL19gebsrmvn_4xn_kernelILj128ELj1ELj4E21rocsparse_complex_numIfEEEvi20rocsparse_direction_NS_24const_host_device_scalarIT2_EEPKiS8_PKS5_SA_S6_PS5_21rocsparse_index_base_b, .Lfunc_end74-_ZN9rocsparseL19gebsrmvn_4xn_kernelILj128ELj1ELj4E21rocsparse_complex_numIfEEEvi20rocsparse_direction_NS_24const_host_device_scalarIT2_EEPKiS8_PKS5_SA_S6_PS5_21rocsparse_index_base_b
                                        ; -- End function
	.set _ZN9rocsparseL19gebsrmvn_4xn_kernelILj128ELj1ELj4E21rocsparse_complex_numIfEEEvi20rocsparse_direction_NS_24const_host_device_scalarIT2_EEPKiS8_PKS5_SA_S6_PS5_21rocsparse_index_base_b.num_vgpr, 30
	.set _ZN9rocsparseL19gebsrmvn_4xn_kernelILj128ELj1ELj4E21rocsparse_complex_numIfEEEvi20rocsparse_direction_NS_24const_host_device_scalarIT2_EEPKiS8_PKS5_SA_S6_PS5_21rocsparse_index_base_b.num_agpr, 0
	.set _ZN9rocsparseL19gebsrmvn_4xn_kernelILj128ELj1ELj4E21rocsparse_complex_numIfEEEvi20rocsparse_direction_NS_24const_host_device_scalarIT2_EEPKiS8_PKS5_SA_S6_PS5_21rocsparse_index_base_b.numbered_sgpr, 14
	.set _ZN9rocsparseL19gebsrmvn_4xn_kernelILj128ELj1ELj4E21rocsparse_complex_numIfEEEvi20rocsparse_direction_NS_24const_host_device_scalarIT2_EEPKiS8_PKS5_SA_S6_PS5_21rocsparse_index_base_b.num_named_barrier, 0
	.set _ZN9rocsparseL19gebsrmvn_4xn_kernelILj128ELj1ELj4E21rocsparse_complex_numIfEEEvi20rocsparse_direction_NS_24const_host_device_scalarIT2_EEPKiS8_PKS5_SA_S6_PS5_21rocsparse_index_base_b.private_seg_size, 0
	.set _ZN9rocsparseL19gebsrmvn_4xn_kernelILj128ELj1ELj4E21rocsparse_complex_numIfEEEvi20rocsparse_direction_NS_24const_host_device_scalarIT2_EEPKiS8_PKS5_SA_S6_PS5_21rocsparse_index_base_b.uses_vcc, 1
	.set _ZN9rocsparseL19gebsrmvn_4xn_kernelILj128ELj1ELj4E21rocsparse_complex_numIfEEEvi20rocsparse_direction_NS_24const_host_device_scalarIT2_EEPKiS8_PKS5_SA_S6_PS5_21rocsparse_index_base_b.uses_flat_scratch, 0
	.set _ZN9rocsparseL19gebsrmvn_4xn_kernelILj128ELj1ELj4E21rocsparse_complex_numIfEEEvi20rocsparse_direction_NS_24const_host_device_scalarIT2_EEPKiS8_PKS5_SA_S6_PS5_21rocsparse_index_base_b.has_dyn_sized_stack, 0
	.set _ZN9rocsparseL19gebsrmvn_4xn_kernelILj128ELj1ELj4E21rocsparse_complex_numIfEEEvi20rocsparse_direction_NS_24const_host_device_scalarIT2_EEPKiS8_PKS5_SA_S6_PS5_21rocsparse_index_base_b.has_recursion, 0
	.set _ZN9rocsparseL19gebsrmvn_4xn_kernelILj128ELj1ELj4E21rocsparse_complex_numIfEEEvi20rocsparse_direction_NS_24const_host_device_scalarIT2_EEPKiS8_PKS5_SA_S6_PS5_21rocsparse_index_base_b.has_indirect_call, 0
	.section	.AMDGPU.csdata,"",@progbits
; Kernel info:
; codeLenInByte = 1904
; TotalNumSgprs: 16
; NumVgprs: 30
; ScratchSize: 0
; MemoryBound: 0
; FloatMode: 240
; IeeeMode: 1
; LDSByteSize: 0 bytes/workgroup (compile time only)
; SGPRBlocks: 0
; VGPRBlocks: 3
; NumSGPRsForWavesPerEU: 16
; NumVGPRsForWavesPerEU: 30
; Occupancy: 16
; WaveLimiterHint : 1
; COMPUTE_PGM_RSRC2:SCRATCH_EN: 0
; COMPUTE_PGM_RSRC2:USER_SGPR: 2
; COMPUTE_PGM_RSRC2:TRAP_HANDLER: 0
; COMPUTE_PGM_RSRC2:TGID_X_EN: 1
; COMPUTE_PGM_RSRC2:TGID_Y_EN: 0
; COMPUTE_PGM_RSRC2:TGID_Z_EN: 0
; COMPUTE_PGM_RSRC2:TIDIG_COMP_CNT: 0
	.section	.text._ZN9rocsparseL19gebsrmvn_4xn_kernelILj128ELj1ELj8E21rocsparse_complex_numIfEEEvi20rocsparse_direction_NS_24const_host_device_scalarIT2_EEPKiS8_PKS5_SA_S6_PS5_21rocsparse_index_base_b,"axG",@progbits,_ZN9rocsparseL19gebsrmvn_4xn_kernelILj128ELj1ELj8E21rocsparse_complex_numIfEEEvi20rocsparse_direction_NS_24const_host_device_scalarIT2_EEPKiS8_PKS5_SA_S6_PS5_21rocsparse_index_base_b,comdat
	.globl	_ZN9rocsparseL19gebsrmvn_4xn_kernelILj128ELj1ELj8E21rocsparse_complex_numIfEEEvi20rocsparse_direction_NS_24const_host_device_scalarIT2_EEPKiS8_PKS5_SA_S6_PS5_21rocsparse_index_base_b ; -- Begin function _ZN9rocsparseL19gebsrmvn_4xn_kernelILj128ELj1ELj8E21rocsparse_complex_numIfEEEvi20rocsparse_direction_NS_24const_host_device_scalarIT2_EEPKiS8_PKS5_SA_S6_PS5_21rocsparse_index_base_b
	.p2align	8
	.type	_ZN9rocsparseL19gebsrmvn_4xn_kernelILj128ELj1ELj8E21rocsparse_complex_numIfEEEvi20rocsparse_direction_NS_24const_host_device_scalarIT2_EEPKiS8_PKS5_SA_S6_PS5_21rocsparse_index_base_b,@function
_ZN9rocsparseL19gebsrmvn_4xn_kernelILj128ELj1ELj8E21rocsparse_complex_numIfEEEvi20rocsparse_direction_NS_24const_host_device_scalarIT2_EEPKiS8_PKS5_SA_S6_PS5_21rocsparse_index_base_b: ; @_ZN9rocsparseL19gebsrmvn_4xn_kernelILj128ELj1ELj8E21rocsparse_complex_numIfEEEvi20rocsparse_direction_NS_24const_host_device_scalarIT2_EEPKiS8_PKS5_SA_S6_PS5_21rocsparse_index_base_b
; %bb.0:
	s_clause 0x2
	s_load_b64 s[12:13], s[0:1], 0x40
	s_load_b64 s[2:3], s[0:1], 0x8
	;; [unrolled: 1-line block ×3, first 2 shown]
	s_add_nc_u64 s[6:7], s[0:1], 8
	s_wait_kmcnt 0x0
	s_bitcmp1_b32 s13, 0
	s_cselect_b32 s2, s6, s2
	s_cselect_b32 s3, s7, s3
	s_delay_alu instid0(SALU_CYCLE_1)
	v_dual_mov_b32 v1, s2 :: v_dual_mov_b32 v2, s3
	s_add_nc_u64 s[2:3], s[0:1], 48
	s_wait_alu 0xfffe
	s_cselect_b32 s2, s2, s4
	s_cselect_b32 s3, s3, s5
	flat_load_b64 v[1:2], v[1:2]
	s_wait_alu 0xfffe
	v_dual_mov_b32 v3, s2 :: v_dual_mov_b32 v4, s3
	flat_load_b64 v[3:4], v[3:4]
	s_wait_loadcnt_dscnt 0x101
	v_cmp_eq_f32_e32 vcc_lo, 0, v1
	v_cmp_eq_f32_e64 s2, 0, v2
	s_and_b32 s4, vcc_lo, s2
	s_mov_b32 s2, -1
	s_and_saveexec_b32 s3, s4
	s_cbranch_execz .LBB75_2
; %bb.1:
	s_wait_loadcnt_dscnt 0x0
	v_cmp_neq_f32_e32 vcc_lo, 1.0, v3
	v_cmp_neq_f32_e64 s2, 0, v4
	s_wait_alu 0xfffe
	s_or_b32 s2, vcc_lo, s2
	s_wait_alu 0xfffe
	s_or_not1_b32 s2, s2, exec_lo
.LBB75_2:
	s_wait_alu 0xfffe
	s_or_b32 exec_lo, exec_lo, s3
	s_and_saveexec_b32 s3, s2
	s_cbranch_execz .LBB75_21
; %bb.3:
	s_load_b64 s[2:3], s[0:1], 0x0
	v_lshrrev_b32_e32 v5, 3, v0
	s_delay_alu instid0(VALU_DEP_1) | instskip(SKIP_1) | instid1(VALU_DEP_1)
	v_lshl_or_b32 v5, ttmp9, 4, v5
	s_wait_kmcnt 0x0
	v_cmp_gt_i32_e32 vcc_lo, s2, v5
	s_and_b32 exec_lo, exec_lo, vcc_lo
	s_cbranch_execz .LBB75_21
; %bb.4:
	s_load_b256 s[4:11], s[0:1], 0x10
	v_ashrrev_i32_e32 v6, 31, v5
	v_and_b32_e32 v0, 7, v0
	s_cmp_lg_u32 s3, 0
	s_delay_alu instid0(VALU_DEP_2) | instskip(SKIP_1) | instid1(VALU_DEP_1)
	v_lshlrev_b64_e32 v[6:7], 2, v[5:6]
	s_wait_kmcnt 0x0
	v_add_co_u32 v6, vcc_lo, s4, v6
	s_delay_alu instid0(VALU_DEP_1) | instskip(SKIP_4) | instid1(VALU_DEP_2)
	v_add_co_ci_u32_e64 v7, null, s5, v7, vcc_lo
	global_load_b64 v[6:7], v[6:7], off
	s_wait_loadcnt 0x0
	v_subrev_nc_u32_e32 v6, s12, v6
	v_subrev_nc_u32_e32 v19, s12, v7
	v_add_nc_u32_e32 v6, v6, v0
	s_delay_alu instid0(VALU_DEP_1)
	v_cmp_lt_i32_e64 s2, v6, v19
	s_cbranch_scc0 .LBB75_10
; %bb.5:
	v_dual_mov_b32 v11, 0 :: v_dual_mov_b32 v12, 0
	v_dual_mov_b32 v13, 0 :: v_dual_mov_b32 v14, 0
	;; [unrolled: 1-line block ×4, first 2 shown]
	s_and_saveexec_b32 s3, s2
	s_cbranch_execz .LBB75_9
; %bb.6:
	v_dual_mov_b32 v8, 0 :: v_dual_lshlrev_b32 v7, 2, v6
	v_mov_b32_e32 v9, v6
	s_mov_b32 s4, 0
	s_delay_alu instid0(VALU_DEP_2)
	v_dual_mov_b32 v11, v8 :: v_dual_mov_b32 v14, v8
	v_dual_mov_b32 v13, v8 :: v_dual_mov_b32 v16, v8
	;; [unrolled: 1-line block ×4, first 2 shown]
.LBB75_7:                               ; =>This Inner Loop Header: Depth=1
	v_ashrrev_i32_e32 v10, 31, v9
	s_delay_alu instid0(VALU_DEP_1) | instskip(NEXT) | instid1(VALU_DEP_1)
	v_lshlrev_b64_e32 v[20:21], 2, v[9:10]
	v_add_co_u32 v20, vcc_lo, s6, v20
	s_wait_alu 0xfffd
	s_delay_alu instid0(VALU_DEP_2) | instskip(SKIP_2) | instid1(VALU_DEP_1)
	v_add_co_ci_u32_e64 v21, null, s7, v21, vcc_lo
	global_load_b32 v10, v[20:21], off
	v_lshlrev_b64_e32 v[20:21], 3, v[7:8]
	v_add_co_u32 v24, vcc_lo, s8, v20
	s_wait_alu 0xfffd
	s_delay_alu instid0(VALU_DEP_2)
	v_add_co_ci_u32_e64 v25, null, s9, v21, vcc_lo
	s_clause 0x1
	global_load_b128 v[20:23], v[24:25], off offset:16
	global_load_b128 v[24:27], v[24:25], off
	v_mov_b32_e32 v29, v8
	s_wait_loadcnt 0x2
	v_subrev_nc_u32_e32 v28, s12, v10
	s_delay_alu instid0(VALU_DEP_1) | instskip(NEXT) | instid1(VALU_DEP_1)
	v_lshlrev_b64_e32 v[28:29], 3, v[28:29]
	v_add_co_u32 v28, vcc_lo, s10, v28
	s_wait_alu 0xfffd
	s_delay_alu instid0(VALU_DEP_2)
	v_add_co_ci_u32_e64 v29, null, s11, v29, vcc_lo
	global_load_b64 v[28:29], v[28:29], off
	v_add_nc_u32_e32 v7, 32, v7
	s_wait_loadcnt 0x0
	v_dual_fmac_f32 v12, v22, v28 :: v_dual_add_nc_u32 v9, 8, v9
	v_fmac_f32_e32 v16, v21, v28
	v_fmac_f32_e32 v11, v25, v28
	;; [unrolled: 1-line block ×6, first 2 shown]
	v_dual_fmac_f32 v14, v23, v28 :: v_dual_fmac_f32 v11, v24, v29
	v_fmac_f32_e32 v15, v20, v28
	v_cmp_ge_i32_e32 vcc_lo, v9, v19
	v_fma_f32 v17, -v27, v29, v17
	v_fmac_f32_e32 v18, v26, v29
	v_fma_f32 v13, -v25, v29, v13
	v_fma_f32 v12, -v23, v29, v12
	v_fmac_f32_e32 v14, v22, v29
	v_fma_f32 v15, -v21, v29, v15
	s_wait_alu 0xfffe
	s_or_b32 s4, vcc_lo, s4
	s_wait_alu 0xfffe
	s_and_not1_b32 exec_lo, exec_lo, s4
	s_cbranch_execnz .LBB75_7
; %bb.8:
	s_or_b32 exec_lo, exec_lo, s4
.LBB75_9:
	s_wait_alu 0xfffe
	s_or_b32 exec_lo, exec_lo, s3
	s_cbranch_execz .LBB75_11
	s_branch .LBB75_16
.LBB75_10:
                                        ; implicit-def: $vgpr11
                                        ; implicit-def: $vgpr13
                                        ; implicit-def: $vgpr12
                                        ; implicit-def: $vgpr14
                                        ; implicit-def: $vgpr15
                                        ; implicit-def: $vgpr16
                                        ; implicit-def: $vgpr17
                                        ; implicit-def: $vgpr18
.LBB75_11:
	v_dual_mov_b32 v11, 0 :: v_dual_mov_b32 v12, 0
	v_dual_mov_b32 v13, 0 :: v_dual_mov_b32 v14, 0
	;; [unrolled: 1-line block ×4, first 2 shown]
	s_and_saveexec_b32 s3, s2
	s_cbranch_execz .LBB75_15
; %bb.12:
	v_dual_mov_b32 v9, 0 :: v_dual_lshlrev_b32 v8, 2, v6
	s_mov_b32 s2, 0
	s_delay_alu instid0(VALU_DEP_1)
	v_dual_mov_b32 v11, v9 :: v_dual_mov_b32 v12, v9
	v_dual_mov_b32 v13, v9 :: v_dual_mov_b32 v14, v9
	;; [unrolled: 1-line block ×4, first 2 shown]
.LBB75_13:                              ; =>This Inner Loop Header: Depth=1
	v_ashrrev_i32_e32 v7, 31, v6
	v_mov_b32_e32 v29, v9
	s_delay_alu instid0(VALU_DEP_2) | instskip(NEXT) | instid1(VALU_DEP_1)
	v_lshlrev_b64_e32 v[20:21], 2, v[6:7]
	v_add_co_u32 v20, vcc_lo, s6, v20
	s_wait_alu 0xfffd
	s_delay_alu instid0(VALU_DEP_2) | instskip(SKIP_3) | instid1(VALU_DEP_2)
	v_add_co_ci_u32_e64 v21, null, s7, v21, vcc_lo
	global_load_b32 v7, v[20:21], off
	v_lshlrev_b64_e32 v[20:21], 3, v[8:9]
	v_add_nc_u32_e32 v8, 32, v8
	v_add_co_u32 v24, vcc_lo, s8, v20
	s_wait_alu 0xfffd
	s_delay_alu instid0(VALU_DEP_3)
	v_add_co_ci_u32_e64 v25, null, s9, v21, vcc_lo
	s_clause 0x1
	global_load_b128 v[20:23], v[24:25], off offset:16
	global_load_b128 v[24:27], v[24:25], off
	s_wait_loadcnt 0x2
	v_subrev_nc_u32_e32 v28, s12, v7
	s_delay_alu instid0(VALU_DEP_1) | instskip(NEXT) | instid1(VALU_DEP_1)
	v_lshlrev_b64_e32 v[28:29], 3, v[28:29]
	v_add_co_u32 v28, vcc_lo, s10, v28
	s_wait_alu 0xfffd
	s_delay_alu instid0(VALU_DEP_2)
	v_add_co_ci_u32_e64 v29, null, s11, v29, vcc_lo
	global_load_b64 v[28:29], v[28:29], off
	s_wait_loadcnt 0x0
	v_dual_fmac_f32 v13, v24, v28 :: v_dual_add_nc_u32 v6, 8, v6
	v_fmac_f32_e32 v18, v27, v28
	v_fmac_f32_e32 v11, v25, v28
	;; [unrolled: 1-line block ×7, first 2 shown]
	v_cmp_ge_i32_e32 vcc_lo, v6, v19
	v_fma_f32 v13, -v25, v29, v13
	v_fmac_f32_e32 v18, v26, v29
	v_fmac_f32_e32 v11, v24, v29
	v_fmac_f32_e32 v16, v20, v29
	v_fma_f32 v17, -v27, v29, v17
	v_fma_f32 v12, -v23, v29, v12
	v_fmac_f32_e32 v14, v22, v29
	v_fma_f32 v15, -v21, v29, v15
	s_wait_alu 0xfffe
	s_or_b32 s2, vcc_lo, s2
	s_wait_alu 0xfffe
	s_and_not1_b32 exec_lo, exec_lo, s2
	s_cbranch_execnz .LBB75_13
; %bb.14:
	s_or_b32 exec_lo, exec_lo, s2
.LBB75_15:
	s_wait_alu 0xfffe
	s_or_b32 exec_lo, exec_lo, s3
.LBB75_16:
	v_mbcnt_lo_u32_b32 v6, -1, 0
	s_delay_alu instid0(VALU_DEP_1) | instskip(SKIP_1) | instid1(VALU_DEP_2)
	v_xor_b32_e32 v7, 4, v6
	v_xor_b32_e32 v23, 2, v6
	v_cmp_gt_i32_e32 vcc_lo, 32, v7
	s_wait_alu 0xfffd
	v_cndmask_b32_e32 v7, v6, v7, vcc_lo
	s_delay_alu instid0(VALU_DEP_3) | instskip(NEXT) | instid1(VALU_DEP_2)
	v_cmp_gt_i32_e32 vcc_lo, 32, v23
	v_lshlrev_b32_e32 v7, 2, v7
	ds_bpermute_b32 v21, v7, v16
	s_wait_dscnt 0x0
	v_add_f32_e32 v16, v16, v21
	ds_bpermute_b32 v9, v7, v11
	ds_bpermute_b32 v22, v7, v12
	;; [unrolled: 1-line block ×4, first 2 shown]
	s_wait_alu 0xfffd
	v_cndmask_b32_e32 v23, v6, v23, vcc_lo
	ds_bpermute_b32 v19, v7, v18
	ds_bpermute_b32 v20, v7, v15
	;; [unrolled: 1-line block ×3, first 2 shown]
	s_wait_dscnt 0x5
	v_dual_add_f32 v9, v11, v9 :: v_dual_add_f32 v12, v12, v22
	s_wait_dscnt 0x4
	v_dual_add_f32 v8, v13, v8 :: v_dual_lshlrev_b32 v23, 2, v23
	s_wait_dscnt 0x3
	v_add_f32_e32 v11, v17, v10
	s_wait_dscnt 0x2
	v_add_f32_e32 v13, v18, v19
	;; [unrolled: 2-line block ×3, first 2 shown]
	ds_bpermute_b32 v10, v23, v9
	s_wait_dscnt 0x0
	v_dual_add_f32 v17, v14, v7 :: v_dual_add_f32 v10, v9, v10
	ds_bpermute_b32 v7, v23, v8
	ds_bpermute_b32 v14, v23, v11
	;; [unrolled: 1-line block ×7, first 2 shown]
	v_xor_b32_e32 v23, 1, v6
	s_delay_alu instid0(VALU_DEP_1) | instskip(SKIP_4) | instid1(VALU_DEP_2)
	v_cmp_gt_i32_e32 vcc_lo, 32, v23
	s_wait_alu 0xfffd
	v_cndmask_b32_e32 v6, v6, v23, vcc_lo
	v_cmp_eq_u32_e32 vcc_lo, 7, v0
	s_wait_dscnt 0x6
	v_dual_add_f32 v6, v8, v7 :: v_dual_lshlrev_b32 v23, 2, v6
	s_wait_dscnt 0x5
	v_add_f32_e32 v11, v11, v14
	s_wait_dscnt 0x3
	v_dual_add_f32 v13, v13, v18 :: v_dual_add_f32 v14, v15, v19
	s_wait_dscnt 0x2
	v_add_f32_e32 v15, v16, v20
	s_wait_dscnt 0x1
	v_add_f32_e32 v7, v12, v21
	;; [unrolled: 2-line block ×3, first 2 shown]
	ds_bpermute_b32 v8, v23, v6
	ds_bpermute_b32 v12, v23, v10
	;; [unrolled: 1-line block ×8, first 2 shown]
	s_and_b32 exec_lo, exec_lo, vcc_lo
	s_cbranch_execz .LBB75_21
; %bb.17:
	s_load_b64 s[2:3], s[0:1], 0x38
	v_cmp_eq_f32_e32 vcc_lo, 0, v3
	v_cmp_eq_f32_e64 s0, 0, v4
	s_wait_dscnt 0x7
	v_add_f32_e32 v8, v6, v8
	s_wait_dscnt 0x0
	v_dual_add_f32 v12, v10, v12 :: v_dual_add_f32 v9, v9, v17
	v_dual_add_f32 v0, v11, v18 :: v_dual_add_f32 v11, v13, v19
	v_add_f32_e32 v6, v14, v20
	v_add_f32_e32 v10, v15, v21
	;; [unrolled: 1-line block ×3, first 2 shown]
	s_and_b32 s0, vcc_lo, s0
	s_wait_alu 0xfffe
	s_and_saveexec_b32 s1, s0
	s_wait_alu 0xfffe
	s_xor_b32 s0, exec_lo, s1
	s_cbranch_execz .LBB75_19
; %bb.18:
	v_dual_mul_f32 v14, v1, v12 :: v_dual_lshlrev_b32 v3, 2, v5
	v_mul_f32_e64 v13, v12, -v2
	v_mul_f32_e64 v15, v11, -v2
	v_mul_f32_e32 v16, v1, v11
	s_delay_alu instid0(VALU_DEP_4)
	v_ashrrev_i32_e32 v4, 31, v3
	v_mul_f32_e64 v17, v10, -v2
	v_mul_f32_e32 v18, v1, v10
	v_mul_f32_e64 v19, v9, -v2
	v_mul_f32_e32 v20, v1, v9
	v_lshlrev_b64_e32 v[3:4], 3, v[3:4]
	s_delay_alu instid0(VALU_DEP_4) | instskip(SKIP_1) | instid1(VALU_DEP_4)
	v_dual_fmac_f32 v13, v1, v8 :: v_dual_fmac_f32 v18, v2, v6
	v_dual_fmac_f32 v14, v2, v8 :: v_dual_fmac_f32 v17, v1, v6
	;; [unrolled: 1-line block ×3, first 2 shown]
	s_wait_kmcnt 0x0
	s_delay_alu instid0(VALU_DEP_4)
	v_add_co_u32 v3, vcc_lo, s2, v3
	s_wait_alu 0xfffd
	v_add_co_ci_u32_e64 v4, null, s3, v4, vcc_lo
	v_dual_fmac_f32 v16, v2, v0 :: v_dual_fmac_f32 v19, v1, v7
	s_clause 0x1
	global_store_b128 v[3:4], v[13:16], off
	global_store_b128 v[3:4], v[17:20], off offset:16
                                        ; implicit-def: $vgpr5
                                        ; implicit-def: $vgpr8
                                        ; implicit-def: $vgpr12
                                        ; implicit-def: $vgpr0
                                        ; implicit-def: $vgpr11
                                        ; implicit-def: $vgpr6
                                        ; implicit-def: $vgpr10
                                        ; implicit-def: $vgpr7
                                        ; implicit-def: $vgpr9
                                        ; implicit-def: $vgpr1_vgpr2
                                        ; implicit-def: $vgpr3_vgpr4
.LBB75_19:
	s_wait_alu 0xfffe
	s_and_not1_saveexec_b32 s0, s0
	s_cbranch_execz .LBB75_21
; %bb.20:
	v_dual_mul_f32 v22, v1, v12 :: v_dual_lshlrev_b32 v13, 2, v5
	v_mul_f32_e64 v5, v12, -v2
	v_mul_f32_e64 v23, v11, -v2
	;; [unrolled: 1-line block ×3, first 2 shown]
	s_delay_alu instid0(VALU_DEP_4) | instskip(NEXT) | instid1(VALU_DEP_4)
	v_ashrrev_i32_e32 v14, 31, v13
	v_fmac_f32_e32 v5, v1, v8
	s_delay_alu instid0(VALU_DEP_2) | instskip(SKIP_1) | instid1(VALU_DEP_1)
	v_lshlrev_b64_e32 v[13:14], 3, v[13:14]
	s_wait_kmcnt 0x0
	v_add_co_u32 v25, vcc_lo, s2, v13
	s_wait_alu 0xfffd
	s_delay_alu instid0(VALU_DEP_2)
	v_add_co_ci_u32_e64 v26, null, s3, v14, vcc_lo
	s_clause 0x1
	global_load_b128 v[13:16], v[25:26], off
	global_load_b128 v[17:20], v[25:26], off offset:16
	v_mul_f32_e32 v24, v1, v11
	v_mul_f32_e64 v11, v10, -v2
	s_delay_alu instid0(VALU_DEP_1) | instskip(SKIP_1) | instid1(VALU_DEP_1)
	v_dual_fmac_f32 v22, v2, v8 :: v_dual_fmac_f32 v11, v1, v6
	s_wait_loadcnt 0x1
	v_dual_fmac_f32 v27, v1, v7 :: v_dual_fmac_f32 v22, v4, v13
	s_wait_loadcnt 0x0
	s_delay_alu instid0(VALU_DEP_1) | instskip(SKIP_3) | instid1(VALU_DEP_4)
	v_dual_mul_f32 v12, v1, v9 :: v_dual_fmac_f32 v27, v3, v19
	v_fmac_f32_e32 v23, v1, v0
	v_fmac_f32_e32 v11, v3, v17
	;; [unrolled: 1-line block ×4, first 2 shown]
	s_delay_alu instid0(VALU_DEP_4) | instskip(NEXT) | instid1(VALU_DEP_4)
	v_dual_mul_f32 v10, v1, v10 :: v_dual_fmac_f32 v23, v3, v15
	v_fma_f32 v9, -v4, v18, v11
	v_fma_f32 v11, -v4, v20, v27
	s_delay_alu instid0(VALU_DEP_4) | instskip(NEXT) | instid1(VALU_DEP_4)
	v_fmac_f32_e32 v12, v4, v19
	v_dual_fmac_f32 v10, v2, v6 :: v_dual_fmac_f32 v5, v3, v13
	v_fmac_f32_e32 v24, v2, v0
	v_fma_f32 v23, -v4, v16, v23
	s_delay_alu instid0(VALU_DEP_4) | instskip(NEXT) | instid1(VALU_DEP_4)
	v_fmac_f32_e32 v12, v3, v20
	v_fmac_f32_e32 v10, v4, v17
	v_fma_f32 v21, -v4, v14, v5
	v_fmac_f32_e32 v24, v4, v15
	s_delay_alu instid0(VALU_DEP_3) | instskip(NEXT) | instid1(VALU_DEP_2)
	v_fmac_f32_e32 v10, v3, v18
	v_fmac_f32_e32 v24, v3, v16
	s_clause 0x1
	global_store_b128 v[25:26], v[21:24], off
	global_store_b128 v[25:26], v[9:12], off offset:16
.LBB75_21:
	s_endpgm
	.section	.rodata,"a",@progbits
	.p2align	6, 0x0
	.amdhsa_kernel _ZN9rocsparseL19gebsrmvn_4xn_kernelILj128ELj1ELj8E21rocsparse_complex_numIfEEEvi20rocsparse_direction_NS_24const_host_device_scalarIT2_EEPKiS8_PKS5_SA_S6_PS5_21rocsparse_index_base_b
		.amdhsa_group_segment_fixed_size 0
		.amdhsa_private_segment_fixed_size 0
		.amdhsa_kernarg_size 72
		.amdhsa_user_sgpr_count 2
		.amdhsa_user_sgpr_dispatch_ptr 0
		.amdhsa_user_sgpr_queue_ptr 0
		.amdhsa_user_sgpr_kernarg_segment_ptr 1
		.amdhsa_user_sgpr_dispatch_id 0
		.amdhsa_user_sgpr_private_segment_size 0
		.amdhsa_wavefront_size32 1
		.amdhsa_uses_dynamic_stack 0
		.amdhsa_enable_private_segment 0
		.amdhsa_system_sgpr_workgroup_id_x 1
		.amdhsa_system_sgpr_workgroup_id_y 0
		.amdhsa_system_sgpr_workgroup_id_z 0
		.amdhsa_system_sgpr_workgroup_info 0
		.amdhsa_system_vgpr_workitem_id 0
		.amdhsa_next_free_vgpr 30
		.amdhsa_next_free_sgpr 14
		.amdhsa_reserve_vcc 1
		.amdhsa_float_round_mode_32 0
		.amdhsa_float_round_mode_16_64 0
		.amdhsa_float_denorm_mode_32 3
		.amdhsa_float_denorm_mode_16_64 3
		.amdhsa_fp16_overflow 0
		.amdhsa_workgroup_processor_mode 1
		.amdhsa_memory_ordered 1
		.amdhsa_forward_progress 1
		.amdhsa_inst_pref_size 16
		.amdhsa_round_robin_scheduling 0
		.amdhsa_exception_fp_ieee_invalid_op 0
		.amdhsa_exception_fp_denorm_src 0
		.amdhsa_exception_fp_ieee_div_zero 0
		.amdhsa_exception_fp_ieee_overflow 0
		.amdhsa_exception_fp_ieee_underflow 0
		.amdhsa_exception_fp_ieee_inexact 0
		.amdhsa_exception_int_div_zero 0
	.end_amdhsa_kernel
	.section	.text._ZN9rocsparseL19gebsrmvn_4xn_kernelILj128ELj1ELj8E21rocsparse_complex_numIfEEEvi20rocsparse_direction_NS_24const_host_device_scalarIT2_EEPKiS8_PKS5_SA_S6_PS5_21rocsparse_index_base_b,"axG",@progbits,_ZN9rocsparseL19gebsrmvn_4xn_kernelILj128ELj1ELj8E21rocsparse_complex_numIfEEEvi20rocsparse_direction_NS_24const_host_device_scalarIT2_EEPKiS8_PKS5_SA_S6_PS5_21rocsparse_index_base_b,comdat
.Lfunc_end75:
	.size	_ZN9rocsparseL19gebsrmvn_4xn_kernelILj128ELj1ELj8E21rocsparse_complex_numIfEEEvi20rocsparse_direction_NS_24const_host_device_scalarIT2_EEPKiS8_PKS5_SA_S6_PS5_21rocsparse_index_base_b, .Lfunc_end75-_ZN9rocsparseL19gebsrmvn_4xn_kernelILj128ELj1ELj8E21rocsparse_complex_numIfEEEvi20rocsparse_direction_NS_24const_host_device_scalarIT2_EEPKiS8_PKS5_SA_S6_PS5_21rocsparse_index_base_b
                                        ; -- End function
	.set _ZN9rocsparseL19gebsrmvn_4xn_kernelILj128ELj1ELj8E21rocsparse_complex_numIfEEEvi20rocsparse_direction_NS_24const_host_device_scalarIT2_EEPKiS8_PKS5_SA_S6_PS5_21rocsparse_index_base_b.num_vgpr, 30
	.set _ZN9rocsparseL19gebsrmvn_4xn_kernelILj128ELj1ELj8E21rocsparse_complex_numIfEEEvi20rocsparse_direction_NS_24const_host_device_scalarIT2_EEPKiS8_PKS5_SA_S6_PS5_21rocsparse_index_base_b.num_agpr, 0
	.set _ZN9rocsparseL19gebsrmvn_4xn_kernelILj128ELj1ELj8E21rocsparse_complex_numIfEEEvi20rocsparse_direction_NS_24const_host_device_scalarIT2_EEPKiS8_PKS5_SA_S6_PS5_21rocsparse_index_base_b.numbered_sgpr, 14
	.set _ZN9rocsparseL19gebsrmvn_4xn_kernelILj128ELj1ELj8E21rocsparse_complex_numIfEEEvi20rocsparse_direction_NS_24const_host_device_scalarIT2_EEPKiS8_PKS5_SA_S6_PS5_21rocsparse_index_base_b.num_named_barrier, 0
	.set _ZN9rocsparseL19gebsrmvn_4xn_kernelILj128ELj1ELj8E21rocsparse_complex_numIfEEEvi20rocsparse_direction_NS_24const_host_device_scalarIT2_EEPKiS8_PKS5_SA_S6_PS5_21rocsparse_index_base_b.private_seg_size, 0
	.set _ZN9rocsparseL19gebsrmvn_4xn_kernelILj128ELj1ELj8E21rocsparse_complex_numIfEEEvi20rocsparse_direction_NS_24const_host_device_scalarIT2_EEPKiS8_PKS5_SA_S6_PS5_21rocsparse_index_base_b.uses_vcc, 1
	.set _ZN9rocsparseL19gebsrmvn_4xn_kernelILj128ELj1ELj8E21rocsparse_complex_numIfEEEvi20rocsparse_direction_NS_24const_host_device_scalarIT2_EEPKiS8_PKS5_SA_S6_PS5_21rocsparse_index_base_b.uses_flat_scratch, 0
	.set _ZN9rocsparseL19gebsrmvn_4xn_kernelILj128ELj1ELj8E21rocsparse_complex_numIfEEEvi20rocsparse_direction_NS_24const_host_device_scalarIT2_EEPKiS8_PKS5_SA_S6_PS5_21rocsparse_index_base_b.has_dyn_sized_stack, 0
	.set _ZN9rocsparseL19gebsrmvn_4xn_kernelILj128ELj1ELj8E21rocsparse_complex_numIfEEEvi20rocsparse_direction_NS_24const_host_device_scalarIT2_EEPKiS8_PKS5_SA_S6_PS5_21rocsparse_index_base_b.has_recursion, 0
	.set _ZN9rocsparseL19gebsrmvn_4xn_kernelILj128ELj1ELj8E21rocsparse_complex_numIfEEEvi20rocsparse_direction_NS_24const_host_device_scalarIT2_EEPKiS8_PKS5_SA_S6_PS5_21rocsparse_index_base_b.has_indirect_call, 0
	.section	.AMDGPU.csdata,"",@progbits
; Kernel info:
; codeLenInByte = 2044
; TotalNumSgprs: 16
; NumVgprs: 30
; ScratchSize: 0
; MemoryBound: 0
; FloatMode: 240
; IeeeMode: 1
; LDSByteSize: 0 bytes/workgroup (compile time only)
; SGPRBlocks: 0
; VGPRBlocks: 3
; NumSGPRsForWavesPerEU: 16
; NumVGPRsForWavesPerEU: 30
; Occupancy: 16
; WaveLimiterHint : 1
; COMPUTE_PGM_RSRC2:SCRATCH_EN: 0
; COMPUTE_PGM_RSRC2:USER_SGPR: 2
; COMPUTE_PGM_RSRC2:TRAP_HANDLER: 0
; COMPUTE_PGM_RSRC2:TGID_X_EN: 1
; COMPUTE_PGM_RSRC2:TGID_Y_EN: 0
; COMPUTE_PGM_RSRC2:TGID_Z_EN: 0
; COMPUTE_PGM_RSRC2:TIDIG_COMP_CNT: 0
	.section	.text._ZN9rocsparseL19gebsrmvn_4xn_kernelILj128ELj1ELj16E21rocsparse_complex_numIfEEEvi20rocsparse_direction_NS_24const_host_device_scalarIT2_EEPKiS8_PKS5_SA_S6_PS5_21rocsparse_index_base_b,"axG",@progbits,_ZN9rocsparseL19gebsrmvn_4xn_kernelILj128ELj1ELj16E21rocsparse_complex_numIfEEEvi20rocsparse_direction_NS_24const_host_device_scalarIT2_EEPKiS8_PKS5_SA_S6_PS5_21rocsparse_index_base_b,comdat
	.globl	_ZN9rocsparseL19gebsrmvn_4xn_kernelILj128ELj1ELj16E21rocsparse_complex_numIfEEEvi20rocsparse_direction_NS_24const_host_device_scalarIT2_EEPKiS8_PKS5_SA_S6_PS5_21rocsparse_index_base_b ; -- Begin function _ZN9rocsparseL19gebsrmvn_4xn_kernelILj128ELj1ELj16E21rocsparse_complex_numIfEEEvi20rocsparse_direction_NS_24const_host_device_scalarIT2_EEPKiS8_PKS5_SA_S6_PS5_21rocsparse_index_base_b
	.p2align	8
	.type	_ZN9rocsparseL19gebsrmvn_4xn_kernelILj128ELj1ELj16E21rocsparse_complex_numIfEEEvi20rocsparse_direction_NS_24const_host_device_scalarIT2_EEPKiS8_PKS5_SA_S6_PS5_21rocsparse_index_base_b,@function
_ZN9rocsparseL19gebsrmvn_4xn_kernelILj128ELj1ELj16E21rocsparse_complex_numIfEEEvi20rocsparse_direction_NS_24const_host_device_scalarIT2_EEPKiS8_PKS5_SA_S6_PS5_21rocsparse_index_base_b: ; @_ZN9rocsparseL19gebsrmvn_4xn_kernelILj128ELj1ELj16E21rocsparse_complex_numIfEEEvi20rocsparse_direction_NS_24const_host_device_scalarIT2_EEPKiS8_PKS5_SA_S6_PS5_21rocsparse_index_base_b
; %bb.0:
	s_clause 0x2
	s_load_b64 s[12:13], s[0:1], 0x40
	s_load_b64 s[2:3], s[0:1], 0x8
	;; [unrolled: 1-line block ×3, first 2 shown]
	s_add_nc_u64 s[6:7], s[0:1], 8
	s_wait_kmcnt 0x0
	s_bitcmp1_b32 s13, 0
	s_cselect_b32 s2, s6, s2
	s_cselect_b32 s3, s7, s3
	s_delay_alu instid0(SALU_CYCLE_1)
	v_dual_mov_b32 v1, s2 :: v_dual_mov_b32 v2, s3
	s_add_nc_u64 s[2:3], s[0:1], 48
	s_wait_alu 0xfffe
	s_cselect_b32 s2, s2, s4
	s_cselect_b32 s3, s3, s5
	flat_load_b64 v[1:2], v[1:2]
	s_wait_alu 0xfffe
	v_dual_mov_b32 v3, s2 :: v_dual_mov_b32 v4, s3
	flat_load_b64 v[3:4], v[3:4]
	s_wait_loadcnt_dscnt 0x101
	v_cmp_eq_f32_e32 vcc_lo, 0, v1
	v_cmp_eq_f32_e64 s2, 0, v2
	s_and_b32 s4, vcc_lo, s2
	s_mov_b32 s2, -1
	s_and_saveexec_b32 s3, s4
	s_cbranch_execz .LBB76_2
; %bb.1:
	s_wait_loadcnt_dscnt 0x0
	v_cmp_neq_f32_e32 vcc_lo, 1.0, v3
	v_cmp_neq_f32_e64 s2, 0, v4
	s_wait_alu 0xfffe
	s_or_b32 s2, vcc_lo, s2
	s_wait_alu 0xfffe
	s_or_not1_b32 s2, s2, exec_lo
.LBB76_2:
	s_wait_alu 0xfffe
	s_or_b32 exec_lo, exec_lo, s3
	s_and_saveexec_b32 s3, s2
	s_cbranch_execz .LBB76_21
; %bb.3:
	s_load_b64 s[2:3], s[0:1], 0x0
	v_lshrrev_b32_e32 v5, 4, v0
	s_delay_alu instid0(VALU_DEP_1) | instskip(SKIP_1) | instid1(VALU_DEP_1)
	v_lshl_or_b32 v5, ttmp9, 3, v5
	s_wait_kmcnt 0x0
	v_cmp_gt_i32_e32 vcc_lo, s2, v5
	s_and_b32 exec_lo, exec_lo, vcc_lo
	s_cbranch_execz .LBB76_21
; %bb.4:
	s_load_b256 s[4:11], s[0:1], 0x10
	v_ashrrev_i32_e32 v6, 31, v5
	v_and_b32_e32 v0, 15, v0
	s_cmp_lg_u32 s3, 0
	s_delay_alu instid0(VALU_DEP_2) | instskip(SKIP_1) | instid1(VALU_DEP_1)
	v_lshlrev_b64_e32 v[6:7], 2, v[5:6]
	s_wait_kmcnt 0x0
	v_add_co_u32 v6, vcc_lo, s4, v6
	s_delay_alu instid0(VALU_DEP_1) | instskip(SKIP_4) | instid1(VALU_DEP_2)
	v_add_co_ci_u32_e64 v7, null, s5, v7, vcc_lo
	global_load_b64 v[6:7], v[6:7], off
	s_wait_loadcnt 0x0
	v_subrev_nc_u32_e32 v6, s12, v6
	v_subrev_nc_u32_e32 v19, s12, v7
	v_add_nc_u32_e32 v6, v6, v0
	s_delay_alu instid0(VALU_DEP_1)
	v_cmp_lt_i32_e64 s2, v6, v19
	s_cbranch_scc0 .LBB76_10
; %bb.5:
	v_dual_mov_b32 v11, 0 :: v_dual_mov_b32 v12, 0
	v_dual_mov_b32 v13, 0 :: v_dual_mov_b32 v14, 0
	;; [unrolled: 1-line block ×4, first 2 shown]
	s_and_saveexec_b32 s3, s2
	s_cbranch_execz .LBB76_9
; %bb.6:
	v_dual_mov_b32 v8, 0 :: v_dual_lshlrev_b32 v7, 2, v6
	v_mov_b32_e32 v9, v6
	s_mov_b32 s4, 0
	s_delay_alu instid0(VALU_DEP_2)
	v_dual_mov_b32 v11, v8 :: v_dual_mov_b32 v14, v8
	v_dual_mov_b32 v13, v8 :: v_dual_mov_b32 v16, v8
	;; [unrolled: 1-line block ×4, first 2 shown]
.LBB76_7:                               ; =>This Inner Loop Header: Depth=1
	v_ashrrev_i32_e32 v10, 31, v9
	s_delay_alu instid0(VALU_DEP_1) | instskip(NEXT) | instid1(VALU_DEP_1)
	v_lshlrev_b64_e32 v[20:21], 2, v[9:10]
	v_add_co_u32 v20, vcc_lo, s6, v20
	s_wait_alu 0xfffd
	s_delay_alu instid0(VALU_DEP_2) | instskip(SKIP_2) | instid1(VALU_DEP_1)
	v_add_co_ci_u32_e64 v21, null, s7, v21, vcc_lo
	global_load_b32 v10, v[20:21], off
	v_lshlrev_b64_e32 v[20:21], 3, v[7:8]
	v_add_co_u32 v24, vcc_lo, s8, v20
	s_wait_alu 0xfffd
	s_delay_alu instid0(VALU_DEP_2)
	v_add_co_ci_u32_e64 v25, null, s9, v21, vcc_lo
	s_clause 0x1
	global_load_b128 v[20:23], v[24:25], off offset:16
	global_load_b128 v[24:27], v[24:25], off
	v_mov_b32_e32 v29, v8
	s_wait_loadcnt 0x2
	v_subrev_nc_u32_e32 v28, s12, v10
	s_delay_alu instid0(VALU_DEP_1) | instskip(NEXT) | instid1(VALU_DEP_1)
	v_lshlrev_b64_e32 v[28:29], 3, v[28:29]
	v_add_co_u32 v28, vcc_lo, s10, v28
	s_wait_alu 0xfffd
	s_delay_alu instid0(VALU_DEP_2)
	v_add_co_ci_u32_e64 v29, null, s11, v29, vcc_lo
	global_load_b64 v[28:29], v[28:29], off
	v_add_nc_u32_e32 v7, 64, v7
	s_wait_loadcnt 0x0
	v_dual_fmac_f32 v12, v22, v28 :: v_dual_add_nc_u32 v9, 16, v9
	v_fmac_f32_e32 v16, v21, v28
	v_fmac_f32_e32 v11, v25, v28
	;; [unrolled: 1-line block ×6, first 2 shown]
	v_dual_fmac_f32 v14, v23, v28 :: v_dual_fmac_f32 v11, v24, v29
	v_fmac_f32_e32 v15, v20, v28
	v_cmp_ge_i32_e32 vcc_lo, v9, v19
	v_fma_f32 v17, -v27, v29, v17
	v_fmac_f32_e32 v18, v26, v29
	v_fma_f32 v13, -v25, v29, v13
	v_fma_f32 v12, -v23, v29, v12
	v_fmac_f32_e32 v14, v22, v29
	v_fma_f32 v15, -v21, v29, v15
	s_wait_alu 0xfffe
	s_or_b32 s4, vcc_lo, s4
	s_wait_alu 0xfffe
	s_and_not1_b32 exec_lo, exec_lo, s4
	s_cbranch_execnz .LBB76_7
; %bb.8:
	s_or_b32 exec_lo, exec_lo, s4
.LBB76_9:
	s_wait_alu 0xfffe
	s_or_b32 exec_lo, exec_lo, s3
	s_cbranch_execz .LBB76_11
	s_branch .LBB76_16
.LBB76_10:
                                        ; implicit-def: $vgpr11
                                        ; implicit-def: $vgpr13
                                        ; implicit-def: $vgpr12
                                        ; implicit-def: $vgpr14
                                        ; implicit-def: $vgpr15
                                        ; implicit-def: $vgpr16
                                        ; implicit-def: $vgpr17
                                        ; implicit-def: $vgpr18
.LBB76_11:
	v_dual_mov_b32 v11, 0 :: v_dual_mov_b32 v12, 0
	v_dual_mov_b32 v13, 0 :: v_dual_mov_b32 v14, 0
	;; [unrolled: 1-line block ×4, first 2 shown]
	s_and_saveexec_b32 s3, s2
	s_cbranch_execz .LBB76_15
; %bb.12:
	v_dual_mov_b32 v9, 0 :: v_dual_lshlrev_b32 v8, 2, v6
	s_mov_b32 s2, 0
	s_delay_alu instid0(VALU_DEP_1)
	v_dual_mov_b32 v11, v9 :: v_dual_mov_b32 v12, v9
	v_dual_mov_b32 v13, v9 :: v_dual_mov_b32 v14, v9
	;; [unrolled: 1-line block ×4, first 2 shown]
.LBB76_13:                              ; =>This Inner Loop Header: Depth=1
	v_ashrrev_i32_e32 v7, 31, v6
	v_mov_b32_e32 v29, v9
	s_delay_alu instid0(VALU_DEP_2) | instskip(NEXT) | instid1(VALU_DEP_1)
	v_lshlrev_b64_e32 v[20:21], 2, v[6:7]
	v_add_co_u32 v20, vcc_lo, s6, v20
	s_wait_alu 0xfffd
	s_delay_alu instid0(VALU_DEP_2) | instskip(SKIP_3) | instid1(VALU_DEP_2)
	v_add_co_ci_u32_e64 v21, null, s7, v21, vcc_lo
	global_load_b32 v7, v[20:21], off
	v_lshlrev_b64_e32 v[20:21], 3, v[8:9]
	v_add_nc_u32_e32 v8, 64, v8
	v_add_co_u32 v24, vcc_lo, s8, v20
	s_wait_alu 0xfffd
	s_delay_alu instid0(VALU_DEP_3)
	v_add_co_ci_u32_e64 v25, null, s9, v21, vcc_lo
	s_clause 0x1
	global_load_b128 v[20:23], v[24:25], off offset:16
	global_load_b128 v[24:27], v[24:25], off
	s_wait_loadcnt 0x2
	v_subrev_nc_u32_e32 v28, s12, v7
	s_delay_alu instid0(VALU_DEP_1) | instskip(NEXT) | instid1(VALU_DEP_1)
	v_lshlrev_b64_e32 v[28:29], 3, v[28:29]
	v_add_co_u32 v28, vcc_lo, s10, v28
	s_wait_alu 0xfffd
	s_delay_alu instid0(VALU_DEP_2)
	v_add_co_ci_u32_e64 v29, null, s11, v29, vcc_lo
	global_load_b64 v[28:29], v[28:29], off
	s_wait_loadcnt 0x0
	v_dual_fmac_f32 v13, v24, v28 :: v_dual_add_nc_u32 v6, 16, v6
	v_fmac_f32_e32 v18, v27, v28
	v_fmac_f32_e32 v11, v25, v28
	v_fmac_f32_e32 v16, v21, v28
	v_fmac_f32_e32 v17, v26, v28
	v_fmac_f32_e32 v12, v22, v28
	v_fmac_f32_e32 v14, v23, v28
	v_fmac_f32_e32 v15, v20, v28
	v_cmp_ge_i32_e32 vcc_lo, v6, v19
	v_fma_f32 v13, -v25, v29, v13
	v_fmac_f32_e32 v18, v26, v29
	v_fmac_f32_e32 v11, v24, v29
	;; [unrolled: 1-line block ×3, first 2 shown]
	v_fma_f32 v17, -v27, v29, v17
	v_fma_f32 v12, -v23, v29, v12
	v_fmac_f32_e32 v14, v22, v29
	v_fma_f32 v15, -v21, v29, v15
	s_wait_alu 0xfffe
	s_or_b32 s2, vcc_lo, s2
	s_wait_alu 0xfffe
	s_and_not1_b32 exec_lo, exec_lo, s2
	s_cbranch_execnz .LBB76_13
; %bb.14:
	s_or_b32 exec_lo, exec_lo, s2
.LBB76_15:
	s_wait_alu 0xfffe
	s_or_b32 exec_lo, exec_lo, s3
.LBB76_16:
	v_mbcnt_lo_u32_b32 v6, -1, 0
	s_delay_alu instid0(VALU_DEP_1) | instskip(SKIP_1) | instid1(VALU_DEP_2)
	v_xor_b32_e32 v7, 8, v6
	v_xor_b32_e32 v23, 4, v6
	v_cmp_gt_i32_e32 vcc_lo, 32, v7
	s_wait_alu 0xfffd
	v_cndmask_b32_e32 v7, v6, v7, vcc_lo
	s_delay_alu instid0(VALU_DEP_3) | instskip(NEXT) | instid1(VALU_DEP_2)
	v_cmp_gt_i32_e32 vcc_lo, 32, v23
	v_lshlrev_b32_e32 v7, 2, v7
	ds_bpermute_b32 v10, v7, v17
	s_wait_dscnt 0x0
	v_add_f32_e32 v10, v17, v10
	ds_bpermute_b32 v8, v7, v13
	ds_bpermute_b32 v22, v7, v12
	;; [unrolled: 1-line block ×7, first 2 shown]
	s_wait_dscnt 0x6
	s_wait_alu 0xfffd
	v_dual_cndmask_b32 v23, v6, v23 :: v_dual_add_f32 v8, v13, v8
	s_wait_dscnt 0x5
	s_delay_alu instid0(VALU_DEP_1)
	v_dual_add_f32 v12, v12, v22 :: v_dual_lshlrev_b32 v23, 2, v23
	s_wait_dscnt 0x4
	v_add_f32_e32 v9, v11, v9
	s_wait_dscnt 0x0
	v_add_f32_e32 v7, v14, v7
	ds_bpermute_b32 v14, v23, v8
	s_wait_dscnt 0x0
	v_add_f32_e32 v8, v8, v14
	ds_bpermute_b32 v17, v23, v10
	v_add_f32_e32 v13, v15, v20
	v_add_f32_e32 v15, v16, v21
	ds_bpermute_b32 v21, v23, v12
	v_add_f32_e32 v11, v18, v19
	ds_bpermute_b32 v16, v23, v9
	ds_bpermute_b32 v22, v23, v7
	s_wait_dscnt 0x3
	v_add_f32_e32 v14, v10, v17
	ds_bpermute_b32 v19, v23, v13
	s_wait_dscnt 0x3
	v_add_f32_e32 v12, v12, v21
	;; [unrolled: 3-line block ×3, first 2 shown]
	s_wait_dscnt 0x0
	v_dual_add_f32 v17, v13, v19 :: v_dual_add_f32 v16, v11, v18
	ds_bpermute_b32 v20, v23, v15
	v_xor_b32_e32 v23, 2, v6
	s_delay_alu instid0(VALU_DEP_1) | instskip(SKIP_2) | instid1(VALU_DEP_1)
	v_cmp_gt_i32_e32 vcc_lo, 32, v23
	s_wait_alu 0xfffd
	v_cndmask_b32_e32 v23, v6, v23, vcc_lo
	v_lshlrev_b32_e32 v23, 2, v23
	ds_bpermute_b32 v10, v23, v9
	ds_bpermute_b32 v11, v23, v14
	;; [unrolled: 1-line block ×3, first 2 shown]
	s_wait_dscnt 0x3
	v_add_f32_e32 v15, v15, v20
	ds_bpermute_b32 v13, v23, v16
	ds_bpermute_b32 v21, v23, v12
	s_wait_dscnt 0x4
	v_add_f32_e32 v10, v9, v10
	v_add_f32_e32 v18, v7, v22
	ds_bpermute_b32 v7, v23, v8
	s_wait_dscnt 0x4
	v_add_f32_e32 v11, v14, v11
	s_wait_dscnt 0x3
	v_add_f32_e32 v14, v17, v19
	ds_bpermute_b32 v20, v23, v15
	ds_bpermute_b32 v22, v23, v18
	v_xor_b32_e32 v23, 1, v6
	s_wait_dscnt 0x4
	v_add_f32_e32 v13, v16, v13
	s_delay_alu instid0(VALU_DEP_2) | instskip(SKIP_4) | instid1(VALU_DEP_2)
	v_cmp_gt_i32_e32 vcc_lo, 32, v23
	s_wait_alu 0xfffd
	v_cndmask_b32_e32 v6, v6, v23, vcc_lo
	v_cmp_eq_u32_e32 vcc_lo, 15, v0
	s_wait_dscnt 0x2
	v_dual_add_f32 v6, v8, v7 :: v_dual_lshlrev_b32 v23, 2, v6
	v_add_f32_e32 v7, v12, v21
	s_wait_dscnt 0x1
	v_add_f32_e32 v15, v15, v20
	s_wait_dscnt 0x0
	v_add_f32_e32 v9, v18, v22
	ds_bpermute_b32 v12, v23, v10
	ds_bpermute_b32 v8, v23, v6
	;; [unrolled: 1-line block ×8, first 2 shown]
	s_and_b32 exec_lo, exec_lo, vcc_lo
	s_cbranch_execz .LBB76_21
; %bb.17:
	s_load_b64 s[2:3], s[0:1], 0x38
	v_cmp_eq_f32_e32 vcc_lo, 0, v3
	v_cmp_eq_f32_e64 s0, 0, v4
	s_wait_dscnt 0x6
	v_add_f32_e32 v8, v6, v8
	s_wait_dscnt 0x0
	v_dual_add_f32 v12, v10, v12 :: v_dual_add_f32 v9, v9, v17
	v_dual_add_f32 v0, v11, v18 :: v_dual_add_f32 v11, v13, v19
	v_add_f32_e32 v6, v14, v20
	v_add_f32_e32 v10, v15, v21
	;; [unrolled: 1-line block ×3, first 2 shown]
	s_and_b32 s0, vcc_lo, s0
	s_wait_alu 0xfffe
	s_and_saveexec_b32 s1, s0
	s_wait_alu 0xfffe
	s_xor_b32 s0, exec_lo, s1
	s_cbranch_execz .LBB76_19
; %bb.18:
	v_dual_mul_f32 v14, v1, v12 :: v_dual_lshlrev_b32 v3, 2, v5
	v_mul_f32_e64 v13, v12, -v2
	v_mul_f32_e64 v15, v11, -v2
	v_mul_f32_e32 v16, v1, v11
	s_delay_alu instid0(VALU_DEP_4)
	v_ashrrev_i32_e32 v4, 31, v3
	v_mul_f32_e64 v17, v10, -v2
	v_mul_f32_e32 v18, v1, v10
	v_mul_f32_e64 v19, v9, -v2
	v_mul_f32_e32 v20, v1, v9
	v_lshlrev_b64_e32 v[3:4], 3, v[3:4]
	s_delay_alu instid0(VALU_DEP_4) | instskip(SKIP_1) | instid1(VALU_DEP_4)
	v_dual_fmac_f32 v13, v1, v8 :: v_dual_fmac_f32 v18, v2, v6
	v_dual_fmac_f32 v14, v2, v8 :: v_dual_fmac_f32 v17, v1, v6
	;; [unrolled: 1-line block ×3, first 2 shown]
	s_wait_kmcnt 0x0
	s_delay_alu instid0(VALU_DEP_4)
	v_add_co_u32 v3, vcc_lo, s2, v3
	s_wait_alu 0xfffd
	v_add_co_ci_u32_e64 v4, null, s3, v4, vcc_lo
	v_dual_fmac_f32 v16, v2, v0 :: v_dual_fmac_f32 v19, v1, v7
	s_clause 0x1
	global_store_b128 v[3:4], v[13:16], off
	global_store_b128 v[3:4], v[17:20], off offset:16
                                        ; implicit-def: $vgpr5
                                        ; implicit-def: $vgpr8
                                        ; implicit-def: $vgpr12
                                        ; implicit-def: $vgpr0
                                        ; implicit-def: $vgpr11
                                        ; implicit-def: $vgpr6
                                        ; implicit-def: $vgpr10
                                        ; implicit-def: $vgpr7
                                        ; implicit-def: $vgpr9
                                        ; implicit-def: $vgpr1_vgpr2
                                        ; implicit-def: $vgpr3_vgpr4
.LBB76_19:
	s_wait_alu 0xfffe
	s_and_not1_saveexec_b32 s0, s0
	s_cbranch_execz .LBB76_21
; %bb.20:
	v_dual_mul_f32 v22, v1, v12 :: v_dual_lshlrev_b32 v13, 2, v5
	v_mul_f32_e64 v5, v12, -v2
	v_mul_f32_e64 v23, v11, -v2
	;; [unrolled: 1-line block ×3, first 2 shown]
	s_delay_alu instid0(VALU_DEP_4) | instskip(NEXT) | instid1(VALU_DEP_4)
	v_ashrrev_i32_e32 v14, 31, v13
	v_fmac_f32_e32 v5, v1, v8
	s_delay_alu instid0(VALU_DEP_2) | instskip(SKIP_1) | instid1(VALU_DEP_1)
	v_lshlrev_b64_e32 v[13:14], 3, v[13:14]
	s_wait_kmcnt 0x0
	v_add_co_u32 v25, vcc_lo, s2, v13
	s_wait_alu 0xfffd
	s_delay_alu instid0(VALU_DEP_2)
	v_add_co_ci_u32_e64 v26, null, s3, v14, vcc_lo
	s_clause 0x1
	global_load_b128 v[13:16], v[25:26], off
	global_load_b128 v[17:20], v[25:26], off offset:16
	v_mul_f32_e32 v24, v1, v11
	v_mul_f32_e64 v11, v10, -v2
	s_delay_alu instid0(VALU_DEP_1) | instskip(SKIP_1) | instid1(VALU_DEP_1)
	v_dual_fmac_f32 v22, v2, v8 :: v_dual_fmac_f32 v11, v1, v6
	s_wait_loadcnt 0x1
	v_dual_fmac_f32 v27, v1, v7 :: v_dual_fmac_f32 v22, v4, v13
	s_wait_loadcnt 0x0
	s_delay_alu instid0(VALU_DEP_1) | instskip(SKIP_3) | instid1(VALU_DEP_4)
	v_dual_mul_f32 v12, v1, v9 :: v_dual_fmac_f32 v27, v3, v19
	v_fmac_f32_e32 v23, v1, v0
	v_fmac_f32_e32 v11, v3, v17
	;; [unrolled: 1-line block ×4, first 2 shown]
	s_delay_alu instid0(VALU_DEP_4) | instskip(NEXT) | instid1(VALU_DEP_4)
	v_dual_mul_f32 v10, v1, v10 :: v_dual_fmac_f32 v23, v3, v15
	v_fma_f32 v9, -v4, v18, v11
	v_fma_f32 v11, -v4, v20, v27
	s_delay_alu instid0(VALU_DEP_4) | instskip(NEXT) | instid1(VALU_DEP_4)
	v_fmac_f32_e32 v12, v4, v19
	v_dual_fmac_f32 v10, v2, v6 :: v_dual_fmac_f32 v5, v3, v13
	v_fmac_f32_e32 v24, v2, v0
	v_fma_f32 v23, -v4, v16, v23
	s_delay_alu instid0(VALU_DEP_4) | instskip(NEXT) | instid1(VALU_DEP_4)
	v_fmac_f32_e32 v12, v3, v20
	v_fmac_f32_e32 v10, v4, v17
	v_fma_f32 v21, -v4, v14, v5
	v_fmac_f32_e32 v24, v4, v15
	s_delay_alu instid0(VALU_DEP_3) | instskip(NEXT) | instid1(VALU_DEP_2)
	v_fmac_f32_e32 v10, v3, v18
	v_fmac_f32_e32 v24, v3, v16
	s_clause 0x1
	global_store_b128 v[25:26], v[21:24], off
	global_store_b128 v[25:26], v[9:12], off offset:16
.LBB76_21:
	s_endpgm
	.section	.rodata,"a",@progbits
	.p2align	6, 0x0
	.amdhsa_kernel _ZN9rocsparseL19gebsrmvn_4xn_kernelILj128ELj1ELj16E21rocsparse_complex_numIfEEEvi20rocsparse_direction_NS_24const_host_device_scalarIT2_EEPKiS8_PKS5_SA_S6_PS5_21rocsparse_index_base_b
		.amdhsa_group_segment_fixed_size 0
		.amdhsa_private_segment_fixed_size 0
		.amdhsa_kernarg_size 72
		.amdhsa_user_sgpr_count 2
		.amdhsa_user_sgpr_dispatch_ptr 0
		.amdhsa_user_sgpr_queue_ptr 0
		.amdhsa_user_sgpr_kernarg_segment_ptr 1
		.amdhsa_user_sgpr_dispatch_id 0
		.amdhsa_user_sgpr_private_segment_size 0
		.amdhsa_wavefront_size32 1
		.amdhsa_uses_dynamic_stack 0
		.amdhsa_enable_private_segment 0
		.amdhsa_system_sgpr_workgroup_id_x 1
		.amdhsa_system_sgpr_workgroup_id_y 0
		.amdhsa_system_sgpr_workgroup_id_z 0
		.amdhsa_system_sgpr_workgroup_info 0
		.amdhsa_system_vgpr_workitem_id 0
		.amdhsa_next_free_vgpr 30
		.amdhsa_next_free_sgpr 14
		.amdhsa_reserve_vcc 1
		.amdhsa_float_round_mode_32 0
		.amdhsa_float_round_mode_16_64 0
		.amdhsa_float_denorm_mode_32 3
		.amdhsa_float_denorm_mode_16_64 3
		.amdhsa_fp16_overflow 0
		.amdhsa_workgroup_processor_mode 1
		.amdhsa_memory_ordered 1
		.amdhsa_forward_progress 1
		.amdhsa_inst_pref_size 18
		.amdhsa_round_robin_scheduling 0
		.amdhsa_exception_fp_ieee_invalid_op 0
		.amdhsa_exception_fp_denorm_src 0
		.amdhsa_exception_fp_ieee_div_zero 0
		.amdhsa_exception_fp_ieee_overflow 0
		.amdhsa_exception_fp_ieee_underflow 0
		.amdhsa_exception_fp_ieee_inexact 0
		.amdhsa_exception_int_div_zero 0
	.end_amdhsa_kernel
	.section	.text._ZN9rocsparseL19gebsrmvn_4xn_kernelILj128ELj1ELj16E21rocsparse_complex_numIfEEEvi20rocsparse_direction_NS_24const_host_device_scalarIT2_EEPKiS8_PKS5_SA_S6_PS5_21rocsparse_index_base_b,"axG",@progbits,_ZN9rocsparseL19gebsrmvn_4xn_kernelILj128ELj1ELj16E21rocsparse_complex_numIfEEEvi20rocsparse_direction_NS_24const_host_device_scalarIT2_EEPKiS8_PKS5_SA_S6_PS5_21rocsparse_index_base_b,comdat
.Lfunc_end76:
	.size	_ZN9rocsparseL19gebsrmvn_4xn_kernelILj128ELj1ELj16E21rocsparse_complex_numIfEEEvi20rocsparse_direction_NS_24const_host_device_scalarIT2_EEPKiS8_PKS5_SA_S6_PS5_21rocsparse_index_base_b, .Lfunc_end76-_ZN9rocsparseL19gebsrmvn_4xn_kernelILj128ELj1ELj16E21rocsparse_complex_numIfEEEvi20rocsparse_direction_NS_24const_host_device_scalarIT2_EEPKiS8_PKS5_SA_S6_PS5_21rocsparse_index_base_b
                                        ; -- End function
	.set _ZN9rocsparseL19gebsrmvn_4xn_kernelILj128ELj1ELj16E21rocsparse_complex_numIfEEEvi20rocsparse_direction_NS_24const_host_device_scalarIT2_EEPKiS8_PKS5_SA_S6_PS5_21rocsparse_index_base_b.num_vgpr, 30
	.set _ZN9rocsparseL19gebsrmvn_4xn_kernelILj128ELj1ELj16E21rocsparse_complex_numIfEEEvi20rocsparse_direction_NS_24const_host_device_scalarIT2_EEPKiS8_PKS5_SA_S6_PS5_21rocsparse_index_base_b.num_agpr, 0
	.set _ZN9rocsparseL19gebsrmvn_4xn_kernelILj128ELj1ELj16E21rocsparse_complex_numIfEEEvi20rocsparse_direction_NS_24const_host_device_scalarIT2_EEPKiS8_PKS5_SA_S6_PS5_21rocsparse_index_base_b.numbered_sgpr, 14
	.set _ZN9rocsparseL19gebsrmvn_4xn_kernelILj128ELj1ELj16E21rocsparse_complex_numIfEEEvi20rocsparse_direction_NS_24const_host_device_scalarIT2_EEPKiS8_PKS5_SA_S6_PS5_21rocsparse_index_base_b.num_named_barrier, 0
	.set _ZN9rocsparseL19gebsrmvn_4xn_kernelILj128ELj1ELj16E21rocsparse_complex_numIfEEEvi20rocsparse_direction_NS_24const_host_device_scalarIT2_EEPKiS8_PKS5_SA_S6_PS5_21rocsparse_index_base_b.private_seg_size, 0
	.set _ZN9rocsparseL19gebsrmvn_4xn_kernelILj128ELj1ELj16E21rocsparse_complex_numIfEEEvi20rocsparse_direction_NS_24const_host_device_scalarIT2_EEPKiS8_PKS5_SA_S6_PS5_21rocsparse_index_base_b.uses_vcc, 1
	.set _ZN9rocsparseL19gebsrmvn_4xn_kernelILj128ELj1ELj16E21rocsparse_complex_numIfEEEvi20rocsparse_direction_NS_24const_host_device_scalarIT2_EEPKiS8_PKS5_SA_S6_PS5_21rocsparse_index_base_b.uses_flat_scratch, 0
	.set _ZN9rocsparseL19gebsrmvn_4xn_kernelILj128ELj1ELj16E21rocsparse_complex_numIfEEEvi20rocsparse_direction_NS_24const_host_device_scalarIT2_EEPKiS8_PKS5_SA_S6_PS5_21rocsparse_index_base_b.has_dyn_sized_stack, 0
	.set _ZN9rocsparseL19gebsrmvn_4xn_kernelILj128ELj1ELj16E21rocsparse_complex_numIfEEEvi20rocsparse_direction_NS_24const_host_device_scalarIT2_EEPKiS8_PKS5_SA_S6_PS5_21rocsparse_index_base_b.has_recursion, 0
	.set _ZN9rocsparseL19gebsrmvn_4xn_kernelILj128ELj1ELj16E21rocsparse_complex_numIfEEEvi20rocsparse_direction_NS_24const_host_device_scalarIT2_EEPKiS8_PKS5_SA_S6_PS5_21rocsparse_index_base_b.has_indirect_call, 0
	.section	.AMDGPU.csdata,"",@progbits
; Kernel info:
; codeLenInByte = 2188
; TotalNumSgprs: 16
; NumVgprs: 30
; ScratchSize: 0
; MemoryBound: 0
; FloatMode: 240
; IeeeMode: 1
; LDSByteSize: 0 bytes/workgroup (compile time only)
; SGPRBlocks: 0
; VGPRBlocks: 3
; NumSGPRsForWavesPerEU: 16
; NumVGPRsForWavesPerEU: 30
; Occupancy: 16
; WaveLimiterHint : 1
; COMPUTE_PGM_RSRC2:SCRATCH_EN: 0
; COMPUTE_PGM_RSRC2:USER_SGPR: 2
; COMPUTE_PGM_RSRC2:TRAP_HANDLER: 0
; COMPUTE_PGM_RSRC2:TGID_X_EN: 1
; COMPUTE_PGM_RSRC2:TGID_Y_EN: 0
; COMPUTE_PGM_RSRC2:TGID_Z_EN: 0
; COMPUTE_PGM_RSRC2:TIDIG_COMP_CNT: 0
	.section	.text._ZN9rocsparseL19gebsrmvn_4xn_kernelILj128ELj1ELj32E21rocsparse_complex_numIfEEEvi20rocsparse_direction_NS_24const_host_device_scalarIT2_EEPKiS8_PKS5_SA_S6_PS5_21rocsparse_index_base_b,"axG",@progbits,_ZN9rocsparseL19gebsrmvn_4xn_kernelILj128ELj1ELj32E21rocsparse_complex_numIfEEEvi20rocsparse_direction_NS_24const_host_device_scalarIT2_EEPKiS8_PKS5_SA_S6_PS5_21rocsparse_index_base_b,comdat
	.globl	_ZN9rocsparseL19gebsrmvn_4xn_kernelILj128ELj1ELj32E21rocsparse_complex_numIfEEEvi20rocsparse_direction_NS_24const_host_device_scalarIT2_EEPKiS8_PKS5_SA_S6_PS5_21rocsparse_index_base_b ; -- Begin function _ZN9rocsparseL19gebsrmvn_4xn_kernelILj128ELj1ELj32E21rocsparse_complex_numIfEEEvi20rocsparse_direction_NS_24const_host_device_scalarIT2_EEPKiS8_PKS5_SA_S6_PS5_21rocsparse_index_base_b
	.p2align	8
	.type	_ZN9rocsparseL19gebsrmvn_4xn_kernelILj128ELj1ELj32E21rocsparse_complex_numIfEEEvi20rocsparse_direction_NS_24const_host_device_scalarIT2_EEPKiS8_PKS5_SA_S6_PS5_21rocsparse_index_base_b,@function
_ZN9rocsparseL19gebsrmvn_4xn_kernelILj128ELj1ELj32E21rocsparse_complex_numIfEEEvi20rocsparse_direction_NS_24const_host_device_scalarIT2_EEPKiS8_PKS5_SA_S6_PS5_21rocsparse_index_base_b: ; @_ZN9rocsparseL19gebsrmvn_4xn_kernelILj128ELj1ELj32E21rocsparse_complex_numIfEEEvi20rocsparse_direction_NS_24const_host_device_scalarIT2_EEPKiS8_PKS5_SA_S6_PS5_21rocsparse_index_base_b
; %bb.0:
	s_clause 0x2
	s_load_b64 s[12:13], s[0:1], 0x40
	s_load_b64 s[2:3], s[0:1], 0x8
	;; [unrolled: 1-line block ×3, first 2 shown]
	s_add_nc_u64 s[6:7], s[0:1], 8
	s_wait_kmcnt 0x0
	s_bitcmp1_b32 s13, 0
	s_cselect_b32 s2, s6, s2
	s_cselect_b32 s3, s7, s3
	s_delay_alu instid0(SALU_CYCLE_1)
	v_dual_mov_b32 v1, s2 :: v_dual_mov_b32 v2, s3
	s_add_nc_u64 s[2:3], s[0:1], 48
	s_wait_alu 0xfffe
	s_cselect_b32 s2, s2, s4
	s_cselect_b32 s3, s3, s5
	flat_load_b64 v[1:2], v[1:2]
	s_wait_alu 0xfffe
	v_dual_mov_b32 v3, s2 :: v_dual_mov_b32 v4, s3
	flat_load_b64 v[3:4], v[3:4]
	s_wait_loadcnt_dscnt 0x101
	v_cmp_eq_f32_e32 vcc_lo, 0, v1
	v_cmp_eq_f32_e64 s2, 0, v2
	s_and_b32 s4, vcc_lo, s2
	s_mov_b32 s2, -1
	s_and_saveexec_b32 s3, s4
	s_cbranch_execz .LBB77_2
; %bb.1:
	s_wait_loadcnt_dscnt 0x0
	v_cmp_neq_f32_e32 vcc_lo, 1.0, v3
	v_cmp_neq_f32_e64 s2, 0, v4
	s_wait_alu 0xfffe
	s_or_b32 s2, vcc_lo, s2
	s_wait_alu 0xfffe
	s_or_not1_b32 s2, s2, exec_lo
.LBB77_2:
	s_wait_alu 0xfffe
	s_or_b32 exec_lo, exec_lo, s3
	s_and_saveexec_b32 s3, s2
	s_cbranch_execz .LBB77_21
; %bb.3:
	s_load_b64 s[2:3], s[0:1], 0x0
	v_lshrrev_b32_e32 v5, 5, v0
	s_delay_alu instid0(VALU_DEP_1) | instskip(SKIP_1) | instid1(VALU_DEP_1)
	v_lshl_or_b32 v5, ttmp9, 2, v5
	s_wait_kmcnt 0x0
	v_cmp_gt_i32_e32 vcc_lo, s2, v5
	s_and_b32 exec_lo, exec_lo, vcc_lo
	s_cbranch_execz .LBB77_21
; %bb.4:
	s_load_b256 s[4:11], s[0:1], 0x10
	v_ashrrev_i32_e32 v6, 31, v5
	v_and_b32_e32 v0, 31, v0
	s_cmp_lg_u32 s3, 0
	s_delay_alu instid0(VALU_DEP_2) | instskip(SKIP_1) | instid1(VALU_DEP_1)
	v_lshlrev_b64_e32 v[6:7], 2, v[5:6]
	s_wait_kmcnt 0x0
	v_add_co_u32 v6, vcc_lo, s4, v6
	s_delay_alu instid0(VALU_DEP_1) | instskip(SKIP_4) | instid1(VALU_DEP_2)
	v_add_co_ci_u32_e64 v7, null, s5, v7, vcc_lo
	global_load_b64 v[6:7], v[6:7], off
	s_wait_loadcnt 0x0
	v_subrev_nc_u32_e32 v6, s12, v6
	v_subrev_nc_u32_e32 v19, s12, v7
	v_add_nc_u32_e32 v6, v6, v0
	s_delay_alu instid0(VALU_DEP_1)
	v_cmp_lt_i32_e64 s2, v6, v19
	s_cbranch_scc0 .LBB77_10
; %bb.5:
	v_dual_mov_b32 v11, 0 :: v_dual_mov_b32 v12, 0
	v_dual_mov_b32 v13, 0 :: v_dual_mov_b32 v14, 0
	v_dual_mov_b32 v15, 0 :: v_dual_mov_b32 v16, 0
	v_dual_mov_b32 v17, 0 :: v_dual_mov_b32 v18, 0
	s_and_saveexec_b32 s3, s2
	s_cbranch_execz .LBB77_9
; %bb.6:
	v_dual_mov_b32 v8, 0 :: v_dual_lshlrev_b32 v7, 2, v6
	v_mov_b32_e32 v9, v6
	s_mov_b32 s4, 0
	s_delay_alu instid0(VALU_DEP_2)
	v_dual_mov_b32 v11, v8 :: v_dual_mov_b32 v14, v8
	v_dual_mov_b32 v13, v8 :: v_dual_mov_b32 v16, v8
	;; [unrolled: 1-line block ×4, first 2 shown]
.LBB77_7:                               ; =>This Inner Loop Header: Depth=1
	v_ashrrev_i32_e32 v10, 31, v9
	s_delay_alu instid0(VALU_DEP_1) | instskip(NEXT) | instid1(VALU_DEP_1)
	v_lshlrev_b64_e32 v[20:21], 2, v[9:10]
	v_add_co_u32 v20, vcc_lo, s6, v20
	s_wait_alu 0xfffd
	s_delay_alu instid0(VALU_DEP_2) | instskip(SKIP_2) | instid1(VALU_DEP_1)
	v_add_co_ci_u32_e64 v21, null, s7, v21, vcc_lo
	global_load_b32 v10, v[20:21], off
	v_lshlrev_b64_e32 v[20:21], 3, v[7:8]
	v_add_co_u32 v24, vcc_lo, s8, v20
	s_wait_alu 0xfffd
	s_delay_alu instid0(VALU_DEP_2)
	v_add_co_ci_u32_e64 v25, null, s9, v21, vcc_lo
	s_clause 0x1
	global_load_b128 v[20:23], v[24:25], off offset:16
	global_load_b128 v[24:27], v[24:25], off
	v_mov_b32_e32 v29, v8
	s_wait_loadcnt 0x2
	v_subrev_nc_u32_e32 v28, s12, v10
	s_delay_alu instid0(VALU_DEP_1) | instskip(NEXT) | instid1(VALU_DEP_1)
	v_lshlrev_b64_e32 v[28:29], 3, v[28:29]
	v_add_co_u32 v28, vcc_lo, s10, v28
	s_wait_alu 0xfffd
	s_delay_alu instid0(VALU_DEP_2)
	v_add_co_ci_u32_e64 v29, null, s11, v29, vcc_lo
	global_load_b64 v[28:29], v[28:29], off
	v_add_nc_u32_e32 v7, 0x80, v7
	s_wait_loadcnt 0x0
	v_dual_fmac_f32 v12, v22, v28 :: v_dual_add_nc_u32 v9, 32, v9
	v_fmac_f32_e32 v16, v21, v28
	v_fmac_f32_e32 v11, v25, v28
	;; [unrolled: 1-line block ×6, first 2 shown]
	v_dual_fmac_f32 v14, v23, v28 :: v_dual_fmac_f32 v11, v24, v29
	v_fmac_f32_e32 v15, v20, v28
	v_cmp_ge_i32_e32 vcc_lo, v9, v19
	v_fma_f32 v17, -v27, v29, v17
	v_fmac_f32_e32 v18, v26, v29
	v_fma_f32 v13, -v25, v29, v13
	v_fma_f32 v12, -v23, v29, v12
	v_fmac_f32_e32 v14, v22, v29
	v_fma_f32 v15, -v21, v29, v15
	s_wait_alu 0xfffe
	s_or_b32 s4, vcc_lo, s4
	s_wait_alu 0xfffe
	s_and_not1_b32 exec_lo, exec_lo, s4
	s_cbranch_execnz .LBB77_7
; %bb.8:
	s_or_b32 exec_lo, exec_lo, s4
.LBB77_9:
	s_wait_alu 0xfffe
	s_or_b32 exec_lo, exec_lo, s3
	s_cbranch_execz .LBB77_11
	s_branch .LBB77_16
.LBB77_10:
                                        ; implicit-def: $vgpr11
                                        ; implicit-def: $vgpr13
                                        ; implicit-def: $vgpr12
                                        ; implicit-def: $vgpr14
                                        ; implicit-def: $vgpr15
                                        ; implicit-def: $vgpr16
                                        ; implicit-def: $vgpr17
                                        ; implicit-def: $vgpr18
.LBB77_11:
	v_dual_mov_b32 v11, 0 :: v_dual_mov_b32 v12, 0
	v_dual_mov_b32 v13, 0 :: v_dual_mov_b32 v14, 0
	;; [unrolled: 1-line block ×4, first 2 shown]
	s_and_saveexec_b32 s3, s2
	s_cbranch_execz .LBB77_15
; %bb.12:
	v_dual_mov_b32 v9, 0 :: v_dual_lshlrev_b32 v8, 2, v6
	s_mov_b32 s2, 0
	s_delay_alu instid0(VALU_DEP_1)
	v_dual_mov_b32 v11, v9 :: v_dual_mov_b32 v12, v9
	v_dual_mov_b32 v13, v9 :: v_dual_mov_b32 v14, v9
	v_dual_mov_b32 v15, v9 :: v_dual_mov_b32 v16, v9
	v_dual_mov_b32 v17, v9 :: v_dual_mov_b32 v18, v9
.LBB77_13:                              ; =>This Inner Loop Header: Depth=1
	v_ashrrev_i32_e32 v7, 31, v6
	v_mov_b32_e32 v29, v9
	s_delay_alu instid0(VALU_DEP_2) | instskip(NEXT) | instid1(VALU_DEP_1)
	v_lshlrev_b64_e32 v[20:21], 2, v[6:7]
	v_add_co_u32 v20, vcc_lo, s6, v20
	s_wait_alu 0xfffd
	s_delay_alu instid0(VALU_DEP_2) | instskip(SKIP_3) | instid1(VALU_DEP_2)
	v_add_co_ci_u32_e64 v21, null, s7, v21, vcc_lo
	global_load_b32 v7, v[20:21], off
	v_lshlrev_b64_e32 v[20:21], 3, v[8:9]
	v_add_nc_u32_e32 v8, 0x80, v8
	v_add_co_u32 v24, vcc_lo, s8, v20
	s_wait_alu 0xfffd
	s_delay_alu instid0(VALU_DEP_3)
	v_add_co_ci_u32_e64 v25, null, s9, v21, vcc_lo
	s_clause 0x1
	global_load_b128 v[20:23], v[24:25], off offset:16
	global_load_b128 v[24:27], v[24:25], off
	s_wait_loadcnt 0x2
	v_subrev_nc_u32_e32 v28, s12, v7
	s_delay_alu instid0(VALU_DEP_1) | instskip(NEXT) | instid1(VALU_DEP_1)
	v_lshlrev_b64_e32 v[28:29], 3, v[28:29]
	v_add_co_u32 v28, vcc_lo, s10, v28
	s_wait_alu 0xfffd
	s_delay_alu instid0(VALU_DEP_2)
	v_add_co_ci_u32_e64 v29, null, s11, v29, vcc_lo
	global_load_b64 v[28:29], v[28:29], off
	s_wait_loadcnt 0x0
	v_dual_fmac_f32 v13, v24, v28 :: v_dual_add_nc_u32 v6, 32, v6
	v_fmac_f32_e32 v18, v27, v28
	v_fmac_f32_e32 v11, v25, v28
	;; [unrolled: 1-line block ×7, first 2 shown]
	v_cmp_ge_i32_e32 vcc_lo, v6, v19
	v_fma_f32 v13, -v25, v29, v13
	v_fmac_f32_e32 v18, v26, v29
	v_fmac_f32_e32 v11, v24, v29
	;; [unrolled: 1-line block ×3, first 2 shown]
	v_fma_f32 v17, -v27, v29, v17
	v_fma_f32 v12, -v23, v29, v12
	v_fmac_f32_e32 v14, v22, v29
	v_fma_f32 v15, -v21, v29, v15
	s_wait_alu 0xfffe
	s_or_b32 s2, vcc_lo, s2
	s_wait_alu 0xfffe
	s_and_not1_b32 exec_lo, exec_lo, s2
	s_cbranch_execnz .LBB77_13
; %bb.14:
	s_or_b32 exec_lo, exec_lo, s2
.LBB77_15:
	s_wait_alu 0xfffe
	s_or_b32 exec_lo, exec_lo, s3
.LBB77_16:
	v_mbcnt_lo_u32_b32 v6, -1, 0
	s_delay_alu instid0(VALU_DEP_1) | instskip(SKIP_1) | instid1(VALU_DEP_2)
	v_xor_b32_e32 v7, 16, v6
	v_xor_b32_e32 v23, 8, v6
	v_cmp_gt_i32_e32 vcc_lo, 32, v7
	s_wait_alu 0xfffd
	v_cndmask_b32_e32 v7, v6, v7, vcc_lo
	s_delay_alu instid0(VALU_DEP_3) | instskip(NEXT) | instid1(VALU_DEP_2)
	v_cmp_gt_i32_e32 vcc_lo, 32, v23
	v_lshlrev_b32_e32 v7, 2, v7
	ds_bpermute_b32 v10, v7, v17
	s_wait_dscnt 0x0
	v_add_f32_e32 v10, v17, v10
	ds_bpermute_b32 v8, v7, v13
	ds_bpermute_b32 v22, v7, v12
	;; [unrolled: 1-line block ×7, first 2 shown]
	s_wait_dscnt 0x6
	s_wait_alu 0xfffd
	v_dual_cndmask_b32 v23, v6, v23 :: v_dual_add_f32 v8, v13, v8
	s_wait_dscnt 0x5
	s_delay_alu instid0(VALU_DEP_1)
	v_dual_add_f32 v12, v12, v22 :: v_dual_lshlrev_b32 v23, 2, v23
	s_wait_dscnt 0x0
	v_add_f32_e32 v7, v14, v7
	ds_bpermute_b32 v14, v23, v8
	s_wait_dscnt 0x0
	v_add_f32_e32 v8, v8, v14
	ds_bpermute_b32 v17, v23, v10
	v_add_f32_e32 v13, v15, v20
	v_add_f32_e32 v15, v16, v21
	ds_bpermute_b32 v21, v23, v12
	v_add_f32_e32 v9, v11, v9
	ds_bpermute_b32 v20, v23, v15
	;; [unrolled: 2-line block ×3, first 2 shown]
	s_wait_dscnt 0x3
	v_add_f32_e32 v10, v10, v17
	ds_bpermute_b32 v19, v23, v13
	s_wait_dscnt 0x3
	v_add_f32_e32 v12, v12, v21
	ds_bpermute_b32 v22, v23, v7
	;; [unrolled: 3-line block ×3, first 2 shown]
	v_xor_b32_e32 v23, 4, v6
	s_delay_alu instid0(VALU_DEP_1) | instskip(SKIP_4) | instid1(VALU_DEP_2)
	v_cmp_gt_i32_e32 vcc_lo, 32, v23
	s_wait_alu 0xfffd
	v_cndmask_b32_e32 v23, v6, v23, vcc_lo
	s_wait_dscnt 0x2
	v_add_f32_e32 v13, v13, v19
	v_lshlrev_b32_e32 v23, 2, v23
	s_wait_dscnt 0x1
	v_add_f32_e32 v7, v7, v22
	ds_bpermute_b32 v15, v23, v8
	ds_bpermute_b32 v20, v23, v14
	s_wait_dscnt 0x1
	v_dual_add_f32 v8, v8, v15 :: v_dual_add_f32 v9, v9, v16
	v_add_f32_e32 v11, v11, v18
	ds_bpermute_b32 v16, v23, v9
	ds_bpermute_b32 v18, v23, v11
	s_wait_dscnt 0x0
	v_dual_add_f32 v9, v9, v16 :: v_dual_add_f32 v16, v11, v18
	v_add_f32_e32 v18, v14, v20
	ds_bpermute_b32 v17, v23, v10
	ds_bpermute_b32 v19, v23, v13
	;; [unrolled: 1-line block ×4, first 2 shown]
	v_xor_b32_e32 v23, 2, v6
	s_delay_alu instid0(VALU_DEP_1)
	v_cmp_gt_i32_e32 vcc_lo, 32, v23
	s_wait_alu 0xfffd
	v_cndmask_b32_e32 v23, v6, v23, vcc_lo
	s_wait_dscnt 0x3
	v_add_f32_e32 v15, v10, v17
	s_wait_dscnt 0x2
	v_add_f32_e32 v17, v13, v19
	s_wait_dscnt 0x1
	v_dual_add_f32 v12, v12, v21 :: v_dual_lshlrev_b32 v23, 2, v23
	s_wait_dscnt 0x0
	v_add_f32_e32 v19, v7, v22
	ds_bpermute_b32 v14, v23, v17
	s_wait_dscnt 0x0
	v_add_f32_e32 v14, v17, v14
	ds_bpermute_b32 v7, v23, v8
	ds_bpermute_b32 v10, v23, v9
	;; [unrolled: 1-line block ×7, first 2 shown]
	v_xor_b32_e32 v23, 1, v6
	s_delay_alu instid0(VALU_DEP_1)
	v_cmp_gt_i32_e32 vcc_lo, 32, v23
	s_wait_alu 0xfffd
	v_cndmask_b32_e32 v6, v6, v23, vcc_lo
	v_cmp_eq_u32_e32 vcc_lo, 31, v0
	s_wait_dscnt 0x5
	v_add_f32_e32 v10, v9, v10
	s_delay_alu instid0(VALU_DEP_3)
	v_dual_add_f32 v6, v8, v7 :: v_dual_lshlrev_b32 v23, 2, v6
	s_wait_dscnt 0x4
	v_add_f32_e32 v11, v15, v11
	s_wait_dscnt 0x3
	v_add_f32_e32 v13, v16, v13
	;; [unrolled: 2-line block ×5, first 2 shown]
	ds_bpermute_b32 v8, v23, v6
	ds_bpermute_b32 v12, v23, v10
	;; [unrolled: 1-line block ×8, first 2 shown]
	s_and_b32 exec_lo, exec_lo, vcc_lo
	s_cbranch_execz .LBB77_21
; %bb.17:
	s_load_b64 s[2:3], s[0:1], 0x38
	v_cmp_eq_f32_e32 vcc_lo, 0, v3
	v_cmp_eq_f32_e64 s0, 0, v4
	s_wait_dscnt 0x7
	v_add_f32_e32 v8, v6, v8
	s_wait_dscnt 0x0
	v_dual_add_f32 v12, v10, v12 :: v_dual_add_f32 v9, v9, v17
	v_dual_add_f32 v0, v11, v18 :: v_dual_add_f32 v11, v13, v19
	v_add_f32_e32 v6, v14, v20
	v_add_f32_e32 v10, v15, v21
	;; [unrolled: 1-line block ×3, first 2 shown]
	s_and_b32 s0, vcc_lo, s0
	s_wait_alu 0xfffe
	s_and_saveexec_b32 s1, s0
	s_wait_alu 0xfffe
	s_xor_b32 s0, exec_lo, s1
	s_cbranch_execz .LBB77_19
; %bb.18:
	v_dual_mul_f32 v14, v1, v12 :: v_dual_lshlrev_b32 v3, 2, v5
	v_mul_f32_e64 v13, v12, -v2
	v_mul_f32_e64 v15, v11, -v2
	v_mul_f32_e32 v16, v1, v11
	s_delay_alu instid0(VALU_DEP_4)
	v_ashrrev_i32_e32 v4, 31, v3
	v_mul_f32_e64 v17, v10, -v2
	v_mul_f32_e32 v18, v1, v10
	v_mul_f32_e64 v19, v9, -v2
	v_mul_f32_e32 v20, v1, v9
	v_lshlrev_b64_e32 v[3:4], 3, v[3:4]
	s_delay_alu instid0(VALU_DEP_4) | instskip(SKIP_1) | instid1(VALU_DEP_4)
	v_dual_fmac_f32 v13, v1, v8 :: v_dual_fmac_f32 v18, v2, v6
	v_dual_fmac_f32 v14, v2, v8 :: v_dual_fmac_f32 v17, v1, v6
	;; [unrolled: 1-line block ×3, first 2 shown]
	s_wait_kmcnt 0x0
	s_delay_alu instid0(VALU_DEP_4)
	v_add_co_u32 v3, vcc_lo, s2, v3
	s_wait_alu 0xfffd
	v_add_co_ci_u32_e64 v4, null, s3, v4, vcc_lo
	v_dual_fmac_f32 v16, v2, v0 :: v_dual_fmac_f32 v19, v1, v7
	s_clause 0x1
	global_store_b128 v[3:4], v[13:16], off
	global_store_b128 v[3:4], v[17:20], off offset:16
                                        ; implicit-def: $vgpr5
                                        ; implicit-def: $vgpr8
                                        ; implicit-def: $vgpr12
                                        ; implicit-def: $vgpr0
                                        ; implicit-def: $vgpr11
                                        ; implicit-def: $vgpr6
                                        ; implicit-def: $vgpr10
                                        ; implicit-def: $vgpr7
                                        ; implicit-def: $vgpr9
                                        ; implicit-def: $vgpr1_vgpr2
                                        ; implicit-def: $vgpr3_vgpr4
.LBB77_19:
	s_wait_alu 0xfffe
	s_and_not1_saveexec_b32 s0, s0
	s_cbranch_execz .LBB77_21
; %bb.20:
	v_dual_mul_f32 v22, v1, v12 :: v_dual_lshlrev_b32 v13, 2, v5
	v_mul_f32_e64 v5, v12, -v2
	v_mul_f32_e64 v23, v11, -v2
	;; [unrolled: 1-line block ×3, first 2 shown]
	s_delay_alu instid0(VALU_DEP_4) | instskip(NEXT) | instid1(VALU_DEP_4)
	v_ashrrev_i32_e32 v14, 31, v13
	v_fmac_f32_e32 v5, v1, v8
	s_delay_alu instid0(VALU_DEP_2) | instskip(SKIP_1) | instid1(VALU_DEP_1)
	v_lshlrev_b64_e32 v[13:14], 3, v[13:14]
	s_wait_kmcnt 0x0
	v_add_co_u32 v25, vcc_lo, s2, v13
	s_wait_alu 0xfffd
	s_delay_alu instid0(VALU_DEP_2)
	v_add_co_ci_u32_e64 v26, null, s3, v14, vcc_lo
	s_clause 0x1
	global_load_b128 v[13:16], v[25:26], off
	global_load_b128 v[17:20], v[25:26], off offset:16
	v_mul_f32_e32 v24, v1, v11
	v_mul_f32_e64 v11, v10, -v2
	s_delay_alu instid0(VALU_DEP_1) | instskip(SKIP_1) | instid1(VALU_DEP_1)
	v_dual_fmac_f32 v22, v2, v8 :: v_dual_fmac_f32 v11, v1, v6
	s_wait_loadcnt 0x1
	v_dual_fmac_f32 v27, v1, v7 :: v_dual_fmac_f32 v22, v4, v13
	s_wait_loadcnt 0x0
	s_delay_alu instid0(VALU_DEP_1) | instskip(SKIP_3) | instid1(VALU_DEP_4)
	v_dual_mul_f32 v12, v1, v9 :: v_dual_fmac_f32 v27, v3, v19
	v_fmac_f32_e32 v23, v1, v0
	v_fmac_f32_e32 v11, v3, v17
	;; [unrolled: 1-line block ×4, first 2 shown]
	s_delay_alu instid0(VALU_DEP_4) | instskip(NEXT) | instid1(VALU_DEP_4)
	v_dual_mul_f32 v10, v1, v10 :: v_dual_fmac_f32 v23, v3, v15
	v_fma_f32 v9, -v4, v18, v11
	v_fma_f32 v11, -v4, v20, v27
	s_delay_alu instid0(VALU_DEP_4) | instskip(NEXT) | instid1(VALU_DEP_4)
	v_fmac_f32_e32 v12, v4, v19
	v_dual_fmac_f32 v10, v2, v6 :: v_dual_fmac_f32 v5, v3, v13
	v_fmac_f32_e32 v24, v2, v0
	v_fma_f32 v23, -v4, v16, v23
	s_delay_alu instid0(VALU_DEP_4) | instskip(NEXT) | instid1(VALU_DEP_4)
	v_fmac_f32_e32 v12, v3, v20
	v_fmac_f32_e32 v10, v4, v17
	v_fma_f32 v21, -v4, v14, v5
	v_fmac_f32_e32 v24, v4, v15
	s_delay_alu instid0(VALU_DEP_3) | instskip(NEXT) | instid1(VALU_DEP_2)
	v_fmac_f32_e32 v10, v3, v18
	v_fmac_f32_e32 v24, v3, v16
	s_clause 0x1
	global_store_b128 v[25:26], v[21:24], off
	global_store_b128 v[25:26], v[9:12], off offset:16
.LBB77_21:
	s_endpgm
	.section	.rodata,"a",@progbits
	.p2align	6, 0x0
	.amdhsa_kernel _ZN9rocsparseL19gebsrmvn_4xn_kernelILj128ELj1ELj32E21rocsparse_complex_numIfEEEvi20rocsparse_direction_NS_24const_host_device_scalarIT2_EEPKiS8_PKS5_SA_S6_PS5_21rocsparse_index_base_b
		.amdhsa_group_segment_fixed_size 0
		.amdhsa_private_segment_fixed_size 0
		.amdhsa_kernarg_size 72
		.amdhsa_user_sgpr_count 2
		.amdhsa_user_sgpr_dispatch_ptr 0
		.amdhsa_user_sgpr_queue_ptr 0
		.amdhsa_user_sgpr_kernarg_segment_ptr 1
		.amdhsa_user_sgpr_dispatch_id 0
		.amdhsa_user_sgpr_private_segment_size 0
		.amdhsa_wavefront_size32 1
		.amdhsa_uses_dynamic_stack 0
		.amdhsa_enable_private_segment 0
		.amdhsa_system_sgpr_workgroup_id_x 1
		.amdhsa_system_sgpr_workgroup_id_y 0
		.amdhsa_system_sgpr_workgroup_id_z 0
		.amdhsa_system_sgpr_workgroup_info 0
		.amdhsa_system_vgpr_workitem_id 0
		.amdhsa_next_free_vgpr 30
		.amdhsa_next_free_sgpr 14
		.amdhsa_reserve_vcc 1
		.amdhsa_float_round_mode_32 0
		.amdhsa_float_round_mode_16_64 0
		.amdhsa_float_denorm_mode_32 3
		.amdhsa_float_denorm_mode_16_64 3
		.amdhsa_fp16_overflow 0
		.amdhsa_workgroup_processor_mode 1
		.amdhsa_memory_ordered 1
		.amdhsa_forward_progress 1
		.amdhsa_inst_pref_size 19
		.amdhsa_round_robin_scheduling 0
		.amdhsa_exception_fp_ieee_invalid_op 0
		.amdhsa_exception_fp_denorm_src 0
		.amdhsa_exception_fp_ieee_div_zero 0
		.amdhsa_exception_fp_ieee_overflow 0
		.amdhsa_exception_fp_ieee_underflow 0
		.amdhsa_exception_fp_ieee_inexact 0
		.amdhsa_exception_int_div_zero 0
	.end_amdhsa_kernel
	.section	.text._ZN9rocsparseL19gebsrmvn_4xn_kernelILj128ELj1ELj32E21rocsparse_complex_numIfEEEvi20rocsparse_direction_NS_24const_host_device_scalarIT2_EEPKiS8_PKS5_SA_S6_PS5_21rocsparse_index_base_b,"axG",@progbits,_ZN9rocsparseL19gebsrmvn_4xn_kernelILj128ELj1ELj32E21rocsparse_complex_numIfEEEvi20rocsparse_direction_NS_24const_host_device_scalarIT2_EEPKiS8_PKS5_SA_S6_PS5_21rocsparse_index_base_b,comdat
.Lfunc_end77:
	.size	_ZN9rocsparseL19gebsrmvn_4xn_kernelILj128ELj1ELj32E21rocsparse_complex_numIfEEEvi20rocsparse_direction_NS_24const_host_device_scalarIT2_EEPKiS8_PKS5_SA_S6_PS5_21rocsparse_index_base_b, .Lfunc_end77-_ZN9rocsparseL19gebsrmvn_4xn_kernelILj128ELj1ELj32E21rocsparse_complex_numIfEEEvi20rocsparse_direction_NS_24const_host_device_scalarIT2_EEPKiS8_PKS5_SA_S6_PS5_21rocsparse_index_base_b
                                        ; -- End function
	.set _ZN9rocsparseL19gebsrmvn_4xn_kernelILj128ELj1ELj32E21rocsparse_complex_numIfEEEvi20rocsparse_direction_NS_24const_host_device_scalarIT2_EEPKiS8_PKS5_SA_S6_PS5_21rocsparse_index_base_b.num_vgpr, 30
	.set _ZN9rocsparseL19gebsrmvn_4xn_kernelILj128ELj1ELj32E21rocsparse_complex_numIfEEEvi20rocsparse_direction_NS_24const_host_device_scalarIT2_EEPKiS8_PKS5_SA_S6_PS5_21rocsparse_index_base_b.num_agpr, 0
	.set _ZN9rocsparseL19gebsrmvn_4xn_kernelILj128ELj1ELj32E21rocsparse_complex_numIfEEEvi20rocsparse_direction_NS_24const_host_device_scalarIT2_EEPKiS8_PKS5_SA_S6_PS5_21rocsparse_index_base_b.numbered_sgpr, 14
	.set _ZN9rocsparseL19gebsrmvn_4xn_kernelILj128ELj1ELj32E21rocsparse_complex_numIfEEEvi20rocsparse_direction_NS_24const_host_device_scalarIT2_EEPKiS8_PKS5_SA_S6_PS5_21rocsparse_index_base_b.num_named_barrier, 0
	.set _ZN9rocsparseL19gebsrmvn_4xn_kernelILj128ELj1ELj32E21rocsparse_complex_numIfEEEvi20rocsparse_direction_NS_24const_host_device_scalarIT2_EEPKiS8_PKS5_SA_S6_PS5_21rocsparse_index_base_b.private_seg_size, 0
	.set _ZN9rocsparseL19gebsrmvn_4xn_kernelILj128ELj1ELj32E21rocsparse_complex_numIfEEEvi20rocsparse_direction_NS_24const_host_device_scalarIT2_EEPKiS8_PKS5_SA_S6_PS5_21rocsparse_index_base_b.uses_vcc, 1
	.set _ZN9rocsparseL19gebsrmvn_4xn_kernelILj128ELj1ELj32E21rocsparse_complex_numIfEEEvi20rocsparse_direction_NS_24const_host_device_scalarIT2_EEPKiS8_PKS5_SA_S6_PS5_21rocsparse_index_base_b.uses_flat_scratch, 0
	.set _ZN9rocsparseL19gebsrmvn_4xn_kernelILj128ELj1ELj32E21rocsparse_complex_numIfEEEvi20rocsparse_direction_NS_24const_host_device_scalarIT2_EEPKiS8_PKS5_SA_S6_PS5_21rocsparse_index_base_b.has_dyn_sized_stack, 0
	.set _ZN9rocsparseL19gebsrmvn_4xn_kernelILj128ELj1ELj32E21rocsparse_complex_numIfEEEvi20rocsparse_direction_NS_24const_host_device_scalarIT2_EEPKiS8_PKS5_SA_S6_PS5_21rocsparse_index_base_b.has_recursion, 0
	.set _ZN9rocsparseL19gebsrmvn_4xn_kernelILj128ELj1ELj32E21rocsparse_complex_numIfEEEvi20rocsparse_direction_NS_24const_host_device_scalarIT2_EEPKiS8_PKS5_SA_S6_PS5_21rocsparse_index_base_b.has_indirect_call, 0
	.section	.AMDGPU.csdata,"",@progbits
; Kernel info:
; codeLenInByte = 2340
; TotalNumSgprs: 16
; NumVgprs: 30
; ScratchSize: 0
; MemoryBound: 0
; FloatMode: 240
; IeeeMode: 1
; LDSByteSize: 0 bytes/workgroup (compile time only)
; SGPRBlocks: 0
; VGPRBlocks: 3
; NumSGPRsForWavesPerEU: 16
; NumVGPRsForWavesPerEU: 30
; Occupancy: 16
; WaveLimiterHint : 1
; COMPUTE_PGM_RSRC2:SCRATCH_EN: 0
; COMPUTE_PGM_RSRC2:USER_SGPR: 2
; COMPUTE_PGM_RSRC2:TRAP_HANDLER: 0
; COMPUTE_PGM_RSRC2:TGID_X_EN: 1
; COMPUTE_PGM_RSRC2:TGID_Y_EN: 0
; COMPUTE_PGM_RSRC2:TGID_Z_EN: 0
; COMPUTE_PGM_RSRC2:TIDIG_COMP_CNT: 0
	.section	.text._ZN9rocsparseL19gebsrmvn_4xn_kernelILj128ELj1ELj64E21rocsparse_complex_numIfEEEvi20rocsparse_direction_NS_24const_host_device_scalarIT2_EEPKiS8_PKS5_SA_S6_PS5_21rocsparse_index_base_b,"axG",@progbits,_ZN9rocsparseL19gebsrmvn_4xn_kernelILj128ELj1ELj64E21rocsparse_complex_numIfEEEvi20rocsparse_direction_NS_24const_host_device_scalarIT2_EEPKiS8_PKS5_SA_S6_PS5_21rocsparse_index_base_b,comdat
	.globl	_ZN9rocsparseL19gebsrmvn_4xn_kernelILj128ELj1ELj64E21rocsparse_complex_numIfEEEvi20rocsparse_direction_NS_24const_host_device_scalarIT2_EEPKiS8_PKS5_SA_S6_PS5_21rocsparse_index_base_b ; -- Begin function _ZN9rocsparseL19gebsrmvn_4xn_kernelILj128ELj1ELj64E21rocsparse_complex_numIfEEEvi20rocsparse_direction_NS_24const_host_device_scalarIT2_EEPKiS8_PKS5_SA_S6_PS5_21rocsparse_index_base_b
	.p2align	8
	.type	_ZN9rocsparseL19gebsrmvn_4xn_kernelILj128ELj1ELj64E21rocsparse_complex_numIfEEEvi20rocsparse_direction_NS_24const_host_device_scalarIT2_EEPKiS8_PKS5_SA_S6_PS5_21rocsparse_index_base_b,@function
_ZN9rocsparseL19gebsrmvn_4xn_kernelILj128ELj1ELj64E21rocsparse_complex_numIfEEEvi20rocsparse_direction_NS_24const_host_device_scalarIT2_EEPKiS8_PKS5_SA_S6_PS5_21rocsparse_index_base_b: ; @_ZN9rocsparseL19gebsrmvn_4xn_kernelILj128ELj1ELj64E21rocsparse_complex_numIfEEEvi20rocsparse_direction_NS_24const_host_device_scalarIT2_EEPKiS8_PKS5_SA_S6_PS5_21rocsparse_index_base_b
; %bb.0:
	s_clause 0x2
	s_load_b64 s[12:13], s[0:1], 0x40
	s_load_b64 s[2:3], s[0:1], 0x8
	;; [unrolled: 1-line block ×3, first 2 shown]
	s_add_nc_u64 s[6:7], s[0:1], 8
	s_wait_kmcnt 0x0
	s_bitcmp1_b32 s13, 0
	s_cselect_b32 s2, s6, s2
	s_cselect_b32 s3, s7, s3
	s_delay_alu instid0(SALU_CYCLE_1)
	v_dual_mov_b32 v1, s2 :: v_dual_mov_b32 v2, s3
	s_add_nc_u64 s[2:3], s[0:1], 48
	s_wait_alu 0xfffe
	s_cselect_b32 s2, s2, s4
	s_cselect_b32 s3, s3, s5
	flat_load_b64 v[1:2], v[1:2]
	s_wait_alu 0xfffe
	v_dual_mov_b32 v3, s2 :: v_dual_mov_b32 v4, s3
	flat_load_b64 v[3:4], v[3:4]
	s_wait_loadcnt_dscnt 0x101
	v_cmp_eq_f32_e32 vcc_lo, 0, v1
	v_cmp_eq_f32_e64 s2, 0, v2
	s_and_b32 s4, vcc_lo, s2
	s_mov_b32 s2, -1
	s_and_saveexec_b32 s3, s4
	s_cbranch_execz .LBB78_2
; %bb.1:
	s_wait_loadcnt_dscnt 0x0
	v_cmp_neq_f32_e32 vcc_lo, 1.0, v3
	v_cmp_neq_f32_e64 s2, 0, v4
	s_wait_alu 0xfffe
	s_or_b32 s2, vcc_lo, s2
	s_wait_alu 0xfffe
	s_or_not1_b32 s2, s2, exec_lo
.LBB78_2:
	s_wait_alu 0xfffe
	s_or_b32 exec_lo, exec_lo, s3
	s_and_saveexec_b32 s3, s2
	s_cbranch_execz .LBB78_21
; %bb.3:
	s_load_b64 s[2:3], s[0:1], 0x0
	v_lshrrev_b32_e32 v5, 6, v0
	s_delay_alu instid0(VALU_DEP_1) | instskip(SKIP_1) | instid1(VALU_DEP_1)
	v_lshl_or_b32 v5, ttmp9, 1, v5
	s_wait_kmcnt 0x0
	v_cmp_gt_i32_e32 vcc_lo, s2, v5
	s_and_b32 exec_lo, exec_lo, vcc_lo
	s_cbranch_execz .LBB78_21
; %bb.4:
	s_load_b256 s[4:11], s[0:1], 0x10
	v_ashrrev_i32_e32 v6, 31, v5
	v_and_b32_e32 v0, 63, v0
	s_cmp_lg_u32 s3, 0
	s_delay_alu instid0(VALU_DEP_2) | instskip(SKIP_1) | instid1(VALU_DEP_1)
	v_lshlrev_b64_e32 v[6:7], 2, v[5:6]
	s_wait_kmcnt 0x0
	v_add_co_u32 v6, vcc_lo, s4, v6
	s_delay_alu instid0(VALU_DEP_1) | instskip(SKIP_4) | instid1(VALU_DEP_2)
	v_add_co_ci_u32_e64 v7, null, s5, v7, vcc_lo
	global_load_b64 v[6:7], v[6:7], off
	s_wait_loadcnt 0x0
	v_subrev_nc_u32_e32 v6, s12, v6
	v_subrev_nc_u32_e32 v19, s12, v7
	v_add_nc_u32_e32 v6, v6, v0
	s_delay_alu instid0(VALU_DEP_1)
	v_cmp_lt_i32_e64 s2, v6, v19
	s_cbranch_scc0 .LBB78_10
; %bb.5:
	v_dual_mov_b32 v11, 0 :: v_dual_mov_b32 v12, 0
	v_dual_mov_b32 v13, 0 :: v_dual_mov_b32 v14, 0
	;; [unrolled: 1-line block ×4, first 2 shown]
	s_and_saveexec_b32 s3, s2
	s_cbranch_execz .LBB78_9
; %bb.6:
	v_dual_mov_b32 v8, 0 :: v_dual_lshlrev_b32 v7, 2, v6
	v_mov_b32_e32 v9, v6
	s_mov_b32 s4, 0
	s_delay_alu instid0(VALU_DEP_2)
	v_dual_mov_b32 v11, v8 :: v_dual_mov_b32 v14, v8
	v_dual_mov_b32 v13, v8 :: v_dual_mov_b32 v16, v8
	v_dual_mov_b32 v12, v8 :: v_dual_mov_b32 v15, v8
	v_dual_mov_b32 v18, v8 :: v_dual_mov_b32 v17, v8
.LBB78_7:                               ; =>This Inner Loop Header: Depth=1
	v_ashrrev_i32_e32 v10, 31, v9
	s_delay_alu instid0(VALU_DEP_1) | instskip(NEXT) | instid1(VALU_DEP_1)
	v_lshlrev_b64_e32 v[20:21], 2, v[9:10]
	v_add_co_u32 v20, vcc_lo, s6, v20
	s_wait_alu 0xfffd
	s_delay_alu instid0(VALU_DEP_2) | instskip(SKIP_2) | instid1(VALU_DEP_1)
	v_add_co_ci_u32_e64 v21, null, s7, v21, vcc_lo
	global_load_b32 v10, v[20:21], off
	v_lshlrev_b64_e32 v[20:21], 3, v[7:8]
	v_add_co_u32 v24, vcc_lo, s8, v20
	s_wait_alu 0xfffd
	s_delay_alu instid0(VALU_DEP_2)
	v_add_co_ci_u32_e64 v25, null, s9, v21, vcc_lo
	s_clause 0x1
	global_load_b128 v[20:23], v[24:25], off offset:16
	global_load_b128 v[24:27], v[24:25], off
	v_mov_b32_e32 v29, v8
	s_wait_loadcnt 0x2
	v_subrev_nc_u32_e32 v28, s12, v10
	s_delay_alu instid0(VALU_DEP_1) | instskip(NEXT) | instid1(VALU_DEP_1)
	v_lshlrev_b64_e32 v[28:29], 3, v[28:29]
	v_add_co_u32 v28, vcc_lo, s10, v28
	s_wait_alu 0xfffd
	s_delay_alu instid0(VALU_DEP_2)
	v_add_co_ci_u32_e64 v29, null, s11, v29, vcc_lo
	global_load_b64 v[28:29], v[28:29], off
	v_add_nc_u32_e32 v7, 0x100, v7
	s_wait_loadcnt 0x0
	v_dual_fmac_f32 v12, v22, v28 :: v_dual_add_nc_u32 v9, 64, v9
	v_fmac_f32_e32 v16, v21, v28
	v_fmac_f32_e32 v11, v25, v28
	;; [unrolled: 1-line block ×6, first 2 shown]
	v_dual_fmac_f32 v14, v23, v28 :: v_dual_fmac_f32 v11, v24, v29
	v_fmac_f32_e32 v15, v20, v28
	v_cmp_ge_i32_e32 vcc_lo, v9, v19
	v_fma_f32 v17, -v27, v29, v17
	v_fmac_f32_e32 v18, v26, v29
	v_fma_f32 v13, -v25, v29, v13
	v_fma_f32 v12, -v23, v29, v12
	v_fmac_f32_e32 v14, v22, v29
	v_fma_f32 v15, -v21, v29, v15
	s_wait_alu 0xfffe
	s_or_b32 s4, vcc_lo, s4
	s_wait_alu 0xfffe
	s_and_not1_b32 exec_lo, exec_lo, s4
	s_cbranch_execnz .LBB78_7
; %bb.8:
	s_or_b32 exec_lo, exec_lo, s4
.LBB78_9:
	s_wait_alu 0xfffe
	s_or_b32 exec_lo, exec_lo, s3
	s_cbranch_execz .LBB78_11
	s_branch .LBB78_16
.LBB78_10:
                                        ; implicit-def: $vgpr11
                                        ; implicit-def: $vgpr13
                                        ; implicit-def: $vgpr12
                                        ; implicit-def: $vgpr14
                                        ; implicit-def: $vgpr15
                                        ; implicit-def: $vgpr16
                                        ; implicit-def: $vgpr17
                                        ; implicit-def: $vgpr18
.LBB78_11:
	v_dual_mov_b32 v11, 0 :: v_dual_mov_b32 v12, 0
	v_dual_mov_b32 v13, 0 :: v_dual_mov_b32 v14, 0
	;; [unrolled: 1-line block ×4, first 2 shown]
	s_and_saveexec_b32 s3, s2
	s_cbranch_execz .LBB78_15
; %bb.12:
	v_dual_mov_b32 v9, 0 :: v_dual_lshlrev_b32 v8, 2, v6
	s_mov_b32 s2, 0
	s_delay_alu instid0(VALU_DEP_1)
	v_dual_mov_b32 v11, v9 :: v_dual_mov_b32 v12, v9
	v_dual_mov_b32 v13, v9 :: v_dual_mov_b32 v14, v9
	;; [unrolled: 1-line block ×4, first 2 shown]
.LBB78_13:                              ; =>This Inner Loop Header: Depth=1
	v_ashrrev_i32_e32 v7, 31, v6
	v_mov_b32_e32 v29, v9
	s_delay_alu instid0(VALU_DEP_2) | instskip(NEXT) | instid1(VALU_DEP_1)
	v_lshlrev_b64_e32 v[20:21], 2, v[6:7]
	v_add_co_u32 v20, vcc_lo, s6, v20
	s_wait_alu 0xfffd
	s_delay_alu instid0(VALU_DEP_2) | instskip(SKIP_3) | instid1(VALU_DEP_2)
	v_add_co_ci_u32_e64 v21, null, s7, v21, vcc_lo
	global_load_b32 v7, v[20:21], off
	v_lshlrev_b64_e32 v[20:21], 3, v[8:9]
	v_add_nc_u32_e32 v8, 0x100, v8
	v_add_co_u32 v24, vcc_lo, s8, v20
	s_wait_alu 0xfffd
	s_delay_alu instid0(VALU_DEP_3)
	v_add_co_ci_u32_e64 v25, null, s9, v21, vcc_lo
	s_clause 0x1
	global_load_b128 v[20:23], v[24:25], off offset:16
	global_load_b128 v[24:27], v[24:25], off
	s_wait_loadcnt 0x2
	v_subrev_nc_u32_e32 v28, s12, v7
	s_delay_alu instid0(VALU_DEP_1) | instskip(NEXT) | instid1(VALU_DEP_1)
	v_lshlrev_b64_e32 v[28:29], 3, v[28:29]
	v_add_co_u32 v28, vcc_lo, s10, v28
	s_wait_alu 0xfffd
	s_delay_alu instid0(VALU_DEP_2)
	v_add_co_ci_u32_e64 v29, null, s11, v29, vcc_lo
	global_load_b64 v[28:29], v[28:29], off
	s_wait_loadcnt 0x0
	v_dual_fmac_f32 v13, v24, v28 :: v_dual_add_nc_u32 v6, 64, v6
	v_fmac_f32_e32 v18, v27, v28
	v_fmac_f32_e32 v11, v25, v28
	;; [unrolled: 1-line block ×7, first 2 shown]
	v_cmp_ge_i32_e32 vcc_lo, v6, v19
	v_fma_f32 v13, -v25, v29, v13
	v_fmac_f32_e32 v18, v26, v29
	v_fmac_f32_e32 v11, v24, v29
	;; [unrolled: 1-line block ×3, first 2 shown]
	v_fma_f32 v17, -v27, v29, v17
	v_fma_f32 v12, -v23, v29, v12
	v_fmac_f32_e32 v14, v22, v29
	v_fma_f32 v15, -v21, v29, v15
	s_wait_alu 0xfffe
	s_or_b32 s2, vcc_lo, s2
	s_wait_alu 0xfffe
	s_and_not1_b32 exec_lo, exec_lo, s2
	s_cbranch_execnz .LBB78_13
; %bb.14:
	s_or_b32 exec_lo, exec_lo, s2
.LBB78_15:
	s_wait_alu 0xfffe
	s_or_b32 exec_lo, exec_lo, s3
.LBB78_16:
	v_mbcnt_lo_u32_b32 v6, -1, 0
	s_delay_alu instid0(VALU_DEP_1) | instskip(SKIP_1) | instid1(VALU_DEP_2)
	v_or_b32_e32 v7, 32, v6
	v_xor_b32_e32 v23, 16, v6
	v_cmp_gt_i32_e32 vcc_lo, 32, v7
	s_wait_alu 0xfffd
	v_cndmask_b32_e32 v7, v6, v7, vcc_lo
	s_delay_alu instid0(VALU_DEP_3) | instskip(NEXT) | instid1(VALU_DEP_2)
	v_cmp_gt_i32_e32 vcc_lo, 32, v23
	v_lshlrev_b32_e32 v7, 2, v7
	ds_bpermute_b32 v10, v7, v17
	s_wait_dscnt 0x0
	v_add_f32_e32 v10, v17, v10
	ds_bpermute_b32 v8, v7, v13
	ds_bpermute_b32 v22, v7, v12
	;; [unrolled: 1-line block ×7, first 2 shown]
	s_wait_dscnt 0x6
	s_wait_alu 0xfffd
	v_dual_cndmask_b32 v23, v6, v23 :: v_dual_add_f32 v8, v13, v8
	s_wait_dscnt 0x5
	s_delay_alu instid0(VALU_DEP_1)
	v_dual_add_f32 v12, v12, v22 :: v_dual_lshlrev_b32 v23, 2, v23
	s_wait_dscnt 0x0
	v_add_f32_e32 v7, v14, v7
	ds_bpermute_b32 v14, v23, v8
	s_wait_dscnt 0x0
	v_add_f32_e32 v8, v8, v14
	ds_bpermute_b32 v17, v23, v10
	v_add_f32_e32 v13, v15, v20
	v_add_f32_e32 v15, v16, v21
	ds_bpermute_b32 v21, v23, v12
	v_add_f32_e32 v9, v11, v9
	ds_bpermute_b32 v20, v23, v15
	v_add_f32_e32 v11, v18, v19
	ds_bpermute_b32 v16, v23, v9
	s_wait_dscnt 0x3
	v_add_f32_e32 v10, v10, v17
	ds_bpermute_b32 v19, v23, v13
	s_wait_dscnt 0x3
	v_add_f32_e32 v12, v12, v21
	ds_bpermute_b32 v22, v23, v7
	;; [unrolled: 3-line block ×3, first 2 shown]
	v_xor_b32_e32 v23, 8, v6
	s_delay_alu instid0(VALU_DEP_1) | instskip(SKIP_2) | instid1(VALU_DEP_1)
	v_cmp_gt_i32_e32 vcc_lo, 32, v23
	s_wait_alu 0xfffd
	v_cndmask_b32_e32 v23, v6, v23, vcc_lo
	v_lshlrev_b32_e32 v23, 2, v23
	ds_bpermute_b32 v17, v23, v10
	s_wait_dscnt 0x0
	v_add_f32_e32 v10, v10, v17
	ds_bpermute_b32 v20, v23, v14
	ds_bpermute_b32 v15, v23, v8
	;; [unrolled: 1-line block ×3, first 2 shown]
	s_wait_dscnt 0x2
	v_dual_add_f32 v14, v14, v20 :: v_dual_add_f32 v11, v11, v18
	s_wait_dscnt 0x1
	v_dual_add_f32 v8, v8, v15 :: v_dual_add_f32 v9, v9, v16
	;; [unrolled: 2-line block ×3, first 2 shown]
	ds_bpermute_b32 v18, v23, v11
	ds_bpermute_b32 v16, v23, v9
	;; [unrolled: 1-line block ×3, first 2 shown]
	s_wait_dscnt 0x2
	v_add_f32_e32 v11, v11, v18
	v_add_f32_e32 v13, v13, v19
	ds_bpermute_b32 v19, v23, v13
	v_xor_b32_e32 v23, 4, v6
	s_delay_alu instid0(VALU_DEP_1) | instskip(SKIP_2) | instid1(VALU_DEP_1)
	v_cmp_gt_i32_e32 vcc_lo, 32, v23
	s_wait_alu 0xfffd
	v_cndmask_b32_e32 v23, v6, v23, vcc_lo
	v_lshlrev_b32_e32 v23, 2, v23
	ds_bpermute_b32 v15, v23, v8
	ds_bpermute_b32 v18, v23, v11
	;; [unrolled: 1-line block ×5, first 2 shown]
	s_wait_dscnt 0x4
	v_dual_add_f32 v8, v8, v15 :: v_dual_add_f32 v9, v9, v16
	s_wait_dscnt 0x2
	v_dual_add_f32 v12, v12, v21 :: v_dual_add_f32 v7, v7, v22
	s_wait_dscnt 0x1
	v_add_f32_e32 v15, v10, v17
	ds_bpermute_b32 v16, v23, v9
	ds_bpermute_b32 v22, v23, v7
	s_wait_dscnt 0x1
	v_dual_add_f32 v9, v9, v16 :: v_dual_add_f32 v16, v11, v18
	v_dual_add_f32 v13, v13, v19 :: v_dual_add_f32 v18, v14, v20
	ds_bpermute_b32 v19, v23, v13
	v_xor_b32_e32 v23, 2, v6
	s_delay_alu instid0(VALU_DEP_1) | instskip(SKIP_2) | instid1(VALU_DEP_1)
	v_cmp_gt_i32_e32 vcc_lo, 32, v23
	s_wait_alu 0xfffd
	v_cndmask_b32_e32 v23, v6, v23, vcc_lo
	v_lshlrev_b32_e32 v23, 2, v23
	s_wait_dscnt 0x0
	v_add_f32_e32 v17, v13, v19
	v_add_f32_e32 v19, v7, v22
	ds_bpermute_b32 v7, v23, v8
	ds_bpermute_b32 v10, v23, v9
	ds_bpermute_b32 v11, v23, v15
	ds_bpermute_b32 v13, v23, v16
	ds_bpermute_b32 v14, v23, v17
	ds_bpermute_b32 v20, v23, v18
	ds_bpermute_b32 v21, v23, v12
	ds_bpermute_b32 v22, v23, v19
	v_xor_b32_e32 v23, 1, v6
	s_delay_alu instid0(VALU_DEP_1)
	v_cmp_gt_i32_e32 vcc_lo, 32, v23
	s_wait_alu 0xfffd
	v_cndmask_b32_e32 v6, v6, v23, vcc_lo
	v_cmp_eq_u32_e32 vcc_lo, 63, v0
	s_wait_dscnt 0x5
	v_dual_add_f32 v10, v9, v10 :: v_dual_add_f32 v11, v15, v11
	s_delay_alu instid0(VALU_DEP_3)
	v_dual_add_f32 v6, v8, v7 :: v_dual_lshlrev_b32 v23, 2, v6
	s_wait_dscnt 0x3
	v_dual_add_f32 v13, v16, v13 :: v_dual_add_f32 v14, v17, v14
	s_wait_dscnt 0x2
	v_add_f32_e32 v15, v18, v20
	s_wait_dscnt 0x1
	v_add_f32_e32 v7, v12, v21
	;; [unrolled: 2-line block ×3, first 2 shown]
	ds_bpermute_b32 v8, v23, v6
	ds_bpermute_b32 v12, v23, v10
	;; [unrolled: 1-line block ×8, first 2 shown]
	s_and_b32 exec_lo, exec_lo, vcc_lo
	s_cbranch_execz .LBB78_21
; %bb.17:
	s_load_b64 s[2:3], s[0:1], 0x38
	v_cmp_eq_f32_e32 vcc_lo, 0, v3
	v_cmp_eq_f32_e64 s0, 0, v4
	s_wait_dscnt 0x7
	v_add_f32_e32 v8, v6, v8
	s_wait_dscnt 0x0
	v_dual_add_f32 v12, v10, v12 :: v_dual_add_f32 v9, v9, v17
	v_dual_add_f32 v0, v11, v18 :: v_dual_add_f32 v11, v13, v19
	v_add_f32_e32 v6, v14, v20
	v_add_f32_e32 v10, v15, v21
	;; [unrolled: 1-line block ×3, first 2 shown]
	s_and_b32 s0, vcc_lo, s0
	s_wait_alu 0xfffe
	s_and_saveexec_b32 s1, s0
	s_wait_alu 0xfffe
	s_xor_b32 s0, exec_lo, s1
	s_cbranch_execz .LBB78_19
; %bb.18:
	v_dual_mul_f32 v14, v1, v12 :: v_dual_lshlrev_b32 v3, 2, v5
	v_mul_f32_e64 v13, v12, -v2
	v_mul_f32_e64 v15, v11, -v2
	v_mul_f32_e32 v16, v1, v11
	s_delay_alu instid0(VALU_DEP_4)
	v_ashrrev_i32_e32 v4, 31, v3
	v_mul_f32_e64 v17, v10, -v2
	v_mul_f32_e32 v18, v1, v10
	v_mul_f32_e64 v19, v9, -v2
	v_mul_f32_e32 v20, v1, v9
	v_lshlrev_b64_e32 v[3:4], 3, v[3:4]
	s_delay_alu instid0(VALU_DEP_4) | instskip(SKIP_1) | instid1(VALU_DEP_4)
	v_dual_fmac_f32 v13, v1, v8 :: v_dual_fmac_f32 v18, v2, v6
	v_dual_fmac_f32 v14, v2, v8 :: v_dual_fmac_f32 v17, v1, v6
	;; [unrolled: 1-line block ×3, first 2 shown]
	s_wait_kmcnt 0x0
	s_delay_alu instid0(VALU_DEP_4)
	v_add_co_u32 v3, vcc_lo, s2, v3
	s_wait_alu 0xfffd
	v_add_co_ci_u32_e64 v4, null, s3, v4, vcc_lo
	v_dual_fmac_f32 v16, v2, v0 :: v_dual_fmac_f32 v19, v1, v7
	s_clause 0x1
	global_store_b128 v[3:4], v[13:16], off
	global_store_b128 v[3:4], v[17:20], off offset:16
                                        ; implicit-def: $vgpr5
                                        ; implicit-def: $vgpr8
                                        ; implicit-def: $vgpr12
                                        ; implicit-def: $vgpr0
                                        ; implicit-def: $vgpr11
                                        ; implicit-def: $vgpr6
                                        ; implicit-def: $vgpr10
                                        ; implicit-def: $vgpr7
                                        ; implicit-def: $vgpr9
                                        ; implicit-def: $vgpr1_vgpr2
                                        ; implicit-def: $vgpr3_vgpr4
.LBB78_19:
	s_wait_alu 0xfffe
	s_and_not1_saveexec_b32 s0, s0
	s_cbranch_execz .LBB78_21
; %bb.20:
	v_dual_mul_f32 v22, v1, v12 :: v_dual_lshlrev_b32 v13, 2, v5
	v_mul_f32_e64 v5, v12, -v2
	v_mul_f32_e64 v23, v11, -v2
	;; [unrolled: 1-line block ×3, first 2 shown]
	s_delay_alu instid0(VALU_DEP_4) | instskip(NEXT) | instid1(VALU_DEP_4)
	v_ashrrev_i32_e32 v14, 31, v13
	v_fmac_f32_e32 v5, v1, v8
	s_delay_alu instid0(VALU_DEP_2) | instskip(SKIP_1) | instid1(VALU_DEP_1)
	v_lshlrev_b64_e32 v[13:14], 3, v[13:14]
	s_wait_kmcnt 0x0
	v_add_co_u32 v25, vcc_lo, s2, v13
	s_wait_alu 0xfffd
	s_delay_alu instid0(VALU_DEP_2)
	v_add_co_ci_u32_e64 v26, null, s3, v14, vcc_lo
	s_clause 0x1
	global_load_b128 v[13:16], v[25:26], off
	global_load_b128 v[17:20], v[25:26], off offset:16
	v_mul_f32_e32 v24, v1, v11
	v_mul_f32_e64 v11, v10, -v2
	s_delay_alu instid0(VALU_DEP_1) | instskip(SKIP_1) | instid1(VALU_DEP_1)
	v_dual_fmac_f32 v22, v2, v8 :: v_dual_fmac_f32 v11, v1, v6
	s_wait_loadcnt 0x1
	v_dual_fmac_f32 v27, v1, v7 :: v_dual_fmac_f32 v22, v4, v13
	s_wait_loadcnt 0x0
	s_delay_alu instid0(VALU_DEP_1) | instskip(SKIP_3) | instid1(VALU_DEP_4)
	v_dual_mul_f32 v12, v1, v9 :: v_dual_fmac_f32 v27, v3, v19
	v_fmac_f32_e32 v23, v1, v0
	v_fmac_f32_e32 v11, v3, v17
	;; [unrolled: 1-line block ×4, first 2 shown]
	s_delay_alu instid0(VALU_DEP_4) | instskip(NEXT) | instid1(VALU_DEP_4)
	v_dual_mul_f32 v10, v1, v10 :: v_dual_fmac_f32 v23, v3, v15
	v_fma_f32 v9, -v4, v18, v11
	v_fma_f32 v11, -v4, v20, v27
	s_delay_alu instid0(VALU_DEP_4) | instskip(NEXT) | instid1(VALU_DEP_4)
	v_fmac_f32_e32 v12, v4, v19
	v_dual_fmac_f32 v10, v2, v6 :: v_dual_fmac_f32 v5, v3, v13
	v_fmac_f32_e32 v24, v2, v0
	v_fma_f32 v23, -v4, v16, v23
	s_delay_alu instid0(VALU_DEP_4) | instskip(NEXT) | instid1(VALU_DEP_4)
	v_fmac_f32_e32 v12, v3, v20
	v_fmac_f32_e32 v10, v4, v17
	v_fma_f32 v21, -v4, v14, v5
	v_fmac_f32_e32 v24, v4, v15
	s_delay_alu instid0(VALU_DEP_3) | instskip(NEXT) | instid1(VALU_DEP_2)
	v_fmac_f32_e32 v10, v3, v18
	v_fmac_f32_e32 v24, v3, v16
	s_clause 0x1
	global_store_b128 v[25:26], v[21:24], off
	global_store_b128 v[25:26], v[9:12], off offset:16
.LBB78_21:
	s_endpgm
	.section	.rodata,"a",@progbits
	.p2align	6, 0x0
	.amdhsa_kernel _ZN9rocsparseL19gebsrmvn_4xn_kernelILj128ELj1ELj64E21rocsparse_complex_numIfEEEvi20rocsparse_direction_NS_24const_host_device_scalarIT2_EEPKiS8_PKS5_SA_S6_PS5_21rocsparse_index_base_b
		.amdhsa_group_segment_fixed_size 0
		.amdhsa_private_segment_fixed_size 0
		.amdhsa_kernarg_size 72
		.amdhsa_user_sgpr_count 2
		.amdhsa_user_sgpr_dispatch_ptr 0
		.amdhsa_user_sgpr_queue_ptr 0
		.amdhsa_user_sgpr_kernarg_segment_ptr 1
		.amdhsa_user_sgpr_dispatch_id 0
		.amdhsa_user_sgpr_private_segment_size 0
		.amdhsa_wavefront_size32 1
		.amdhsa_uses_dynamic_stack 0
		.amdhsa_enable_private_segment 0
		.amdhsa_system_sgpr_workgroup_id_x 1
		.amdhsa_system_sgpr_workgroup_id_y 0
		.amdhsa_system_sgpr_workgroup_id_z 0
		.amdhsa_system_sgpr_workgroup_info 0
		.amdhsa_system_vgpr_workitem_id 0
		.amdhsa_next_free_vgpr 30
		.amdhsa_next_free_sgpr 14
		.amdhsa_reserve_vcc 1
		.amdhsa_float_round_mode_32 0
		.amdhsa_float_round_mode_16_64 0
		.amdhsa_float_denorm_mode_32 3
		.amdhsa_float_denorm_mode_16_64 3
		.amdhsa_fp16_overflow 0
		.amdhsa_workgroup_processor_mode 1
		.amdhsa_memory_ordered 1
		.amdhsa_forward_progress 1
		.amdhsa_inst_pref_size 20
		.amdhsa_round_robin_scheduling 0
		.amdhsa_exception_fp_ieee_invalid_op 0
		.amdhsa_exception_fp_denorm_src 0
		.amdhsa_exception_fp_ieee_div_zero 0
		.amdhsa_exception_fp_ieee_overflow 0
		.amdhsa_exception_fp_ieee_underflow 0
		.amdhsa_exception_fp_ieee_inexact 0
		.amdhsa_exception_int_div_zero 0
	.end_amdhsa_kernel
	.section	.text._ZN9rocsparseL19gebsrmvn_4xn_kernelILj128ELj1ELj64E21rocsparse_complex_numIfEEEvi20rocsparse_direction_NS_24const_host_device_scalarIT2_EEPKiS8_PKS5_SA_S6_PS5_21rocsparse_index_base_b,"axG",@progbits,_ZN9rocsparseL19gebsrmvn_4xn_kernelILj128ELj1ELj64E21rocsparse_complex_numIfEEEvi20rocsparse_direction_NS_24const_host_device_scalarIT2_EEPKiS8_PKS5_SA_S6_PS5_21rocsparse_index_base_b,comdat
.Lfunc_end78:
	.size	_ZN9rocsparseL19gebsrmvn_4xn_kernelILj128ELj1ELj64E21rocsparse_complex_numIfEEEvi20rocsparse_direction_NS_24const_host_device_scalarIT2_EEPKiS8_PKS5_SA_S6_PS5_21rocsparse_index_base_b, .Lfunc_end78-_ZN9rocsparseL19gebsrmvn_4xn_kernelILj128ELj1ELj64E21rocsparse_complex_numIfEEEvi20rocsparse_direction_NS_24const_host_device_scalarIT2_EEPKiS8_PKS5_SA_S6_PS5_21rocsparse_index_base_b
                                        ; -- End function
	.set _ZN9rocsparseL19gebsrmvn_4xn_kernelILj128ELj1ELj64E21rocsparse_complex_numIfEEEvi20rocsparse_direction_NS_24const_host_device_scalarIT2_EEPKiS8_PKS5_SA_S6_PS5_21rocsparse_index_base_b.num_vgpr, 30
	.set _ZN9rocsparseL19gebsrmvn_4xn_kernelILj128ELj1ELj64E21rocsparse_complex_numIfEEEvi20rocsparse_direction_NS_24const_host_device_scalarIT2_EEPKiS8_PKS5_SA_S6_PS5_21rocsparse_index_base_b.num_agpr, 0
	.set _ZN9rocsparseL19gebsrmvn_4xn_kernelILj128ELj1ELj64E21rocsparse_complex_numIfEEEvi20rocsparse_direction_NS_24const_host_device_scalarIT2_EEPKiS8_PKS5_SA_S6_PS5_21rocsparse_index_base_b.numbered_sgpr, 14
	.set _ZN9rocsparseL19gebsrmvn_4xn_kernelILj128ELj1ELj64E21rocsparse_complex_numIfEEEvi20rocsparse_direction_NS_24const_host_device_scalarIT2_EEPKiS8_PKS5_SA_S6_PS5_21rocsparse_index_base_b.num_named_barrier, 0
	.set _ZN9rocsparseL19gebsrmvn_4xn_kernelILj128ELj1ELj64E21rocsparse_complex_numIfEEEvi20rocsparse_direction_NS_24const_host_device_scalarIT2_EEPKiS8_PKS5_SA_S6_PS5_21rocsparse_index_base_b.private_seg_size, 0
	.set _ZN9rocsparseL19gebsrmvn_4xn_kernelILj128ELj1ELj64E21rocsparse_complex_numIfEEEvi20rocsparse_direction_NS_24const_host_device_scalarIT2_EEPKiS8_PKS5_SA_S6_PS5_21rocsparse_index_base_b.uses_vcc, 1
	.set _ZN9rocsparseL19gebsrmvn_4xn_kernelILj128ELj1ELj64E21rocsparse_complex_numIfEEEvi20rocsparse_direction_NS_24const_host_device_scalarIT2_EEPKiS8_PKS5_SA_S6_PS5_21rocsparse_index_base_b.uses_flat_scratch, 0
	.set _ZN9rocsparseL19gebsrmvn_4xn_kernelILj128ELj1ELj64E21rocsparse_complex_numIfEEEvi20rocsparse_direction_NS_24const_host_device_scalarIT2_EEPKiS8_PKS5_SA_S6_PS5_21rocsparse_index_base_b.has_dyn_sized_stack, 0
	.set _ZN9rocsparseL19gebsrmvn_4xn_kernelILj128ELj1ELj64E21rocsparse_complex_numIfEEEvi20rocsparse_direction_NS_24const_host_device_scalarIT2_EEPKiS8_PKS5_SA_S6_PS5_21rocsparse_index_base_b.has_recursion, 0
	.set _ZN9rocsparseL19gebsrmvn_4xn_kernelILj128ELj1ELj64E21rocsparse_complex_numIfEEEvi20rocsparse_direction_NS_24const_host_device_scalarIT2_EEPKiS8_PKS5_SA_S6_PS5_21rocsparse_index_base_b.has_indirect_call, 0
	.section	.AMDGPU.csdata,"",@progbits
; Kernel info:
; codeLenInByte = 2460
; TotalNumSgprs: 16
; NumVgprs: 30
; ScratchSize: 0
; MemoryBound: 0
; FloatMode: 240
; IeeeMode: 1
; LDSByteSize: 0 bytes/workgroup (compile time only)
; SGPRBlocks: 0
; VGPRBlocks: 3
; NumSGPRsForWavesPerEU: 16
; NumVGPRsForWavesPerEU: 30
; Occupancy: 16
; WaveLimiterHint : 1
; COMPUTE_PGM_RSRC2:SCRATCH_EN: 0
; COMPUTE_PGM_RSRC2:USER_SGPR: 2
; COMPUTE_PGM_RSRC2:TRAP_HANDLER: 0
; COMPUTE_PGM_RSRC2:TGID_X_EN: 1
; COMPUTE_PGM_RSRC2:TGID_Y_EN: 0
; COMPUTE_PGM_RSRC2:TGID_Z_EN: 0
; COMPUTE_PGM_RSRC2:TIDIG_COMP_CNT: 0
	.section	.text._ZN9rocsparseL19gebsrmvn_4xn_kernelILj128ELj2ELj4E21rocsparse_complex_numIfEEEvi20rocsparse_direction_NS_24const_host_device_scalarIT2_EEPKiS8_PKS5_SA_S6_PS5_21rocsparse_index_base_b,"axG",@progbits,_ZN9rocsparseL19gebsrmvn_4xn_kernelILj128ELj2ELj4E21rocsparse_complex_numIfEEEvi20rocsparse_direction_NS_24const_host_device_scalarIT2_EEPKiS8_PKS5_SA_S6_PS5_21rocsparse_index_base_b,comdat
	.globl	_ZN9rocsparseL19gebsrmvn_4xn_kernelILj128ELj2ELj4E21rocsparse_complex_numIfEEEvi20rocsparse_direction_NS_24const_host_device_scalarIT2_EEPKiS8_PKS5_SA_S6_PS5_21rocsparse_index_base_b ; -- Begin function _ZN9rocsparseL19gebsrmvn_4xn_kernelILj128ELj2ELj4E21rocsparse_complex_numIfEEEvi20rocsparse_direction_NS_24const_host_device_scalarIT2_EEPKiS8_PKS5_SA_S6_PS5_21rocsparse_index_base_b
	.p2align	8
	.type	_ZN9rocsparseL19gebsrmvn_4xn_kernelILj128ELj2ELj4E21rocsparse_complex_numIfEEEvi20rocsparse_direction_NS_24const_host_device_scalarIT2_EEPKiS8_PKS5_SA_S6_PS5_21rocsparse_index_base_b,@function
_ZN9rocsparseL19gebsrmvn_4xn_kernelILj128ELj2ELj4E21rocsparse_complex_numIfEEEvi20rocsparse_direction_NS_24const_host_device_scalarIT2_EEPKiS8_PKS5_SA_S6_PS5_21rocsparse_index_base_b: ; @_ZN9rocsparseL19gebsrmvn_4xn_kernelILj128ELj2ELj4E21rocsparse_complex_numIfEEEvi20rocsparse_direction_NS_24const_host_device_scalarIT2_EEPKiS8_PKS5_SA_S6_PS5_21rocsparse_index_base_b
; %bb.0:
	s_clause 0x2
	s_load_b64 s[12:13], s[0:1], 0x40
	s_load_b64 s[2:3], s[0:1], 0x8
	;; [unrolled: 1-line block ×3, first 2 shown]
	s_add_nc_u64 s[6:7], s[0:1], 8
	s_wait_kmcnt 0x0
	s_bitcmp1_b32 s13, 0
	s_cselect_b32 s2, s6, s2
	s_cselect_b32 s3, s7, s3
	s_delay_alu instid0(SALU_CYCLE_1)
	v_dual_mov_b32 v1, s2 :: v_dual_mov_b32 v2, s3
	s_add_nc_u64 s[2:3], s[0:1], 48
	s_wait_alu 0xfffe
	s_cselect_b32 s2, s2, s4
	s_cselect_b32 s3, s3, s5
	flat_load_b64 v[1:2], v[1:2]
	s_wait_alu 0xfffe
	v_dual_mov_b32 v3, s2 :: v_dual_mov_b32 v4, s3
	flat_load_b64 v[3:4], v[3:4]
	s_wait_loadcnt_dscnt 0x101
	v_cmp_eq_f32_e32 vcc_lo, 0, v1
	v_cmp_eq_f32_e64 s2, 0, v2
	s_and_b32 s4, vcc_lo, s2
	s_mov_b32 s2, -1
	s_and_saveexec_b32 s3, s4
	s_cbranch_execz .LBB79_2
; %bb.1:
	s_wait_loadcnt_dscnt 0x0
	v_cmp_neq_f32_e32 vcc_lo, 1.0, v3
	v_cmp_neq_f32_e64 s2, 0, v4
	s_wait_alu 0xfffe
	s_or_b32 s2, vcc_lo, s2
	s_wait_alu 0xfffe
	s_or_not1_b32 s2, s2, exec_lo
.LBB79_2:
	s_wait_alu 0xfffe
	s_or_b32 exec_lo, exec_lo, s3
	s_and_saveexec_b32 s3, s2
	s_cbranch_execz .LBB79_21
; %bb.3:
	s_load_b64 s[2:3], s[0:1], 0x0
	v_lshrrev_b32_e32 v5, 2, v0
	s_delay_alu instid0(VALU_DEP_1) | instskip(SKIP_1) | instid1(VALU_DEP_1)
	v_lshl_or_b32 v5, ttmp9, 5, v5
	s_wait_kmcnt 0x0
	v_cmp_gt_i32_e32 vcc_lo, s2, v5
	s_and_b32 exec_lo, exec_lo, vcc_lo
	s_cbranch_execz .LBB79_21
; %bb.4:
	s_load_b256 s[4:11], s[0:1], 0x10
	v_ashrrev_i32_e32 v6, 31, v5
	v_and_b32_e32 v0, 3, v0
	s_cmp_lg_u32 s3, 0
	s_delay_alu instid0(VALU_DEP_2) | instskip(SKIP_1) | instid1(VALU_DEP_1)
	v_lshlrev_b64_e32 v[6:7], 2, v[5:6]
	s_wait_kmcnt 0x0
	v_add_co_u32 v6, vcc_lo, s4, v6
	s_delay_alu instid0(VALU_DEP_1) | instskip(SKIP_4) | instid1(VALU_DEP_2)
	v_add_co_ci_u32_e64 v7, null, s5, v7, vcc_lo
	global_load_b64 v[6:7], v[6:7], off
	s_wait_loadcnt 0x0
	v_subrev_nc_u32_e32 v6, s12, v6
	v_subrev_nc_u32_e32 v17, s12, v7
	v_add_nc_u32_e32 v6, v6, v0
	s_delay_alu instid0(VALU_DEP_1)
	v_cmp_lt_i32_e64 s2, v6, v17
	s_cbranch_scc0 .LBB79_10
; %bb.5:
	v_dual_mov_b32 v11, 0 :: v_dual_mov_b32 v16, 0
	v_dual_mov_b32 v15, 0 :: v_dual_mov_b32 v12, 0
	v_dual_mov_b32 v18, 0 :: v_dual_mov_b32 v13, 0
	v_dual_mov_b32 v19, 0 :: v_dual_mov_b32 v14, 0
	s_and_saveexec_b32 s3, s2
	s_cbranch_execz .LBB79_9
; %bb.6:
	v_dual_mov_b32 v8, 0 :: v_dual_lshlrev_b32 v7, 3, v6
	v_mov_b32_e32 v9, v6
	s_mov_b32 s4, 0
	s_delay_alu instid0(VALU_DEP_2)
	v_dual_mov_b32 v11, v8 :: v_dual_mov_b32 v12, v8
	v_dual_mov_b32 v16, v8 :: v_dual_mov_b32 v15, v8
	;; [unrolled: 1-line block ×4, first 2 shown]
.LBB79_7:                               ; =>This Inner Loop Header: Depth=1
	v_ashrrev_i32_e32 v10, 31, v9
	s_delay_alu instid0(VALU_DEP_1) | instskip(NEXT) | instid1(VALU_DEP_1)
	v_lshlrev_b64_e32 v[20:21], 2, v[9:10]
	v_add_co_u32 v20, vcc_lo, s6, v20
	s_wait_alu 0xfffd
	s_delay_alu instid0(VALU_DEP_2) | instskip(SKIP_2) | instid1(VALU_DEP_1)
	v_add_co_ci_u32_e64 v21, null, s7, v21, vcc_lo
	global_load_b32 v10, v[20:21], off
	v_lshlrev_b64_e32 v[20:21], 3, v[7:8]
	v_add_co_u32 v36, vcc_lo, s8, v20
	s_wait_alu 0xfffd
	s_delay_alu instid0(VALU_DEP_2)
	v_add_co_ci_u32_e64 v37, null, s9, v21, vcc_lo
	s_clause 0x1
	global_load_b128 v[20:23], v[36:37], off offset:16
	global_load_b128 v[24:27], v[36:37], off
	s_wait_loadcnt 0x2
	v_subrev_nc_u32_e32 v10, s12, v10
	s_delay_alu instid0(VALU_DEP_1) | instskip(NEXT) | instid1(VALU_DEP_1)
	v_dual_mov_b32 v29, v8 :: v_dual_lshlrev_b32 v28, 1, v10
	v_lshlrev_b64_e32 v[28:29], 3, v[28:29]
	s_delay_alu instid0(VALU_DEP_1) | instskip(SKIP_1) | instid1(VALU_DEP_2)
	v_add_co_u32 v28, vcc_lo, s10, v28
	s_wait_alu 0xfffd
	v_add_co_ci_u32_e64 v29, null, s11, v29, vcc_lo
	global_load_b128 v[28:31], v[28:29], off
	s_clause 0x1
	global_load_b128 v[32:35], v[36:37], off offset:32
	global_load_b128 v[36:39], v[36:37], off offset:48
	v_add_nc_u32_e32 v7, 32, v7
	s_wait_loadcnt 0x2
	v_dual_fmac_f32 v14, v27, v28 :: v_dual_add_nc_u32 v9, 4, v9
	v_fmac_f32_e32 v16, v24, v28
	v_fmac_f32_e32 v11, v25, v28
	s_delay_alu instid0(VALU_DEP_3) | instskip(NEXT) | instid1(VALU_DEP_4)
	v_cmp_ge_i32_e32 vcc_lo, v9, v17
	v_fmac_f32_e32 v14, v26, v29
	v_fmac_f32_e32 v15, v22, v28
	s_delay_alu instid0(VALU_DEP_4)
	v_dual_fmac_f32 v12, v23, v28 :: v_dual_fmac_f32 v11, v24, v29
	v_fmac_f32_e32 v18, v20, v28
	v_fmac_f32_e32 v13, v21, v28
	v_fma_f32 v10, -v25, v29, v16
	v_fmac_f32_e32 v19, v26, v28
	s_wait_loadcnt 0x1
	v_dual_fmac_f32 v12, v22, v29 :: v_dual_fmac_f32 v11, v33, v30
	v_fma_f32 v18, -v21, v29, v18
	v_fmac_f32_e32 v13, v20, v29
	v_fmac_f32_e32 v10, v32, v30
	v_fma_f32 v19, -v27, v29, v19
	v_fmac_f32_e32 v14, v35, v30
	v_fma_f32 v15, -v23, v29, v15
	s_wait_loadcnt 0x0
	v_fmac_f32_e32 v18, v36, v30
	v_fmac_f32_e32 v12, v39, v30
	;; [unrolled: 1-line block ×3, first 2 shown]
	v_dual_fmac_f32 v13, v37, v30 :: v_dual_fmac_f32 v14, v34, v31
	v_fmac_f32_e32 v15, v38, v30
	v_fma_f32 v16, -v33, v31, v10
	v_fmac_f32_e32 v11, v32, v31
	v_fma_f32 v19, -v35, v31, v19
	v_fma_f32 v18, -v37, v31, v18
	v_fmac_f32_e32 v13, v36, v31
	v_fma_f32 v15, -v39, v31, v15
	v_fmac_f32_e32 v12, v38, v31
	s_wait_alu 0xfffe
	s_or_b32 s4, vcc_lo, s4
	s_wait_alu 0xfffe
	s_and_not1_b32 exec_lo, exec_lo, s4
	s_cbranch_execnz .LBB79_7
; %bb.8:
	s_or_b32 exec_lo, exec_lo, s4
.LBB79_9:
	s_wait_alu 0xfffe
	s_or_b32 exec_lo, exec_lo, s3
	s_cbranch_execz .LBB79_11
	s_branch .LBB79_16
.LBB79_10:
                                        ; implicit-def: $vgpr11
                                        ; implicit-def: $vgpr16
                                        ; implicit-def: $vgpr15
                                        ; implicit-def: $vgpr12
                                        ; implicit-def: $vgpr18
                                        ; implicit-def: $vgpr13
                                        ; implicit-def: $vgpr19
                                        ; implicit-def: $vgpr14
.LBB79_11:
	v_dual_mov_b32 v11, 0 :: v_dual_mov_b32 v16, 0
	v_dual_mov_b32 v15, 0 :: v_dual_mov_b32 v12, 0
	;; [unrolled: 1-line block ×4, first 2 shown]
	s_and_saveexec_b32 s3, s2
	s_cbranch_execz .LBB79_15
; %bb.12:
	v_dual_mov_b32 v9, 0 :: v_dual_lshlrev_b32 v8, 3, v6
	s_mov_b32 s2, 0
	s_delay_alu instid0(VALU_DEP_1)
	v_dual_mov_b32 v11, v9 :: v_dual_mov_b32 v16, v9
	v_dual_mov_b32 v15, v9 :: v_dual_mov_b32 v12, v9
	;; [unrolled: 1-line block ×4, first 2 shown]
.LBB79_13:                              ; =>This Inner Loop Header: Depth=1
	v_ashrrev_i32_e32 v7, 31, v6
	s_delay_alu instid0(VALU_DEP_1) | instskip(NEXT) | instid1(VALU_DEP_1)
	v_lshlrev_b64_e32 v[20:21], 2, v[6:7]
	v_add_co_u32 v20, vcc_lo, s6, v20
	s_wait_alu 0xfffd
	s_delay_alu instid0(VALU_DEP_2) | instskip(SKIP_2) | instid1(VALU_DEP_1)
	v_add_co_ci_u32_e64 v21, null, s7, v21, vcc_lo
	global_load_b32 v7, v[20:21], off
	v_lshlrev_b64_e32 v[20:21], 3, v[8:9]
	v_add_co_u32 v32, vcc_lo, s8, v20
	s_wait_alu 0xfffd
	s_delay_alu instid0(VALU_DEP_2)
	v_add_co_ci_u32_e64 v33, null, s9, v21, vcc_lo
	s_clause 0x3
	global_load_b128 v[20:23], v[32:33], off offset:48
	global_load_b128 v[24:27], v[32:33], off offset:32
	;; [unrolled: 1-line block ×3, first 2 shown]
	global_load_b128 v[32:35], v[32:33], off
	s_wait_loadcnt 0x4
	v_subrev_nc_u32_e32 v7, s12, v7
	s_delay_alu instid0(VALU_DEP_1) | instskip(NEXT) | instid1(VALU_DEP_1)
	v_dual_mov_b32 v37, v9 :: v_dual_lshlrev_b32 v36, 1, v7
	v_lshlrev_b64_e32 v[36:37], 3, v[36:37]
	s_delay_alu instid0(VALU_DEP_1) | instskip(SKIP_1) | instid1(VALU_DEP_2)
	v_add_co_u32 v36, vcc_lo, s10, v36
	s_wait_alu 0xfffd
	v_add_co_ci_u32_e64 v37, null, s11, v37, vcc_lo
	global_load_b128 v[36:39], v[36:37], off
	s_wait_loadcnt 0x0
	v_dual_fmac_f32 v11, v33, v36 :: v_dual_add_nc_u32 v6, 4, v6
	v_fmac_f32_e32 v13, v25, v36
	v_fmac_f32_e32 v14, v29, v36
	v_add_nc_u32_e32 v8, 32, v8
	v_fmac_f32_e32 v16, v32, v36
	v_fmac_f32_e32 v19, v28, v36
	;; [unrolled: 1-line block ×4, first 2 shown]
	v_dual_fmac_f32 v13, v24, v37 :: v_dual_fmac_f32 v12, v21, v36
	v_fmac_f32_e32 v14, v28, v37
	v_fmac_f32_e32 v15, v20, v36
	v_fma_f32 v7, -v33, v37, v16
	v_fma_f32 v10, -v29, v37, v19
	v_fmac_f32_e32 v11, v35, v38
	v_fma_f32 v18, -v25, v37, v18
	v_fmac_f32_e32 v14, v31, v38
	v_fma_f32 v15, -v21, v37, v15
	v_dual_fmac_f32 v13, v27, v38 :: v_dual_fmac_f32 v12, v20, v37
	v_fmac_f32_e32 v7, v34, v38
	v_fmac_f32_e32 v10, v30, v38
	;; [unrolled: 1-line block ×4, first 2 shown]
	v_dual_fmac_f32 v12, v23, v38 :: v_dual_fmac_f32 v11, v34, v39
	v_cmp_ge_i32_e32 vcc_lo, v6, v17
	v_fma_f32 v16, -v35, v39, v7
	v_fma_f32 v19, -v31, v39, v10
	v_fmac_f32_e32 v14, v30, v39
	v_fma_f32 v18, -v27, v39, v18
	v_fmac_f32_e32 v13, v26, v39
	;; [unrolled: 2-line block ×3, first 2 shown]
	s_wait_alu 0xfffe
	s_or_b32 s2, vcc_lo, s2
	s_wait_alu 0xfffe
	s_and_not1_b32 exec_lo, exec_lo, s2
	s_cbranch_execnz .LBB79_13
; %bb.14:
	s_or_b32 exec_lo, exec_lo, s2
.LBB79_15:
	s_wait_alu 0xfffe
	s_or_b32 exec_lo, exec_lo, s3
.LBB79_16:
	v_mbcnt_lo_u32_b32 v6, -1, 0
	s_delay_alu instid0(VALU_DEP_1) | instskip(NEXT) | instid1(VALU_DEP_1)
	v_xor_b32_e32 v7, 2, v6
	v_cmp_gt_i32_e32 vcc_lo, 32, v7
	s_wait_alu 0xfffd
	v_cndmask_b32_e32 v7, v6, v7, vcc_lo
	s_delay_alu instid0(VALU_DEP_1)
	v_lshlrev_b32_e32 v7, 2, v7
	ds_bpermute_b32 v9, v7, v11
	s_wait_dscnt 0x0
	v_add_f32_e32 v10, v11, v9
	ds_bpermute_b32 v8, v7, v16
	ds_bpermute_b32 v17, v7, v19
	;; [unrolled: 1-line block ×7, first 2 shown]
	v_xor_b32_e32 v7, 1, v6
	s_delay_alu instid0(VALU_DEP_1)
	v_cmp_gt_i32_e32 vcc_lo, 32, v7
	s_wait_alu 0xfffd
	v_cndmask_b32_e32 v6, v6, v7, vcc_lo
	v_cmp_eq_u32_e32 vcc_lo, 3, v0
	s_wait_dscnt 0x5
	v_add_f32_e32 v11, v19, v17
	s_wait_dscnt 0x4
	v_dual_add_f32 v14, v14, v20 :: v_dual_lshlrev_b32 v25, 2, v6
	v_add_f32_e32 v6, v16, v8
	s_wait_dscnt 0x2
	v_dual_add_f32 v16, v18, v21 :: v_dual_add_f32 v13, v13, v22
	s_wait_dscnt 0x1
	v_add_f32_e32 v7, v15, v23
	s_wait_dscnt 0x0
	v_add_f32_e32 v9, v12, v24
	ds_bpermute_b32 v8, v25, v6
	ds_bpermute_b32 v12, v25, v10
	;; [unrolled: 1-line block ×8, first 2 shown]
	s_and_b32 exec_lo, exec_lo, vcc_lo
	s_cbranch_execz .LBB79_21
; %bb.17:
	s_load_b64 s[2:3], s[0:1], 0x38
	v_cmp_eq_f32_e32 vcc_lo, 0, v3
	v_cmp_eq_f32_e64 s0, 0, v4
	s_wait_dscnt 0x1
	v_dual_add_f32 v8, v6, v8 :: v_dual_add_f32 v7, v7, v15
	s_wait_dscnt 0x0
	v_dual_add_f32 v12, v10, v12 :: v_dual_add_f32 v9, v9, v17
	v_dual_add_f32 v0, v11, v18 :: v_dual_add_f32 v11, v14, v19
	v_add_f32_e32 v6, v16, v20
	v_add_f32_e32 v10, v13, v21
	s_and_b32 s0, vcc_lo, s0
	s_wait_alu 0xfffe
	s_and_saveexec_b32 s1, s0
	s_wait_alu 0xfffe
	s_xor_b32 s0, exec_lo, s1
	s_cbranch_execz .LBB79_19
; %bb.18:
	v_dual_mul_f32 v14, v1, v12 :: v_dual_lshlrev_b32 v3, 2, v5
	v_mul_f32_e64 v13, v12, -v2
	v_mul_f32_e64 v15, v11, -v2
	v_mul_f32_e32 v16, v1, v11
	s_delay_alu instid0(VALU_DEP_4)
	v_ashrrev_i32_e32 v4, 31, v3
	v_mul_f32_e64 v17, v10, -v2
	v_mul_f32_e32 v18, v1, v10
	v_mul_f32_e64 v19, v9, -v2
	v_mul_f32_e32 v20, v1, v9
	v_lshlrev_b64_e32 v[3:4], 3, v[3:4]
	s_delay_alu instid0(VALU_DEP_4) | instskip(SKIP_1) | instid1(VALU_DEP_4)
	v_dual_fmac_f32 v13, v1, v8 :: v_dual_fmac_f32 v18, v2, v6
	v_dual_fmac_f32 v14, v2, v8 :: v_dual_fmac_f32 v17, v1, v6
	;; [unrolled: 1-line block ×3, first 2 shown]
	s_wait_kmcnt 0x0
	s_delay_alu instid0(VALU_DEP_4)
	v_add_co_u32 v3, vcc_lo, s2, v3
	s_wait_alu 0xfffd
	v_add_co_ci_u32_e64 v4, null, s3, v4, vcc_lo
	v_dual_fmac_f32 v16, v2, v0 :: v_dual_fmac_f32 v19, v1, v7
	s_clause 0x1
	global_store_b128 v[3:4], v[13:16], off
	global_store_b128 v[3:4], v[17:20], off offset:16
                                        ; implicit-def: $vgpr5
                                        ; implicit-def: $vgpr8
                                        ; implicit-def: $vgpr12
                                        ; implicit-def: $vgpr0
                                        ; implicit-def: $vgpr11
                                        ; implicit-def: $vgpr6
                                        ; implicit-def: $vgpr10
                                        ; implicit-def: $vgpr7
                                        ; implicit-def: $vgpr9
                                        ; implicit-def: $vgpr1_vgpr2
                                        ; implicit-def: $vgpr3_vgpr4
.LBB79_19:
	s_wait_alu 0xfffe
	s_and_not1_saveexec_b32 s0, s0
	s_cbranch_execz .LBB79_21
; %bb.20:
	v_dual_mul_f32 v22, v1, v12 :: v_dual_lshlrev_b32 v13, 2, v5
	v_mul_f32_e64 v5, v12, -v2
	v_mul_f32_e64 v23, v11, -v2
	;; [unrolled: 1-line block ×3, first 2 shown]
	s_delay_alu instid0(VALU_DEP_4) | instskip(NEXT) | instid1(VALU_DEP_4)
	v_ashrrev_i32_e32 v14, 31, v13
	v_fmac_f32_e32 v5, v1, v8
	s_delay_alu instid0(VALU_DEP_2) | instskip(SKIP_1) | instid1(VALU_DEP_1)
	v_lshlrev_b64_e32 v[13:14], 3, v[13:14]
	s_wait_kmcnt 0x0
	v_add_co_u32 v25, vcc_lo, s2, v13
	s_wait_alu 0xfffd
	s_delay_alu instid0(VALU_DEP_2)
	v_add_co_ci_u32_e64 v26, null, s3, v14, vcc_lo
	s_clause 0x1
	global_load_b128 v[13:16], v[25:26], off
	global_load_b128 v[17:20], v[25:26], off offset:16
	v_mul_f32_e32 v24, v1, v11
	v_mul_f32_e64 v11, v10, -v2
	s_delay_alu instid0(VALU_DEP_1) | instskip(SKIP_1) | instid1(VALU_DEP_1)
	v_dual_fmac_f32 v22, v2, v8 :: v_dual_fmac_f32 v11, v1, v6
	s_wait_loadcnt 0x1
	v_dual_fmac_f32 v27, v1, v7 :: v_dual_fmac_f32 v22, v4, v13
	s_wait_loadcnt 0x0
	s_delay_alu instid0(VALU_DEP_1) | instskip(SKIP_3) | instid1(VALU_DEP_4)
	v_dual_mul_f32 v12, v1, v9 :: v_dual_fmac_f32 v27, v3, v19
	v_fmac_f32_e32 v23, v1, v0
	v_fmac_f32_e32 v11, v3, v17
	;; [unrolled: 1-line block ×4, first 2 shown]
	s_delay_alu instid0(VALU_DEP_4) | instskip(NEXT) | instid1(VALU_DEP_4)
	v_dual_mul_f32 v10, v1, v10 :: v_dual_fmac_f32 v23, v3, v15
	v_fma_f32 v9, -v4, v18, v11
	v_fma_f32 v11, -v4, v20, v27
	s_delay_alu instid0(VALU_DEP_4) | instskip(NEXT) | instid1(VALU_DEP_4)
	v_fmac_f32_e32 v12, v4, v19
	v_dual_fmac_f32 v10, v2, v6 :: v_dual_fmac_f32 v5, v3, v13
	v_fmac_f32_e32 v24, v2, v0
	v_fma_f32 v23, -v4, v16, v23
	s_delay_alu instid0(VALU_DEP_4) | instskip(NEXT) | instid1(VALU_DEP_4)
	v_fmac_f32_e32 v12, v3, v20
	v_fmac_f32_e32 v10, v4, v17
	v_fma_f32 v21, -v4, v14, v5
	v_fmac_f32_e32 v24, v4, v15
	s_delay_alu instid0(VALU_DEP_3) | instskip(NEXT) | instid1(VALU_DEP_2)
	v_fmac_f32_e32 v10, v3, v18
	v_fmac_f32_e32 v24, v3, v16
	s_clause 0x1
	global_store_b128 v[25:26], v[21:24], off
	global_store_b128 v[25:26], v[9:12], off offset:16
.LBB79_21:
	s_endpgm
	.section	.rodata,"a",@progbits
	.p2align	6, 0x0
	.amdhsa_kernel _ZN9rocsparseL19gebsrmvn_4xn_kernelILj128ELj2ELj4E21rocsparse_complex_numIfEEEvi20rocsparse_direction_NS_24const_host_device_scalarIT2_EEPKiS8_PKS5_SA_S6_PS5_21rocsparse_index_base_b
		.amdhsa_group_segment_fixed_size 0
		.amdhsa_private_segment_fixed_size 0
		.amdhsa_kernarg_size 72
		.amdhsa_user_sgpr_count 2
		.amdhsa_user_sgpr_dispatch_ptr 0
		.amdhsa_user_sgpr_queue_ptr 0
		.amdhsa_user_sgpr_kernarg_segment_ptr 1
		.amdhsa_user_sgpr_dispatch_id 0
		.amdhsa_user_sgpr_private_segment_size 0
		.amdhsa_wavefront_size32 1
		.amdhsa_uses_dynamic_stack 0
		.amdhsa_enable_private_segment 0
		.amdhsa_system_sgpr_workgroup_id_x 1
		.amdhsa_system_sgpr_workgroup_id_y 0
		.amdhsa_system_sgpr_workgroup_id_z 0
		.amdhsa_system_sgpr_workgroup_info 0
		.amdhsa_system_vgpr_workitem_id 0
		.amdhsa_next_free_vgpr 40
		.amdhsa_next_free_sgpr 14
		.amdhsa_reserve_vcc 1
		.amdhsa_float_round_mode_32 0
		.amdhsa_float_round_mode_16_64 0
		.amdhsa_float_denorm_mode_32 3
		.amdhsa_float_denorm_mode_16_64 3
		.amdhsa_fp16_overflow 0
		.amdhsa_workgroup_processor_mode 1
		.amdhsa_memory_ordered 1
		.amdhsa_forward_progress 1
		.amdhsa_inst_pref_size 17
		.amdhsa_round_robin_scheduling 0
		.amdhsa_exception_fp_ieee_invalid_op 0
		.amdhsa_exception_fp_denorm_src 0
		.amdhsa_exception_fp_ieee_div_zero 0
		.amdhsa_exception_fp_ieee_overflow 0
		.amdhsa_exception_fp_ieee_underflow 0
		.amdhsa_exception_fp_ieee_inexact 0
		.amdhsa_exception_int_div_zero 0
	.end_amdhsa_kernel
	.section	.text._ZN9rocsparseL19gebsrmvn_4xn_kernelILj128ELj2ELj4E21rocsparse_complex_numIfEEEvi20rocsparse_direction_NS_24const_host_device_scalarIT2_EEPKiS8_PKS5_SA_S6_PS5_21rocsparse_index_base_b,"axG",@progbits,_ZN9rocsparseL19gebsrmvn_4xn_kernelILj128ELj2ELj4E21rocsparse_complex_numIfEEEvi20rocsparse_direction_NS_24const_host_device_scalarIT2_EEPKiS8_PKS5_SA_S6_PS5_21rocsparse_index_base_b,comdat
.Lfunc_end79:
	.size	_ZN9rocsparseL19gebsrmvn_4xn_kernelILj128ELj2ELj4E21rocsparse_complex_numIfEEEvi20rocsparse_direction_NS_24const_host_device_scalarIT2_EEPKiS8_PKS5_SA_S6_PS5_21rocsparse_index_base_b, .Lfunc_end79-_ZN9rocsparseL19gebsrmvn_4xn_kernelILj128ELj2ELj4E21rocsparse_complex_numIfEEEvi20rocsparse_direction_NS_24const_host_device_scalarIT2_EEPKiS8_PKS5_SA_S6_PS5_21rocsparse_index_base_b
                                        ; -- End function
	.set _ZN9rocsparseL19gebsrmvn_4xn_kernelILj128ELj2ELj4E21rocsparse_complex_numIfEEEvi20rocsparse_direction_NS_24const_host_device_scalarIT2_EEPKiS8_PKS5_SA_S6_PS5_21rocsparse_index_base_b.num_vgpr, 40
	.set _ZN9rocsparseL19gebsrmvn_4xn_kernelILj128ELj2ELj4E21rocsparse_complex_numIfEEEvi20rocsparse_direction_NS_24const_host_device_scalarIT2_EEPKiS8_PKS5_SA_S6_PS5_21rocsparse_index_base_b.num_agpr, 0
	.set _ZN9rocsparseL19gebsrmvn_4xn_kernelILj128ELj2ELj4E21rocsparse_complex_numIfEEEvi20rocsparse_direction_NS_24const_host_device_scalarIT2_EEPKiS8_PKS5_SA_S6_PS5_21rocsparse_index_base_b.numbered_sgpr, 14
	.set _ZN9rocsparseL19gebsrmvn_4xn_kernelILj128ELj2ELj4E21rocsparse_complex_numIfEEEvi20rocsparse_direction_NS_24const_host_device_scalarIT2_EEPKiS8_PKS5_SA_S6_PS5_21rocsparse_index_base_b.num_named_barrier, 0
	.set _ZN9rocsparseL19gebsrmvn_4xn_kernelILj128ELj2ELj4E21rocsparse_complex_numIfEEEvi20rocsparse_direction_NS_24const_host_device_scalarIT2_EEPKiS8_PKS5_SA_S6_PS5_21rocsparse_index_base_b.private_seg_size, 0
	.set _ZN9rocsparseL19gebsrmvn_4xn_kernelILj128ELj2ELj4E21rocsparse_complex_numIfEEEvi20rocsparse_direction_NS_24const_host_device_scalarIT2_EEPKiS8_PKS5_SA_S6_PS5_21rocsparse_index_base_b.uses_vcc, 1
	.set _ZN9rocsparseL19gebsrmvn_4xn_kernelILj128ELj2ELj4E21rocsparse_complex_numIfEEEvi20rocsparse_direction_NS_24const_host_device_scalarIT2_EEPKiS8_PKS5_SA_S6_PS5_21rocsparse_index_base_b.uses_flat_scratch, 0
	.set _ZN9rocsparseL19gebsrmvn_4xn_kernelILj128ELj2ELj4E21rocsparse_complex_numIfEEEvi20rocsparse_direction_NS_24const_host_device_scalarIT2_EEPKiS8_PKS5_SA_S6_PS5_21rocsparse_index_base_b.has_dyn_sized_stack, 0
	.set _ZN9rocsparseL19gebsrmvn_4xn_kernelILj128ELj2ELj4E21rocsparse_complex_numIfEEEvi20rocsparse_direction_NS_24const_host_device_scalarIT2_EEPKiS8_PKS5_SA_S6_PS5_21rocsparse_index_base_b.has_recursion, 0
	.set _ZN9rocsparseL19gebsrmvn_4xn_kernelILj128ELj2ELj4E21rocsparse_complex_numIfEEEvi20rocsparse_direction_NS_24const_host_device_scalarIT2_EEPKiS8_PKS5_SA_S6_PS5_21rocsparse_index_base_b.has_indirect_call, 0
	.section	.AMDGPU.csdata,"",@progbits
; Kernel info:
; codeLenInByte = 2136
; TotalNumSgprs: 16
; NumVgprs: 40
; ScratchSize: 0
; MemoryBound: 0
; FloatMode: 240
; IeeeMode: 1
; LDSByteSize: 0 bytes/workgroup (compile time only)
; SGPRBlocks: 0
; VGPRBlocks: 4
; NumSGPRsForWavesPerEU: 16
; NumVGPRsForWavesPerEU: 40
; Occupancy: 16
; WaveLimiterHint : 1
; COMPUTE_PGM_RSRC2:SCRATCH_EN: 0
; COMPUTE_PGM_RSRC2:USER_SGPR: 2
; COMPUTE_PGM_RSRC2:TRAP_HANDLER: 0
; COMPUTE_PGM_RSRC2:TGID_X_EN: 1
; COMPUTE_PGM_RSRC2:TGID_Y_EN: 0
; COMPUTE_PGM_RSRC2:TGID_Z_EN: 0
; COMPUTE_PGM_RSRC2:TIDIG_COMP_CNT: 0
	.section	.text._ZN9rocsparseL19gebsrmvn_4xn_kernelILj128ELj2ELj8E21rocsparse_complex_numIfEEEvi20rocsparse_direction_NS_24const_host_device_scalarIT2_EEPKiS8_PKS5_SA_S6_PS5_21rocsparse_index_base_b,"axG",@progbits,_ZN9rocsparseL19gebsrmvn_4xn_kernelILj128ELj2ELj8E21rocsparse_complex_numIfEEEvi20rocsparse_direction_NS_24const_host_device_scalarIT2_EEPKiS8_PKS5_SA_S6_PS5_21rocsparse_index_base_b,comdat
	.globl	_ZN9rocsparseL19gebsrmvn_4xn_kernelILj128ELj2ELj8E21rocsparse_complex_numIfEEEvi20rocsparse_direction_NS_24const_host_device_scalarIT2_EEPKiS8_PKS5_SA_S6_PS5_21rocsparse_index_base_b ; -- Begin function _ZN9rocsparseL19gebsrmvn_4xn_kernelILj128ELj2ELj8E21rocsparse_complex_numIfEEEvi20rocsparse_direction_NS_24const_host_device_scalarIT2_EEPKiS8_PKS5_SA_S6_PS5_21rocsparse_index_base_b
	.p2align	8
	.type	_ZN9rocsparseL19gebsrmvn_4xn_kernelILj128ELj2ELj8E21rocsparse_complex_numIfEEEvi20rocsparse_direction_NS_24const_host_device_scalarIT2_EEPKiS8_PKS5_SA_S6_PS5_21rocsparse_index_base_b,@function
_ZN9rocsparseL19gebsrmvn_4xn_kernelILj128ELj2ELj8E21rocsparse_complex_numIfEEEvi20rocsparse_direction_NS_24const_host_device_scalarIT2_EEPKiS8_PKS5_SA_S6_PS5_21rocsparse_index_base_b: ; @_ZN9rocsparseL19gebsrmvn_4xn_kernelILj128ELj2ELj8E21rocsparse_complex_numIfEEEvi20rocsparse_direction_NS_24const_host_device_scalarIT2_EEPKiS8_PKS5_SA_S6_PS5_21rocsparse_index_base_b
; %bb.0:
	s_clause 0x2
	s_load_b64 s[12:13], s[0:1], 0x40
	s_load_b64 s[2:3], s[0:1], 0x8
	;; [unrolled: 1-line block ×3, first 2 shown]
	s_add_nc_u64 s[6:7], s[0:1], 8
	s_wait_kmcnt 0x0
	s_bitcmp1_b32 s13, 0
	s_cselect_b32 s2, s6, s2
	s_cselect_b32 s3, s7, s3
	s_delay_alu instid0(SALU_CYCLE_1)
	v_dual_mov_b32 v1, s2 :: v_dual_mov_b32 v2, s3
	s_add_nc_u64 s[2:3], s[0:1], 48
	s_wait_alu 0xfffe
	s_cselect_b32 s2, s2, s4
	s_cselect_b32 s3, s3, s5
	flat_load_b64 v[1:2], v[1:2]
	s_wait_alu 0xfffe
	v_dual_mov_b32 v3, s2 :: v_dual_mov_b32 v4, s3
	flat_load_b64 v[3:4], v[3:4]
	s_wait_loadcnt_dscnt 0x101
	v_cmp_eq_f32_e32 vcc_lo, 0, v1
	v_cmp_eq_f32_e64 s2, 0, v2
	s_and_b32 s4, vcc_lo, s2
	s_mov_b32 s2, -1
	s_and_saveexec_b32 s3, s4
	s_cbranch_execz .LBB80_2
; %bb.1:
	s_wait_loadcnt_dscnt 0x0
	v_cmp_neq_f32_e32 vcc_lo, 1.0, v3
	v_cmp_neq_f32_e64 s2, 0, v4
	s_wait_alu 0xfffe
	s_or_b32 s2, vcc_lo, s2
	s_wait_alu 0xfffe
	s_or_not1_b32 s2, s2, exec_lo
.LBB80_2:
	s_wait_alu 0xfffe
	s_or_b32 exec_lo, exec_lo, s3
	s_and_saveexec_b32 s3, s2
	s_cbranch_execz .LBB80_21
; %bb.3:
	s_load_b64 s[2:3], s[0:1], 0x0
	v_lshrrev_b32_e32 v5, 3, v0
	s_delay_alu instid0(VALU_DEP_1) | instskip(SKIP_1) | instid1(VALU_DEP_1)
	v_lshl_or_b32 v5, ttmp9, 4, v5
	s_wait_kmcnt 0x0
	v_cmp_gt_i32_e32 vcc_lo, s2, v5
	s_and_b32 exec_lo, exec_lo, vcc_lo
	s_cbranch_execz .LBB80_21
; %bb.4:
	s_load_b256 s[4:11], s[0:1], 0x10
	v_ashrrev_i32_e32 v6, 31, v5
	v_and_b32_e32 v0, 7, v0
	s_cmp_lg_u32 s3, 0
	s_delay_alu instid0(VALU_DEP_2) | instskip(SKIP_1) | instid1(VALU_DEP_1)
	v_lshlrev_b64_e32 v[6:7], 2, v[5:6]
	s_wait_kmcnt 0x0
	v_add_co_u32 v6, vcc_lo, s4, v6
	s_delay_alu instid0(VALU_DEP_1) | instskip(SKIP_4) | instid1(VALU_DEP_2)
	v_add_co_ci_u32_e64 v7, null, s5, v7, vcc_lo
	global_load_b64 v[6:7], v[6:7], off
	s_wait_loadcnt 0x0
	v_subrev_nc_u32_e32 v6, s12, v6
	v_subrev_nc_u32_e32 v19, s12, v7
	v_add_nc_u32_e32 v6, v6, v0
	s_delay_alu instid0(VALU_DEP_1)
	v_cmp_lt_i32_e64 s2, v6, v19
	s_cbranch_scc0 .LBB80_10
; %bb.5:
	v_dual_mov_b32 v11, 0 :: v_dual_mov_b32 v16, 0
	v_dual_mov_b32 v15, 0 :: v_dual_mov_b32 v12, 0
	;; [unrolled: 1-line block ×4, first 2 shown]
	s_and_saveexec_b32 s3, s2
	s_cbranch_execz .LBB80_9
; %bb.6:
	v_dual_mov_b32 v8, 0 :: v_dual_lshlrev_b32 v7, 3, v6
	v_mov_b32_e32 v9, v6
	s_mov_b32 s4, 0
	s_delay_alu instid0(VALU_DEP_2)
	v_dual_mov_b32 v11, v8 :: v_dual_mov_b32 v12, v8
	v_dual_mov_b32 v16, v8 :: v_dual_mov_b32 v15, v8
	;; [unrolled: 1-line block ×4, first 2 shown]
.LBB80_7:                               ; =>This Inner Loop Header: Depth=1
	v_ashrrev_i32_e32 v10, 31, v9
	s_delay_alu instid0(VALU_DEP_1) | instskip(NEXT) | instid1(VALU_DEP_1)
	v_lshlrev_b64_e32 v[20:21], 2, v[9:10]
	v_add_co_u32 v20, vcc_lo, s6, v20
	s_wait_alu 0xfffd
	s_delay_alu instid0(VALU_DEP_2) | instskip(SKIP_2) | instid1(VALU_DEP_1)
	v_add_co_ci_u32_e64 v21, null, s7, v21, vcc_lo
	global_load_b32 v10, v[20:21], off
	v_lshlrev_b64_e32 v[20:21], 3, v[7:8]
	v_add_co_u32 v36, vcc_lo, s8, v20
	s_wait_alu 0xfffd
	s_delay_alu instid0(VALU_DEP_2)
	v_add_co_ci_u32_e64 v37, null, s9, v21, vcc_lo
	s_clause 0x1
	global_load_b128 v[20:23], v[36:37], off offset:16
	global_load_b128 v[24:27], v[36:37], off
	s_wait_loadcnt 0x2
	v_subrev_nc_u32_e32 v10, s12, v10
	s_delay_alu instid0(VALU_DEP_1) | instskip(NEXT) | instid1(VALU_DEP_1)
	v_dual_mov_b32 v29, v8 :: v_dual_lshlrev_b32 v28, 1, v10
	v_lshlrev_b64_e32 v[28:29], 3, v[28:29]
	s_delay_alu instid0(VALU_DEP_1) | instskip(SKIP_1) | instid1(VALU_DEP_2)
	v_add_co_u32 v28, vcc_lo, s10, v28
	s_wait_alu 0xfffd
	v_add_co_ci_u32_e64 v29, null, s11, v29, vcc_lo
	global_load_b128 v[28:31], v[28:29], off
	s_clause 0x1
	global_load_b128 v[32:35], v[36:37], off offset:32
	global_load_b128 v[36:39], v[36:37], off offset:48
	v_add_nc_u32_e32 v7, 64, v7
	s_wait_loadcnt 0x2
	v_dual_fmac_f32 v18, v26, v28 :: v_dual_add_nc_u32 v9, 8, v9
	v_fmac_f32_e32 v16, v24, v28
	v_fmac_f32_e32 v14, v27, v28
	;; [unrolled: 1-line block ×3, first 2 shown]
	s_delay_alu instid0(VALU_DEP_4)
	v_cmp_ge_i32_e32 vcc_lo, v9, v19
	v_fma_f32 v18, -v27, v29, v18
	v_fma_f32 v10, -v25, v29, v16
	v_dual_fmac_f32 v13, v21, v28 :: v_dual_fmac_f32 v14, v26, v29
	v_fmac_f32_e32 v15, v22, v28
	v_fmac_f32_e32 v11, v24, v29
	s_wait_loadcnt 0x1
	v_fmac_f32_e32 v10, v32, v30
	v_dual_fmac_f32 v12, v23, v28 :: v_dual_fmac_f32 v13, v20, v29
	v_dual_fmac_f32 v17, v20, v28 :: v_dual_fmac_f32 v14, v35, v30
	v_fma_f32 v15, -v23, v29, v15
	s_wait_loadcnt 0x0
	s_delay_alu instid0(VALU_DEP_3) | instskip(NEXT) | instid1(VALU_DEP_3)
	v_dual_fmac_f32 v12, v22, v29 :: v_dual_fmac_f32 v13, v37, v30
	v_fma_f32 v17, -v21, v29, v17
	v_dual_fmac_f32 v11, v33, v30 :: v_dual_fmac_f32 v14, v34, v31
	v_fmac_f32_e32 v18, v34, v30
	v_fmac_f32_e32 v15, v38, v30
	v_dual_fmac_f32 v12, v39, v30 :: v_dual_fmac_f32 v13, v36, v31
	v_fmac_f32_e32 v17, v36, v30
	v_fma_f32 v16, -v33, v31, v10
	v_fmac_f32_e32 v11, v32, v31
	v_fma_f32 v18, -v35, v31, v18
	v_fma_f32 v15, -v39, v31, v15
	v_fmac_f32_e32 v12, v38, v31
	v_fma_f32 v17, -v37, v31, v17
	s_wait_alu 0xfffe
	s_or_b32 s4, vcc_lo, s4
	s_wait_alu 0xfffe
	s_and_not1_b32 exec_lo, exec_lo, s4
	s_cbranch_execnz .LBB80_7
; %bb.8:
	s_or_b32 exec_lo, exec_lo, s4
.LBB80_9:
	s_wait_alu 0xfffe
	s_or_b32 exec_lo, exec_lo, s3
	s_cbranch_execz .LBB80_11
	s_branch .LBB80_16
.LBB80_10:
                                        ; implicit-def: $vgpr11
                                        ; implicit-def: $vgpr16
                                        ; implicit-def: $vgpr15
                                        ; implicit-def: $vgpr12
                                        ; implicit-def: $vgpr17
                                        ; implicit-def: $vgpr13
                                        ; implicit-def: $vgpr18
                                        ; implicit-def: $vgpr14
.LBB80_11:
	v_dual_mov_b32 v11, 0 :: v_dual_mov_b32 v16, 0
	v_dual_mov_b32 v15, 0 :: v_dual_mov_b32 v12, 0
	;; [unrolled: 1-line block ×4, first 2 shown]
	s_and_saveexec_b32 s3, s2
	s_cbranch_execz .LBB80_15
; %bb.12:
	v_dual_mov_b32 v9, 0 :: v_dual_lshlrev_b32 v8, 3, v6
	s_mov_b32 s2, 0
	s_delay_alu instid0(VALU_DEP_1)
	v_dual_mov_b32 v11, v9 :: v_dual_mov_b32 v16, v9
	v_dual_mov_b32 v15, v9 :: v_dual_mov_b32 v12, v9
	;; [unrolled: 1-line block ×4, first 2 shown]
.LBB80_13:                              ; =>This Inner Loop Header: Depth=1
	v_ashrrev_i32_e32 v7, 31, v6
	s_delay_alu instid0(VALU_DEP_1) | instskip(NEXT) | instid1(VALU_DEP_1)
	v_lshlrev_b64_e32 v[20:21], 2, v[6:7]
	v_add_co_u32 v20, vcc_lo, s6, v20
	s_wait_alu 0xfffd
	s_delay_alu instid0(VALU_DEP_2) | instskip(SKIP_2) | instid1(VALU_DEP_1)
	v_add_co_ci_u32_e64 v21, null, s7, v21, vcc_lo
	global_load_b32 v7, v[20:21], off
	v_lshlrev_b64_e32 v[20:21], 3, v[8:9]
	v_add_co_u32 v32, vcc_lo, s8, v20
	s_wait_alu 0xfffd
	s_delay_alu instid0(VALU_DEP_2)
	v_add_co_ci_u32_e64 v33, null, s9, v21, vcc_lo
	s_clause 0x3
	global_load_b128 v[20:23], v[32:33], off offset:48
	global_load_b128 v[24:27], v[32:33], off offset:32
	;; [unrolled: 1-line block ×3, first 2 shown]
	global_load_b128 v[32:35], v[32:33], off
	s_wait_loadcnt 0x4
	v_subrev_nc_u32_e32 v7, s12, v7
	s_delay_alu instid0(VALU_DEP_1) | instskip(NEXT) | instid1(VALU_DEP_1)
	v_dual_mov_b32 v37, v9 :: v_dual_lshlrev_b32 v36, 1, v7
	v_lshlrev_b64_e32 v[36:37], 3, v[36:37]
	s_delay_alu instid0(VALU_DEP_1) | instskip(SKIP_1) | instid1(VALU_DEP_2)
	v_add_co_u32 v36, vcc_lo, s10, v36
	s_wait_alu 0xfffd
	v_add_co_ci_u32_e64 v37, null, s11, v37, vcc_lo
	global_load_b128 v[36:39], v[36:37], off
	s_wait_loadcnt 0x0
	v_dual_fmac_f32 v11, v33, v36 :: v_dual_add_nc_u32 v6, 8, v6
	v_add_nc_u32_e32 v8, 64, v8
	v_fmac_f32_e32 v13, v25, v36
	v_fmac_f32_e32 v14, v29, v36
	;; [unrolled: 1-line block ×9, first 2 shown]
	v_fma_f32 v10, -v29, v37, v18
	v_fmac_f32_e32 v17, v24, v36
	v_fma_f32 v7, -v33, v37, v16
	v_fmac_f32_e32 v14, v31, v38
	;; [unrolled: 2-line block ×3, first 2 shown]
	v_fma_f32 v17, -v25, v37, v17
	v_dual_fmac_f32 v12, v21, v36 :: v_dual_fmac_f32 v7, v34, v38
	v_fmac_f32_e32 v13, v27, v38
	v_fmac_f32_e32 v15, v22, v38
	s_delay_alu instid0(VALU_DEP_3)
	v_dual_fmac_f32 v17, v26, v38 :: v_dual_fmac_f32 v12, v20, v37
	v_cmp_ge_i32_e32 vcc_lo, v6, v19
	v_fma_f32 v16, -v35, v39, v7
	v_fmac_f32_e32 v11, v34, v39
	v_fma_f32 v18, -v31, v39, v10
	v_fmac_f32_e32 v12, v23, v38
	v_fmac_f32_e32 v14, v30, v39
	v_fma_f32 v17, -v27, v39, v17
	v_fmac_f32_e32 v13, v26, v39
	v_fma_f32 v15, -v23, v39, v15
	v_fmac_f32_e32 v12, v22, v39
	s_wait_alu 0xfffe
	s_or_b32 s2, vcc_lo, s2
	s_wait_alu 0xfffe
	s_and_not1_b32 exec_lo, exec_lo, s2
	s_cbranch_execnz .LBB80_13
; %bb.14:
	s_or_b32 exec_lo, exec_lo, s2
.LBB80_15:
	s_wait_alu 0xfffe
	s_or_b32 exec_lo, exec_lo, s3
.LBB80_16:
	v_mbcnt_lo_u32_b32 v6, -1, 0
	s_delay_alu instid0(VALU_DEP_1) | instskip(SKIP_1) | instid1(VALU_DEP_2)
	v_xor_b32_e32 v7, 4, v6
	v_xor_b32_e32 v23, 2, v6
	v_cmp_gt_i32_e32 vcc_lo, 32, v7
	s_wait_alu 0xfffd
	v_cndmask_b32_e32 v7, v6, v7, vcc_lo
	s_delay_alu instid0(VALU_DEP_3) | instskip(NEXT) | instid1(VALU_DEP_2)
	v_cmp_gt_i32_e32 vcc_lo, 32, v23
	v_lshlrev_b32_e32 v7, 2, v7
	ds_bpermute_b32 v8, v7, v16
	ds_bpermute_b32 v20, v7, v17
	s_wait_dscnt 0x1
	v_add_f32_e32 v8, v16, v8
	s_wait_dscnt 0x0
	v_add_f32_e32 v16, v17, v20
	ds_bpermute_b32 v9, v7, v11
	ds_bpermute_b32 v10, v7, v18
	;; [unrolled: 1-line block ×4, first 2 shown]
	s_wait_alu 0xfffd
	v_cndmask_b32_e32 v23, v6, v23, vcc_lo
	ds_bpermute_b32 v21, v7, v13
	ds_bpermute_b32 v7, v7, v12
	s_wait_dscnt 0x5
	v_add_f32_e32 v9, v11, v9
	s_wait_dscnt 0x4
	v_add_f32_e32 v11, v18, v10
	;; [unrolled: 2-line block ×3, first 2 shown]
	s_wait_dscnt 0x2
	v_dual_add_f32 v18, v15, v22 :: v_dual_lshlrev_b32 v23, 2, v23
	s_wait_dscnt 0x0
	v_dual_add_f32 v17, v13, v21 :: v_dual_add_f32 v12, v12, v7
	ds_bpermute_b32 v10, v23, v9
	s_wait_dscnt 0x0
	v_add_f32_e32 v10, v9, v10
	ds_bpermute_b32 v7, v23, v8
	ds_bpermute_b32 v13, v23, v11
	;; [unrolled: 1-line block ×7, first 2 shown]
	v_xor_b32_e32 v23, 1, v6
	s_delay_alu instid0(VALU_DEP_1)
	v_cmp_gt_i32_e32 vcc_lo, 32, v23
	s_wait_alu 0xfffd
	v_cndmask_b32_e32 v6, v6, v23, vcc_lo
	v_cmp_eq_u32_e32 vcc_lo, 7, v0
	s_wait_dscnt 0x5
	v_add_f32_e32 v11, v11, v13
	s_delay_alu instid0(VALU_DEP_3)
	v_dual_add_f32 v6, v8, v7 :: v_dual_lshlrev_b32 v23, 2, v6
	s_wait_dscnt 0x4
	v_add_f32_e32 v13, v14, v15
	s_wait_dscnt 0x2
	v_dual_add_f32 v14, v16, v19 :: v_dual_add_f32 v15, v17, v20
	s_wait_dscnt 0x1
	v_add_f32_e32 v7, v18, v21
	s_wait_dscnt 0x0
	v_add_f32_e32 v9, v12, v22
	ds_bpermute_b32 v8, v23, v6
	ds_bpermute_b32 v12, v23, v10
	;; [unrolled: 1-line block ×8, first 2 shown]
	s_and_b32 exec_lo, exec_lo, vcc_lo
	s_cbranch_execz .LBB80_21
; %bb.17:
	s_load_b64 s[2:3], s[0:1], 0x38
	v_cmp_eq_f32_e32 vcc_lo, 0, v3
	v_cmp_eq_f32_e64 s0, 0, v4
	s_wait_dscnt 0x7
	v_add_f32_e32 v8, v6, v8
	s_wait_dscnt 0x0
	v_dual_add_f32 v12, v10, v12 :: v_dual_add_f32 v9, v9, v17
	v_dual_add_f32 v0, v11, v18 :: v_dual_add_f32 v11, v13, v19
	v_add_f32_e32 v6, v14, v20
	v_add_f32_e32 v10, v15, v21
	;; [unrolled: 1-line block ×3, first 2 shown]
	s_and_b32 s0, vcc_lo, s0
	s_wait_alu 0xfffe
	s_and_saveexec_b32 s1, s0
	s_wait_alu 0xfffe
	s_xor_b32 s0, exec_lo, s1
	s_cbranch_execz .LBB80_19
; %bb.18:
	v_dual_mul_f32 v14, v1, v12 :: v_dual_lshlrev_b32 v3, 2, v5
	v_mul_f32_e64 v13, v12, -v2
	v_mul_f32_e64 v15, v11, -v2
	v_mul_f32_e32 v16, v1, v11
	s_delay_alu instid0(VALU_DEP_4)
	v_ashrrev_i32_e32 v4, 31, v3
	v_mul_f32_e64 v17, v10, -v2
	v_mul_f32_e32 v18, v1, v10
	v_mul_f32_e64 v19, v9, -v2
	v_mul_f32_e32 v20, v1, v9
	v_lshlrev_b64_e32 v[3:4], 3, v[3:4]
	s_delay_alu instid0(VALU_DEP_4) | instskip(SKIP_1) | instid1(VALU_DEP_4)
	v_dual_fmac_f32 v13, v1, v8 :: v_dual_fmac_f32 v18, v2, v6
	v_dual_fmac_f32 v14, v2, v8 :: v_dual_fmac_f32 v17, v1, v6
	;; [unrolled: 1-line block ×3, first 2 shown]
	s_wait_kmcnt 0x0
	s_delay_alu instid0(VALU_DEP_4)
	v_add_co_u32 v3, vcc_lo, s2, v3
	s_wait_alu 0xfffd
	v_add_co_ci_u32_e64 v4, null, s3, v4, vcc_lo
	v_dual_fmac_f32 v16, v2, v0 :: v_dual_fmac_f32 v19, v1, v7
	s_clause 0x1
	global_store_b128 v[3:4], v[13:16], off
	global_store_b128 v[3:4], v[17:20], off offset:16
                                        ; implicit-def: $vgpr5
                                        ; implicit-def: $vgpr8
                                        ; implicit-def: $vgpr12
                                        ; implicit-def: $vgpr0
                                        ; implicit-def: $vgpr11
                                        ; implicit-def: $vgpr6
                                        ; implicit-def: $vgpr10
                                        ; implicit-def: $vgpr7
                                        ; implicit-def: $vgpr9
                                        ; implicit-def: $vgpr1_vgpr2
                                        ; implicit-def: $vgpr3_vgpr4
.LBB80_19:
	s_wait_alu 0xfffe
	s_and_not1_saveexec_b32 s0, s0
	s_cbranch_execz .LBB80_21
; %bb.20:
	v_dual_mul_f32 v22, v1, v12 :: v_dual_lshlrev_b32 v13, 2, v5
	v_mul_f32_e64 v5, v12, -v2
	v_mul_f32_e64 v23, v11, -v2
	;; [unrolled: 1-line block ×3, first 2 shown]
	s_delay_alu instid0(VALU_DEP_4) | instskip(NEXT) | instid1(VALU_DEP_4)
	v_ashrrev_i32_e32 v14, 31, v13
	v_fmac_f32_e32 v5, v1, v8
	s_delay_alu instid0(VALU_DEP_2) | instskip(SKIP_1) | instid1(VALU_DEP_1)
	v_lshlrev_b64_e32 v[13:14], 3, v[13:14]
	s_wait_kmcnt 0x0
	v_add_co_u32 v25, vcc_lo, s2, v13
	s_wait_alu 0xfffd
	s_delay_alu instid0(VALU_DEP_2)
	v_add_co_ci_u32_e64 v26, null, s3, v14, vcc_lo
	s_clause 0x1
	global_load_b128 v[13:16], v[25:26], off
	global_load_b128 v[17:20], v[25:26], off offset:16
	v_mul_f32_e32 v24, v1, v11
	v_mul_f32_e64 v11, v10, -v2
	s_delay_alu instid0(VALU_DEP_1) | instskip(SKIP_1) | instid1(VALU_DEP_1)
	v_dual_fmac_f32 v22, v2, v8 :: v_dual_fmac_f32 v11, v1, v6
	s_wait_loadcnt 0x1
	v_dual_fmac_f32 v27, v1, v7 :: v_dual_fmac_f32 v22, v4, v13
	s_wait_loadcnt 0x0
	s_delay_alu instid0(VALU_DEP_1) | instskip(SKIP_3) | instid1(VALU_DEP_4)
	v_dual_mul_f32 v12, v1, v9 :: v_dual_fmac_f32 v27, v3, v19
	v_fmac_f32_e32 v23, v1, v0
	v_fmac_f32_e32 v11, v3, v17
	;; [unrolled: 1-line block ×4, first 2 shown]
	s_delay_alu instid0(VALU_DEP_4) | instskip(NEXT) | instid1(VALU_DEP_4)
	v_dual_mul_f32 v10, v1, v10 :: v_dual_fmac_f32 v23, v3, v15
	v_fma_f32 v9, -v4, v18, v11
	v_fma_f32 v11, -v4, v20, v27
	s_delay_alu instid0(VALU_DEP_4) | instskip(NEXT) | instid1(VALU_DEP_4)
	v_fmac_f32_e32 v12, v4, v19
	v_dual_fmac_f32 v10, v2, v6 :: v_dual_fmac_f32 v5, v3, v13
	v_fmac_f32_e32 v24, v2, v0
	v_fma_f32 v23, -v4, v16, v23
	s_delay_alu instid0(VALU_DEP_4) | instskip(NEXT) | instid1(VALU_DEP_4)
	v_fmac_f32_e32 v12, v3, v20
	v_fmac_f32_e32 v10, v4, v17
	v_fma_f32 v21, -v4, v14, v5
	v_fmac_f32_e32 v24, v4, v15
	s_delay_alu instid0(VALU_DEP_3) | instskip(NEXT) | instid1(VALU_DEP_2)
	v_fmac_f32_e32 v10, v3, v18
	v_fmac_f32_e32 v24, v3, v16
	s_clause 0x1
	global_store_b128 v[25:26], v[21:24], off
	global_store_b128 v[25:26], v[9:12], off offset:16
.LBB80_21:
	s_endpgm
	.section	.rodata,"a",@progbits
	.p2align	6, 0x0
	.amdhsa_kernel _ZN9rocsparseL19gebsrmvn_4xn_kernelILj128ELj2ELj8E21rocsparse_complex_numIfEEEvi20rocsparse_direction_NS_24const_host_device_scalarIT2_EEPKiS8_PKS5_SA_S6_PS5_21rocsparse_index_base_b
		.amdhsa_group_segment_fixed_size 0
		.amdhsa_private_segment_fixed_size 0
		.amdhsa_kernarg_size 72
		.amdhsa_user_sgpr_count 2
		.amdhsa_user_sgpr_dispatch_ptr 0
		.amdhsa_user_sgpr_queue_ptr 0
		.amdhsa_user_sgpr_kernarg_segment_ptr 1
		.amdhsa_user_sgpr_dispatch_id 0
		.amdhsa_user_sgpr_private_segment_size 0
		.amdhsa_wavefront_size32 1
		.amdhsa_uses_dynamic_stack 0
		.amdhsa_enable_private_segment 0
		.amdhsa_system_sgpr_workgroup_id_x 1
		.amdhsa_system_sgpr_workgroup_id_y 0
		.amdhsa_system_sgpr_workgroup_id_z 0
		.amdhsa_system_sgpr_workgroup_info 0
		.amdhsa_system_vgpr_workitem_id 0
		.amdhsa_next_free_vgpr 40
		.amdhsa_next_free_sgpr 14
		.amdhsa_reserve_vcc 1
		.amdhsa_float_round_mode_32 0
		.amdhsa_float_round_mode_16_64 0
		.amdhsa_float_denorm_mode_32 3
		.amdhsa_float_denorm_mode_16_64 3
		.amdhsa_fp16_overflow 0
		.amdhsa_workgroup_processor_mode 1
		.amdhsa_memory_ordered 1
		.amdhsa_forward_progress 1
		.amdhsa_inst_pref_size 18
		.amdhsa_round_robin_scheduling 0
		.amdhsa_exception_fp_ieee_invalid_op 0
		.amdhsa_exception_fp_denorm_src 0
		.amdhsa_exception_fp_ieee_div_zero 0
		.amdhsa_exception_fp_ieee_overflow 0
		.amdhsa_exception_fp_ieee_underflow 0
		.amdhsa_exception_fp_ieee_inexact 0
		.amdhsa_exception_int_div_zero 0
	.end_amdhsa_kernel
	.section	.text._ZN9rocsparseL19gebsrmvn_4xn_kernelILj128ELj2ELj8E21rocsparse_complex_numIfEEEvi20rocsparse_direction_NS_24const_host_device_scalarIT2_EEPKiS8_PKS5_SA_S6_PS5_21rocsparse_index_base_b,"axG",@progbits,_ZN9rocsparseL19gebsrmvn_4xn_kernelILj128ELj2ELj8E21rocsparse_complex_numIfEEEvi20rocsparse_direction_NS_24const_host_device_scalarIT2_EEPKiS8_PKS5_SA_S6_PS5_21rocsparse_index_base_b,comdat
.Lfunc_end80:
	.size	_ZN9rocsparseL19gebsrmvn_4xn_kernelILj128ELj2ELj8E21rocsparse_complex_numIfEEEvi20rocsparse_direction_NS_24const_host_device_scalarIT2_EEPKiS8_PKS5_SA_S6_PS5_21rocsparse_index_base_b, .Lfunc_end80-_ZN9rocsparseL19gebsrmvn_4xn_kernelILj128ELj2ELj8E21rocsparse_complex_numIfEEEvi20rocsparse_direction_NS_24const_host_device_scalarIT2_EEPKiS8_PKS5_SA_S6_PS5_21rocsparse_index_base_b
                                        ; -- End function
	.set _ZN9rocsparseL19gebsrmvn_4xn_kernelILj128ELj2ELj8E21rocsparse_complex_numIfEEEvi20rocsparse_direction_NS_24const_host_device_scalarIT2_EEPKiS8_PKS5_SA_S6_PS5_21rocsparse_index_base_b.num_vgpr, 40
	.set _ZN9rocsparseL19gebsrmvn_4xn_kernelILj128ELj2ELj8E21rocsparse_complex_numIfEEEvi20rocsparse_direction_NS_24const_host_device_scalarIT2_EEPKiS8_PKS5_SA_S6_PS5_21rocsparse_index_base_b.num_agpr, 0
	.set _ZN9rocsparseL19gebsrmvn_4xn_kernelILj128ELj2ELj8E21rocsparse_complex_numIfEEEvi20rocsparse_direction_NS_24const_host_device_scalarIT2_EEPKiS8_PKS5_SA_S6_PS5_21rocsparse_index_base_b.numbered_sgpr, 14
	.set _ZN9rocsparseL19gebsrmvn_4xn_kernelILj128ELj2ELj8E21rocsparse_complex_numIfEEEvi20rocsparse_direction_NS_24const_host_device_scalarIT2_EEPKiS8_PKS5_SA_S6_PS5_21rocsparse_index_base_b.num_named_barrier, 0
	.set _ZN9rocsparseL19gebsrmvn_4xn_kernelILj128ELj2ELj8E21rocsparse_complex_numIfEEEvi20rocsparse_direction_NS_24const_host_device_scalarIT2_EEPKiS8_PKS5_SA_S6_PS5_21rocsparse_index_base_b.private_seg_size, 0
	.set _ZN9rocsparseL19gebsrmvn_4xn_kernelILj128ELj2ELj8E21rocsparse_complex_numIfEEEvi20rocsparse_direction_NS_24const_host_device_scalarIT2_EEPKiS8_PKS5_SA_S6_PS5_21rocsparse_index_base_b.uses_vcc, 1
	.set _ZN9rocsparseL19gebsrmvn_4xn_kernelILj128ELj2ELj8E21rocsparse_complex_numIfEEEvi20rocsparse_direction_NS_24const_host_device_scalarIT2_EEPKiS8_PKS5_SA_S6_PS5_21rocsparse_index_base_b.uses_flat_scratch, 0
	.set _ZN9rocsparseL19gebsrmvn_4xn_kernelILj128ELj2ELj8E21rocsparse_complex_numIfEEEvi20rocsparse_direction_NS_24const_host_device_scalarIT2_EEPKiS8_PKS5_SA_S6_PS5_21rocsparse_index_base_b.has_dyn_sized_stack, 0
	.set _ZN9rocsparseL19gebsrmvn_4xn_kernelILj128ELj2ELj8E21rocsparse_complex_numIfEEEvi20rocsparse_direction_NS_24const_host_device_scalarIT2_EEPKiS8_PKS5_SA_S6_PS5_21rocsparse_index_base_b.has_recursion, 0
	.set _ZN9rocsparseL19gebsrmvn_4xn_kernelILj128ELj2ELj8E21rocsparse_complex_numIfEEEvi20rocsparse_direction_NS_24const_host_device_scalarIT2_EEPKiS8_PKS5_SA_S6_PS5_21rocsparse_index_base_b.has_indirect_call, 0
	.section	.AMDGPU.csdata,"",@progbits
; Kernel info:
; codeLenInByte = 2288
; TotalNumSgprs: 16
; NumVgprs: 40
; ScratchSize: 0
; MemoryBound: 0
; FloatMode: 240
; IeeeMode: 1
; LDSByteSize: 0 bytes/workgroup (compile time only)
; SGPRBlocks: 0
; VGPRBlocks: 4
; NumSGPRsForWavesPerEU: 16
; NumVGPRsForWavesPerEU: 40
; Occupancy: 16
; WaveLimiterHint : 1
; COMPUTE_PGM_RSRC2:SCRATCH_EN: 0
; COMPUTE_PGM_RSRC2:USER_SGPR: 2
; COMPUTE_PGM_RSRC2:TRAP_HANDLER: 0
; COMPUTE_PGM_RSRC2:TGID_X_EN: 1
; COMPUTE_PGM_RSRC2:TGID_Y_EN: 0
; COMPUTE_PGM_RSRC2:TGID_Z_EN: 0
; COMPUTE_PGM_RSRC2:TIDIG_COMP_CNT: 0
	.section	.text._ZN9rocsparseL19gebsrmvn_4xn_kernelILj128ELj2ELj16E21rocsparse_complex_numIfEEEvi20rocsparse_direction_NS_24const_host_device_scalarIT2_EEPKiS8_PKS5_SA_S6_PS5_21rocsparse_index_base_b,"axG",@progbits,_ZN9rocsparseL19gebsrmvn_4xn_kernelILj128ELj2ELj16E21rocsparse_complex_numIfEEEvi20rocsparse_direction_NS_24const_host_device_scalarIT2_EEPKiS8_PKS5_SA_S6_PS5_21rocsparse_index_base_b,comdat
	.globl	_ZN9rocsparseL19gebsrmvn_4xn_kernelILj128ELj2ELj16E21rocsparse_complex_numIfEEEvi20rocsparse_direction_NS_24const_host_device_scalarIT2_EEPKiS8_PKS5_SA_S6_PS5_21rocsparse_index_base_b ; -- Begin function _ZN9rocsparseL19gebsrmvn_4xn_kernelILj128ELj2ELj16E21rocsparse_complex_numIfEEEvi20rocsparse_direction_NS_24const_host_device_scalarIT2_EEPKiS8_PKS5_SA_S6_PS5_21rocsparse_index_base_b
	.p2align	8
	.type	_ZN9rocsparseL19gebsrmvn_4xn_kernelILj128ELj2ELj16E21rocsparse_complex_numIfEEEvi20rocsparse_direction_NS_24const_host_device_scalarIT2_EEPKiS8_PKS5_SA_S6_PS5_21rocsparse_index_base_b,@function
_ZN9rocsparseL19gebsrmvn_4xn_kernelILj128ELj2ELj16E21rocsparse_complex_numIfEEEvi20rocsparse_direction_NS_24const_host_device_scalarIT2_EEPKiS8_PKS5_SA_S6_PS5_21rocsparse_index_base_b: ; @_ZN9rocsparseL19gebsrmvn_4xn_kernelILj128ELj2ELj16E21rocsparse_complex_numIfEEEvi20rocsparse_direction_NS_24const_host_device_scalarIT2_EEPKiS8_PKS5_SA_S6_PS5_21rocsparse_index_base_b
; %bb.0:
	s_clause 0x2
	s_load_b64 s[12:13], s[0:1], 0x40
	s_load_b64 s[2:3], s[0:1], 0x8
	;; [unrolled: 1-line block ×3, first 2 shown]
	s_add_nc_u64 s[6:7], s[0:1], 8
	s_wait_kmcnt 0x0
	s_bitcmp1_b32 s13, 0
	s_cselect_b32 s2, s6, s2
	s_cselect_b32 s3, s7, s3
	s_delay_alu instid0(SALU_CYCLE_1)
	v_dual_mov_b32 v1, s2 :: v_dual_mov_b32 v2, s3
	s_add_nc_u64 s[2:3], s[0:1], 48
	s_wait_alu 0xfffe
	s_cselect_b32 s2, s2, s4
	s_cselect_b32 s3, s3, s5
	flat_load_b64 v[1:2], v[1:2]
	s_wait_alu 0xfffe
	v_dual_mov_b32 v3, s2 :: v_dual_mov_b32 v4, s3
	flat_load_b64 v[3:4], v[3:4]
	s_wait_loadcnt_dscnt 0x101
	v_cmp_eq_f32_e32 vcc_lo, 0, v1
	v_cmp_eq_f32_e64 s2, 0, v2
	s_and_b32 s4, vcc_lo, s2
	s_mov_b32 s2, -1
	s_and_saveexec_b32 s3, s4
	s_cbranch_execz .LBB81_2
; %bb.1:
	s_wait_loadcnt_dscnt 0x0
	v_cmp_neq_f32_e32 vcc_lo, 1.0, v3
	v_cmp_neq_f32_e64 s2, 0, v4
	s_wait_alu 0xfffe
	s_or_b32 s2, vcc_lo, s2
	s_wait_alu 0xfffe
	s_or_not1_b32 s2, s2, exec_lo
.LBB81_2:
	s_wait_alu 0xfffe
	s_or_b32 exec_lo, exec_lo, s3
	s_and_saveexec_b32 s3, s2
	s_cbranch_execz .LBB81_21
; %bb.3:
	s_load_b64 s[2:3], s[0:1], 0x0
	v_lshrrev_b32_e32 v5, 4, v0
	s_delay_alu instid0(VALU_DEP_1) | instskip(SKIP_1) | instid1(VALU_DEP_1)
	v_lshl_or_b32 v5, ttmp9, 3, v5
	s_wait_kmcnt 0x0
	v_cmp_gt_i32_e32 vcc_lo, s2, v5
	s_and_b32 exec_lo, exec_lo, vcc_lo
	s_cbranch_execz .LBB81_21
; %bb.4:
	s_load_b256 s[4:11], s[0:1], 0x10
	v_ashrrev_i32_e32 v6, 31, v5
	v_and_b32_e32 v0, 15, v0
	s_cmp_lg_u32 s3, 0
	s_delay_alu instid0(VALU_DEP_2) | instskip(SKIP_1) | instid1(VALU_DEP_1)
	v_lshlrev_b64_e32 v[6:7], 2, v[5:6]
	s_wait_kmcnt 0x0
	v_add_co_u32 v6, vcc_lo, s4, v6
	s_delay_alu instid0(VALU_DEP_1) | instskip(SKIP_4) | instid1(VALU_DEP_2)
	v_add_co_ci_u32_e64 v7, null, s5, v7, vcc_lo
	global_load_b64 v[6:7], v[6:7], off
	s_wait_loadcnt 0x0
	v_subrev_nc_u32_e32 v6, s12, v6
	v_subrev_nc_u32_e32 v19, s12, v7
	v_add_nc_u32_e32 v6, v6, v0
	s_delay_alu instid0(VALU_DEP_1)
	v_cmp_lt_i32_e64 s2, v6, v19
	s_cbranch_scc0 .LBB81_10
; %bb.5:
	v_dual_mov_b32 v11, 0 :: v_dual_mov_b32 v16, 0
	v_dual_mov_b32 v15, 0 :: v_dual_mov_b32 v12, 0
	;; [unrolled: 1-line block ×4, first 2 shown]
	s_and_saveexec_b32 s3, s2
	s_cbranch_execz .LBB81_9
; %bb.6:
	v_dual_mov_b32 v8, 0 :: v_dual_lshlrev_b32 v7, 3, v6
	v_mov_b32_e32 v9, v6
	s_mov_b32 s4, 0
	s_delay_alu instid0(VALU_DEP_2)
	v_dual_mov_b32 v11, v8 :: v_dual_mov_b32 v12, v8
	v_dual_mov_b32 v16, v8 :: v_dual_mov_b32 v15, v8
	;; [unrolled: 1-line block ×4, first 2 shown]
.LBB81_7:                               ; =>This Inner Loop Header: Depth=1
	v_ashrrev_i32_e32 v10, 31, v9
	s_delay_alu instid0(VALU_DEP_1) | instskip(NEXT) | instid1(VALU_DEP_1)
	v_lshlrev_b64_e32 v[20:21], 2, v[9:10]
	v_add_co_u32 v20, vcc_lo, s6, v20
	s_wait_alu 0xfffd
	s_delay_alu instid0(VALU_DEP_2) | instskip(SKIP_2) | instid1(VALU_DEP_1)
	v_add_co_ci_u32_e64 v21, null, s7, v21, vcc_lo
	global_load_b32 v10, v[20:21], off
	v_lshlrev_b64_e32 v[20:21], 3, v[7:8]
	v_add_co_u32 v36, vcc_lo, s8, v20
	s_wait_alu 0xfffd
	s_delay_alu instid0(VALU_DEP_2)
	v_add_co_ci_u32_e64 v37, null, s9, v21, vcc_lo
	s_clause 0x1
	global_load_b128 v[20:23], v[36:37], off offset:16
	global_load_b128 v[24:27], v[36:37], off
	s_wait_loadcnt 0x2
	v_subrev_nc_u32_e32 v10, s12, v10
	s_delay_alu instid0(VALU_DEP_1) | instskip(NEXT) | instid1(VALU_DEP_1)
	v_dual_mov_b32 v29, v8 :: v_dual_lshlrev_b32 v28, 1, v10
	v_lshlrev_b64_e32 v[28:29], 3, v[28:29]
	s_delay_alu instid0(VALU_DEP_1) | instskip(SKIP_1) | instid1(VALU_DEP_2)
	v_add_co_u32 v28, vcc_lo, s10, v28
	s_wait_alu 0xfffd
	v_add_co_ci_u32_e64 v29, null, s11, v29, vcc_lo
	global_load_b128 v[28:31], v[28:29], off
	s_clause 0x1
	global_load_b128 v[32:35], v[36:37], off offset:32
	global_load_b128 v[36:39], v[36:37], off offset:48
	v_add_nc_u32_e32 v7, 0x80, v7
	s_wait_loadcnt 0x2
	v_dual_fmac_f32 v18, v26, v28 :: v_dual_add_nc_u32 v9, 16, v9
	v_fmac_f32_e32 v16, v24, v28
	v_fmac_f32_e32 v14, v27, v28
	;; [unrolled: 1-line block ×3, first 2 shown]
	s_delay_alu instid0(VALU_DEP_4)
	v_cmp_ge_i32_e32 vcc_lo, v9, v19
	v_fma_f32 v18, -v27, v29, v18
	v_fma_f32 v10, -v25, v29, v16
	v_dual_fmac_f32 v13, v21, v28 :: v_dual_fmac_f32 v14, v26, v29
	v_fmac_f32_e32 v15, v22, v28
	v_fmac_f32_e32 v11, v24, v29
	s_wait_loadcnt 0x1
	v_fmac_f32_e32 v10, v32, v30
	v_dual_fmac_f32 v12, v23, v28 :: v_dual_fmac_f32 v13, v20, v29
	v_dual_fmac_f32 v17, v20, v28 :: v_dual_fmac_f32 v14, v35, v30
	v_fma_f32 v15, -v23, v29, v15
	s_wait_loadcnt 0x0
	s_delay_alu instid0(VALU_DEP_3) | instskip(NEXT) | instid1(VALU_DEP_3)
	v_dual_fmac_f32 v12, v22, v29 :: v_dual_fmac_f32 v13, v37, v30
	v_fma_f32 v17, -v21, v29, v17
	v_dual_fmac_f32 v11, v33, v30 :: v_dual_fmac_f32 v14, v34, v31
	v_fmac_f32_e32 v18, v34, v30
	v_fmac_f32_e32 v15, v38, v30
	v_dual_fmac_f32 v12, v39, v30 :: v_dual_fmac_f32 v13, v36, v31
	v_fmac_f32_e32 v17, v36, v30
	v_fma_f32 v16, -v33, v31, v10
	v_fmac_f32_e32 v11, v32, v31
	v_fma_f32 v18, -v35, v31, v18
	v_fma_f32 v15, -v39, v31, v15
	v_fmac_f32_e32 v12, v38, v31
	v_fma_f32 v17, -v37, v31, v17
	s_wait_alu 0xfffe
	s_or_b32 s4, vcc_lo, s4
	s_wait_alu 0xfffe
	s_and_not1_b32 exec_lo, exec_lo, s4
	s_cbranch_execnz .LBB81_7
; %bb.8:
	s_or_b32 exec_lo, exec_lo, s4
.LBB81_9:
	s_wait_alu 0xfffe
	s_or_b32 exec_lo, exec_lo, s3
	s_cbranch_execz .LBB81_11
	s_branch .LBB81_16
.LBB81_10:
                                        ; implicit-def: $vgpr11
                                        ; implicit-def: $vgpr16
                                        ; implicit-def: $vgpr15
                                        ; implicit-def: $vgpr12
                                        ; implicit-def: $vgpr17
                                        ; implicit-def: $vgpr13
                                        ; implicit-def: $vgpr18
                                        ; implicit-def: $vgpr14
.LBB81_11:
	v_dual_mov_b32 v11, 0 :: v_dual_mov_b32 v16, 0
	v_dual_mov_b32 v15, 0 :: v_dual_mov_b32 v12, 0
	;; [unrolled: 1-line block ×4, first 2 shown]
	s_and_saveexec_b32 s3, s2
	s_cbranch_execz .LBB81_15
; %bb.12:
	v_dual_mov_b32 v9, 0 :: v_dual_lshlrev_b32 v8, 3, v6
	s_mov_b32 s2, 0
	s_delay_alu instid0(VALU_DEP_1)
	v_dual_mov_b32 v11, v9 :: v_dual_mov_b32 v16, v9
	v_dual_mov_b32 v15, v9 :: v_dual_mov_b32 v12, v9
	;; [unrolled: 1-line block ×4, first 2 shown]
.LBB81_13:                              ; =>This Inner Loop Header: Depth=1
	v_ashrrev_i32_e32 v7, 31, v6
	s_delay_alu instid0(VALU_DEP_1) | instskip(NEXT) | instid1(VALU_DEP_1)
	v_lshlrev_b64_e32 v[20:21], 2, v[6:7]
	v_add_co_u32 v20, vcc_lo, s6, v20
	s_wait_alu 0xfffd
	s_delay_alu instid0(VALU_DEP_2) | instskip(SKIP_2) | instid1(VALU_DEP_1)
	v_add_co_ci_u32_e64 v21, null, s7, v21, vcc_lo
	global_load_b32 v7, v[20:21], off
	v_lshlrev_b64_e32 v[20:21], 3, v[8:9]
	v_add_co_u32 v32, vcc_lo, s8, v20
	s_wait_alu 0xfffd
	s_delay_alu instid0(VALU_DEP_2)
	v_add_co_ci_u32_e64 v33, null, s9, v21, vcc_lo
	s_clause 0x3
	global_load_b128 v[20:23], v[32:33], off offset:48
	global_load_b128 v[24:27], v[32:33], off offset:32
	;; [unrolled: 1-line block ×3, first 2 shown]
	global_load_b128 v[32:35], v[32:33], off
	s_wait_loadcnt 0x4
	v_subrev_nc_u32_e32 v7, s12, v7
	s_delay_alu instid0(VALU_DEP_1) | instskip(NEXT) | instid1(VALU_DEP_1)
	v_dual_mov_b32 v37, v9 :: v_dual_lshlrev_b32 v36, 1, v7
	v_lshlrev_b64_e32 v[36:37], 3, v[36:37]
	s_delay_alu instid0(VALU_DEP_1) | instskip(SKIP_1) | instid1(VALU_DEP_2)
	v_add_co_u32 v36, vcc_lo, s10, v36
	s_wait_alu 0xfffd
	v_add_co_ci_u32_e64 v37, null, s11, v37, vcc_lo
	global_load_b128 v[36:39], v[36:37], off
	s_wait_loadcnt 0x0
	v_dual_fmac_f32 v11, v33, v36 :: v_dual_add_nc_u32 v6, 16, v6
	v_add_nc_u32_e32 v8, 0x80, v8
	v_fmac_f32_e32 v13, v25, v36
	v_fmac_f32_e32 v14, v29, v36
	;; [unrolled: 1-line block ×9, first 2 shown]
	v_fma_f32 v10, -v29, v37, v18
	v_fmac_f32_e32 v17, v24, v36
	v_fma_f32 v7, -v33, v37, v16
	v_fmac_f32_e32 v14, v31, v38
	;; [unrolled: 2-line block ×3, first 2 shown]
	v_fma_f32 v17, -v25, v37, v17
	v_dual_fmac_f32 v12, v21, v36 :: v_dual_fmac_f32 v7, v34, v38
	v_fmac_f32_e32 v13, v27, v38
	v_fmac_f32_e32 v15, v22, v38
	s_delay_alu instid0(VALU_DEP_3)
	v_dual_fmac_f32 v17, v26, v38 :: v_dual_fmac_f32 v12, v20, v37
	v_cmp_ge_i32_e32 vcc_lo, v6, v19
	v_fma_f32 v16, -v35, v39, v7
	v_fmac_f32_e32 v11, v34, v39
	v_fma_f32 v18, -v31, v39, v10
	v_fmac_f32_e32 v12, v23, v38
	v_fmac_f32_e32 v14, v30, v39
	v_fma_f32 v17, -v27, v39, v17
	v_fmac_f32_e32 v13, v26, v39
	v_fma_f32 v15, -v23, v39, v15
	v_fmac_f32_e32 v12, v22, v39
	s_wait_alu 0xfffe
	s_or_b32 s2, vcc_lo, s2
	s_wait_alu 0xfffe
	s_and_not1_b32 exec_lo, exec_lo, s2
	s_cbranch_execnz .LBB81_13
; %bb.14:
	s_or_b32 exec_lo, exec_lo, s2
.LBB81_15:
	s_wait_alu 0xfffe
	s_or_b32 exec_lo, exec_lo, s3
.LBB81_16:
	v_mbcnt_lo_u32_b32 v6, -1, 0
	s_delay_alu instid0(VALU_DEP_1) | instskip(SKIP_1) | instid1(VALU_DEP_2)
	v_xor_b32_e32 v7, 8, v6
	v_xor_b32_e32 v23, 4, v6
	v_cmp_gt_i32_e32 vcc_lo, 32, v7
	s_wait_alu 0xfffd
	v_cndmask_b32_e32 v7, v6, v7, vcc_lo
	s_delay_alu instid0(VALU_DEP_3) | instskip(NEXT) | instid1(VALU_DEP_2)
	v_cmp_gt_i32_e32 vcc_lo, 32, v23
	v_lshlrev_b32_e32 v7, 2, v7
	ds_bpermute_b32 v10, v7, v18
	s_wait_dscnt 0x0
	v_add_f32_e32 v10, v18, v10
	ds_bpermute_b32 v8, v7, v16
	ds_bpermute_b32 v9, v7, v11
	;; [unrolled: 1-line block ×7, first 2 shown]
	s_wait_dscnt 0x6
	s_wait_alu 0xfffd
	v_dual_cndmask_b32 v23, v6, v23 :: v_dual_add_f32 v8, v16, v8
	s_wait_dscnt 0x5
	v_add_f32_e32 v9, v11, v9
	s_wait_dscnt 0x2
	v_add_f32_e32 v15, v15, v22
	v_dual_add_f32 v11, v14, v19 :: v_dual_add_f32 v14, v17, v20
	v_lshlrev_b32_e32 v23, 2, v23
	s_wait_dscnt 0x0
	v_add_f32_e32 v7, v12, v7
	ds_bpermute_b32 v12, v23, v8
	s_wait_dscnt 0x0
	v_add_f32_e32 v8, v8, v12
	ds_bpermute_b32 v19, v23, v14
	ds_bpermute_b32 v17, v23, v10
	;; [unrolled: 1-line block ×3, first 2 shown]
	v_add_f32_e32 v13, v13, v21
	ds_bpermute_b32 v22, v23, v7
	s_wait_dscnt 0x3
	v_add_f32_e32 v14, v14, v19
	ds_bpermute_b32 v16, v23, v9
	s_wait_dscnt 0x3
	v_add_f32_e32 v12, v10, v17
	ds_bpermute_b32 v21, v23, v15
	s_wait_dscnt 0x1
	v_dual_add_f32 v9, v9, v16 :: v_dual_add_f32 v16, v11, v18
	ds_bpermute_b32 v20, v23, v13
	v_xor_b32_e32 v23, 2, v6
	s_wait_dscnt 0x1
	v_add_f32_e32 v18, v15, v21
	s_delay_alu instid0(VALU_DEP_2) | instskip(SKIP_2) | instid1(VALU_DEP_1)
	v_cmp_gt_i32_e32 vcc_lo, 32, v23
	s_wait_alu 0xfffd
	v_cndmask_b32_e32 v23, v6, v23, vcc_lo
	v_lshlrev_b32_e32 v23, 2, v23
	ds_bpermute_b32 v10, v23, v9
	ds_bpermute_b32 v15, v23, v14
	;; [unrolled: 1-line block ×4, first 2 shown]
	s_wait_dscnt 0x3
	v_add_f32_e32 v10, v9, v10
	s_wait_dscnt 0x2
	v_dual_add_f32 v19, v7, v22 :: v_dual_add_f32 v14, v14, v15
	ds_bpermute_b32 v7, v23, v8
	v_add_f32_e32 v17, v13, v20
	ds_bpermute_b32 v13, v23, v16
	ds_bpermute_b32 v22, v23, v19
	s_wait_dscnt 0x4
	v_add_f32_e32 v11, v12, v11
	ds_bpermute_b32 v20, v23, v17
	v_xor_b32_e32 v23, 1, v6
	s_delay_alu instid0(VALU_DEP_1) | instskip(SKIP_4) | instid1(VALU_DEP_2)
	v_cmp_gt_i32_e32 vcc_lo, 32, v23
	s_wait_alu 0xfffd
	v_cndmask_b32_e32 v6, v6, v23, vcc_lo
	v_cmp_eq_u32_e32 vcc_lo, 15, v0
	s_wait_dscnt 0x3
	v_dual_add_f32 v6, v8, v7 :: v_dual_lshlrev_b32 v23, 2, v6
	s_wait_dscnt 0x2
	v_add_f32_e32 v13, v16, v13
	v_add_f32_e32 v7, v18, v21
	s_wait_dscnt 0x0
	v_add_f32_e32 v15, v17, v20
	v_add_f32_e32 v9, v19, v22
	ds_bpermute_b32 v8, v23, v6
	ds_bpermute_b32 v12, v23, v10
	;; [unrolled: 1-line block ×8, first 2 shown]
	s_and_b32 exec_lo, exec_lo, vcc_lo
	s_cbranch_execz .LBB81_21
; %bb.17:
	s_load_b64 s[2:3], s[0:1], 0x38
	v_cmp_eq_f32_e32 vcc_lo, 0, v3
	v_cmp_eq_f32_e64 s0, 0, v4
	s_wait_dscnt 0x7
	v_add_f32_e32 v8, v6, v8
	s_wait_dscnt 0x0
	v_dual_add_f32 v12, v10, v12 :: v_dual_add_f32 v9, v9, v17
	v_dual_add_f32 v0, v11, v18 :: v_dual_add_f32 v11, v13, v19
	v_add_f32_e32 v6, v14, v20
	v_add_f32_e32 v10, v15, v21
	;; [unrolled: 1-line block ×3, first 2 shown]
	s_and_b32 s0, vcc_lo, s0
	s_wait_alu 0xfffe
	s_and_saveexec_b32 s1, s0
	s_wait_alu 0xfffe
	s_xor_b32 s0, exec_lo, s1
	s_cbranch_execz .LBB81_19
; %bb.18:
	v_dual_mul_f32 v14, v1, v12 :: v_dual_lshlrev_b32 v3, 2, v5
	v_mul_f32_e64 v13, v12, -v2
	v_mul_f32_e64 v15, v11, -v2
	v_mul_f32_e32 v16, v1, v11
	s_delay_alu instid0(VALU_DEP_4)
	v_ashrrev_i32_e32 v4, 31, v3
	v_mul_f32_e64 v17, v10, -v2
	v_mul_f32_e32 v18, v1, v10
	v_mul_f32_e64 v19, v9, -v2
	v_mul_f32_e32 v20, v1, v9
	v_lshlrev_b64_e32 v[3:4], 3, v[3:4]
	s_delay_alu instid0(VALU_DEP_4) | instskip(SKIP_1) | instid1(VALU_DEP_4)
	v_dual_fmac_f32 v13, v1, v8 :: v_dual_fmac_f32 v18, v2, v6
	v_dual_fmac_f32 v14, v2, v8 :: v_dual_fmac_f32 v17, v1, v6
	;; [unrolled: 1-line block ×3, first 2 shown]
	s_wait_kmcnt 0x0
	s_delay_alu instid0(VALU_DEP_4)
	v_add_co_u32 v3, vcc_lo, s2, v3
	s_wait_alu 0xfffd
	v_add_co_ci_u32_e64 v4, null, s3, v4, vcc_lo
	v_dual_fmac_f32 v16, v2, v0 :: v_dual_fmac_f32 v19, v1, v7
	s_clause 0x1
	global_store_b128 v[3:4], v[13:16], off
	global_store_b128 v[3:4], v[17:20], off offset:16
                                        ; implicit-def: $vgpr5
                                        ; implicit-def: $vgpr8
                                        ; implicit-def: $vgpr12
                                        ; implicit-def: $vgpr0
                                        ; implicit-def: $vgpr11
                                        ; implicit-def: $vgpr6
                                        ; implicit-def: $vgpr10
                                        ; implicit-def: $vgpr7
                                        ; implicit-def: $vgpr9
                                        ; implicit-def: $vgpr1_vgpr2
                                        ; implicit-def: $vgpr3_vgpr4
.LBB81_19:
	s_wait_alu 0xfffe
	s_and_not1_saveexec_b32 s0, s0
	s_cbranch_execz .LBB81_21
; %bb.20:
	v_dual_mul_f32 v22, v1, v12 :: v_dual_lshlrev_b32 v13, 2, v5
	v_mul_f32_e64 v5, v12, -v2
	v_mul_f32_e64 v23, v11, -v2
	;; [unrolled: 1-line block ×3, first 2 shown]
	s_delay_alu instid0(VALU_DEP_4) | instskip(NEXT) | instid1(VALU_DEP_4)
	v_ashrrev_i32_e32 v14, 31, v13
	v_fmac_f32_e32 v5, v1, v8
	s_delay_alu instid0(VALU_DEP_2) | instskip(SKIP_1) | instid1(VALU_DEP_1)
	v_lshlrev_b64_e32 v[13:14], 3, v[13:14]
	s_wait_kmcnt 0x0
	v_add_co_u32 v25, vcc_lo, s2, v13
	s_wait_alu 0xfffd
	s_delay_alu instid0(VALU_DEP_2)
	v_add_co_ci_u32_e64 v26, null, s3, v14, vcc_lo
	s_clause 0x1
	global_load_b128 v[13:16], v[25:26], off
	global_load_b128 v[17:20], v[25:26], off offset:16
	v_mul_f32_e32 v24, v1, v11
	v_mul_f32_e64 v11, v10, -v2
	s_delay_alu instid0(VALU_DEP_1) | instskip(SKIP_1) | instid1(VALU_DEP_1)
	v_dual_fmac_f32 v22, v2, v8 :: v_dual_fmac_f32 v11, v1, v6
	s_wait_loadcnt 0x1
	v_dual_fmac_f32 v27, v1, v7 :: v_dual_fmac_f32 v22, v4, v13
	s_wait_loadcnt 0x0
	s_delay_alu instid0(VALU_DEP_1) | instskip(SKIP_3) | instid1(VALU_DEP_4)
	v_dual_mul_f32 v12, v1, v9 :: v_dual_fmac_f32 v27, v3, v19
	v_fmac_f32_e32 v23, v1, v0
	v_fmac_f32_e32 v11, v3, v17
	;; [unrolled: 1-line block ×4, first 2 shown]
	s_delay_alu instid0(VALU_DEP_4) | instskip(NEXT) | instid1(VALU_DEP_4)
	v_dual_mul_f32 v10, v1, v10 :: v_dual_fmac_f32 v23, v3, v15
	v_fma_f32 v9, -v4, v18, v11
	v_fma_f32 v11, -v4, v20, v27
	s_delay_alu instid0(VALU_DEP_4) | instskip(NEXT) | instid1(VALU_DEP_4)
	v_fmac_f32_e32 v12, v4, v19
	v_dual_fmac_f32 v10, v2, v6 :: v_dual_fmac_f32 v5, v3, v13
	v_fmac_f32_e32 v24, v2, v0
	v_fma_f32 v23, -v4, v16, v23
	s_delay_alu instid0(VALU_DEP_4) | instskip(NEXT) | instid1(VALU_DEP_4)
	v_fmac_f32_e32 v12, v3, v20
	v_fmac_f32_e32 v10, v4, v17
	v_fma_f32 v21, -v4, v14, v5
	v_fmac_f32_e32 v24, v4, v15
	s_delay_alu instid0(VALU_DEP_3) | instskip(NEXT) | instid1(VALU_DEP_2)
	v_fmac_f32_e32 v10, v3, v18
	v_fmac_f32_e32 v24, v3, v16
	s_clause 0x1
	global_store_b128 v[25:26], v[21:24], off
	global_store_b128 v[25:26], v[9:12], off offset:16
.LBB81_21:
	s_endpgm
	.section	.rodata,"a",@progbits
	.p2align	6, 0x0
	.amdhsa_kernel _ZN9rocsparseL19gebsrmvn_4xn_kernelILj128ELj2ELj16E21rocsparse_complex_numIfEEEvi20rocsparse_direction_NS_24const_host_device_scalarIT2_EEPKiS8_PKS5_SA_S6_PS5_21rocsparse_index_base_b
		.amdhsa_group_segment_fixed_size 0
		.amdhsa_private_segment_fixed_size 0
		.amdhsa_kernarg_size 72
		.amdhsa_user_sgpr_count 2
		.amdhsa_user_sgpr_dispatch_ptr 0
		.amdhsa_user_sgpr_queue_ptr 0
		.amdhsa_user_sgpr_kernarg_segment_ptr 1
		.amdhsa_user_sgpr_dispatch_id 0
		.amdhsa_user_sgpr_private_segment_size 0
		.amdhsa_wavefront_size32 1
		.amdhsa_uses_dynamic_stack 0
		.amdhsa_enable_private_segment 0
		.amdhsa_system_sgpr_workgroup_id_x 1
		.amdhsa_system_sgpr_workgroup_id_y 0
		.amdhsa_system_sgpr_workgroup_id_z 0
		.amdhsa_system_sgpr_workgroup_info 0
		.amdhsa_system_vgpr_workitem_id 0
		.amdhsa_next_free_vgpr 40
		.amdhsa_next_free_sgpr 14
		.amdhsa_reserve_vcc 1
		.amdhsa_float_round_mode_32 0
		.amdhsa_float_round_mode_16_64 0
		.amdhsa_float_denorm_mode_32 3
		.amdhsa_float_denorm_mode_16_64 3
		.amdhsa_fp16_overflow 0
		.amdhsa_workgroup_processor_mode 1
		.amdhsa_memory_ordered 1
		.amdhsa_forward_progress 1
		.amdhsa_inst_pref_size 19
		.amdhsa_round_robin_scheduling 0
		.amdhsa_exception_fp_ieee_invalid_op 0
		.amdhsa_exception_fp_denorm_src 0
		.amdhsa_exception_fp_ieee_div_zero 0
		.amdhsa_exception_fp_ieee_overflow 0
		.amdhsa_exception_fp_ieee_underflow 0
		.amdhsa_exception_fp_ieee_inexact 0
		.amdhsa_exception_int_div_zero 0
	.end_amdhsa_kernel
	.section	.text._ZN9rocsparseL19gebsrmvn_4xn_kernelILj128ELj2ELj16E21rocsparse_complex_numIfEEEvi20rocsparse_direction_NS_24const_host_device_scalarIT2_EEPKiS8_PKS5_SA_S6_PS5_21rocsparse_index_base_b,"axG",@progbits,_ZN9rocsparseL19gebsrmvn_4xn_kernelILj128ELj2ELj16E21rocsparse_complex_numIfEEEvi20rocsparse_direction_NS_24const_host_device_scalarIT2_EEPKiS8_PKS5_SA_S6_PS5_21rocsparse_index_base_b,comdat
.Lfunc_end81:
	.size	_ZN9rocsparseL19gebsrmvn_4xn_kernelILj128ELj2ELj16E21rocsparse_complex_numIfEEEvi20rocsparse_direction_NS_24const_host_device_scalarIT2_EEPKiS8_PKS5_SA_S6_PS5_21rocsparse_index_base_b, .Lfunc_end81-_ZN9rocsparseL19gebsrmvn_4xn_kernelILj128ELj2ELj16E21rocsparse_complex_numIfEEEvi20rocsparse_direction_NS_24const_host_device_scalarIT2_EEPKiS8_PKS5_SA_S6_PS5_21rocsparse_index_base_b
                                        ; -- End function
	.set _ZN9rocsparseL19gebsrmvn_4xn_kernelILj128ELj2ELj16E21rocsparse_complex_numIfEEEvi20rocsparse_direction_NS_24const_host_device_scalarIT2_EEPKiS8_PKS5_SA_S6_PS5_21rocsparse_index_base_b.num_vgpr, 40
	.set _ZN9rocsparseL19gebsrmvn_4xn_kernelILj128ELj2ELj16E21rocsparse_complex_numIfEEEvi20rocsparse_direction_NS_24const_host_device_scalarIT2_EEPKiS8_PKS5_SA_S6_PS5_21rocsparse_index_base_b.num_agpr, 0
	.set _ZN9rocsparseL19gebsrmvn_4xn_kernelILj128ELj2ELj16E21rocsparse_complex_numIfEEEvi20rocsparse_direction_NS_24const_host_device_scalarIT2_EEPKiS8_PKS5_SA_S6_PS5_21rocsparse_index_base_b.numbered_sgpr, 14
	.set _ZN9rocsparseL19gebsrmvn_4xn_kernelILj128ELj2ELj16E21rocsparse_complex_numIfEEEvi20rocsparse_direction_NS_24const_host_device_scalarIT2_EEPKiS8_PKS5_SA_S6_PS5_21rocsparse_index_base_b.num_named_barrier, 0
	.set _ZN9rocsparseL19gebsrmvn_4xn_kernelILj128ELj2ELj16E21rocsparse_complex_numIfEEEvi20rocsparse_direction_NS_24const_host_device_scalarIT2_EEPKiS8_PKS5_SA_S6_PS5_21rocsparse_index_base_b.private_seg_size, 0
	.set _ZN9rocsparseL19gebsrmvn_4xn_kernelILj128ELj2ELj16E21rocsparse_complex_numIfEEEvi20rocsparse_direction_NS_24const_host_device_scalarIT2_EEPKiS8_PKS5_SA_S6_PS5_21rocsparse_index_base_b.uses_vcc, 1
	.set _ZN9rocsparseL19gebsrmvn_4xn_kernelILj128ELj2ELj16E21rocsparse_complex_numIfEEEvi20rocsparse_direction_NS_24const_host_device_scalarIT2_EEPKiS8_PKS5_SA_S6_PS5_21rocsparse_index_base_b.uses_flat_scratch, 0
	.set _ZN9rocsparseL19gebsrmvn_4xn_kernelILj128ELj2ELj16E21rocsparse_complex_numIfEEEvi20rocsparse_direction_NS_24const_host_device_scalarIT2_EEPKiS8_PKS5_SA_S6_PS5_21rocsparse_index_base_b.has_dyn_sized_stack, 0
	.set _ZN9rocsparseL19gebsrmvn_4xn_kernelILj128ELj2ELj16E21rocsparse_complex_numIfEEEvi20rocsparse_direction_NS_24const_host_device_scalarIT2_EEPKiS8_PKS5_SA_S6_PS5_21rocsparse_index_base_b.has_recursion, 0
	.set _ZN9rocsparseL19gebsrmvn_4xn_kernelILj128ELj2ELj16E21rocsparse_complex_numIfEEEvi20rocsparse_direction_NS_24const_host_device_scalarIT2_EEPKiS8_PKS5_SA_S6_PS5_21rocsparse_index_base_b.has_indirect_call, 0
	.section	.AMDGPU.csdata,"",@progbits
; Kernel info:
; codeLenInByte = 2424
; TotalNumSgprs: 16
; NumVgprs: 40
; ScratchSize: 0
; MemoryBound: 0
; FloatMode: 240
; IeeeMode: 1
; LDSByteSize: 0 bytes/workgroup (compile time only)
; SGPRBlocks: 0
; VGPRBlocks: 4
; NumSGPRsForWavesPerEU: 16
; NumVGPRsForWavesPerEU: 40
; Occupancy: 16
; WaveLimiterHint : 1
; COMPUTE_PGM_RSRC2:SCRATCH_EN: 0
; COMPUTE_PGM_RSRC2:USER_SGPR: 2
; COMPUTE_PGM_RSRC2:TRAP_HANDLER: 0
; COMPUTE_PGM_RSRC2:TGID_X_EN: 1
; COMPUTE_PGM_RSRC2:TGID_Y_EN: 0
; COMPUTE_PGM_RSRC2:TGID_Z_EN: 0
; COMPUTE_PGM_RSRC2:TIDIG_COMP_CNT: 0
	.section	.text._ZN9rocsparseL19gebsrmvn_4xn_kernelILj128ELj2ELj32E21rocsparse_complex_numIfEEEvi20rocsparse_direction_NS_24const_host_device_scalarIT2_EEPKiS8_PKS5_SA_S6_PS5_21rocsparse_index_base_b,"axG",@progbits,_ZN9rocsparseL19gebsrmvn_4xn_kernelILj128ELj2ELj32E21rocsparse_complex_numIfEEEvi20rocsparse_direction_NS_24const_host_device_scalarIT2_EEPKiS8_PKS5_SA_S6_PS5_21rocsparse_index_base_b,comdat
	.globl	_ZN9rocsparseL19gebsrmvn_4xn_kernelILj128ELj2ELj32E21rocsparse_complex_numIfEEEvi20rocsparse_direction_NS_24const_host_device_scalarIT2_EEPKiS8_PKS5_SA_S6_PS5_21rocsparse_index_base_b ; -- Begin function _ZN9rocsparseL19gebsrmvn_4xn_kernelILj128ELj2ELj32E21rocsparse_complex_numIfEEEvi20rocsparse_direction_NS_24const_host_device_scalarIT2_EEPKiS8_PKS5_SA_S6_PS5_21rocsparse_index_base_b
	.p2align	8
	.type	_ZN9rocsparseL19gebsrmvn_4xn_kernelILj128ELj2ELj32E21rocsparse_complex_numIfEEEvi20rocsparse_direction_NS_24const_host_device_scalarIT2_EEPKiS8_PKS5_SA_S6_PS5_21rocsparse_index_base_b,@function
_ZN9rocsparseL19gebsrmvn_4xn_kernelILj128ELj2ELj32E21rocsparse_complex_numIfEEEvi20rocsparse_direction_NS_24const_host_device_scalarIT2_EEPKiS8_PKS5_SA_S6_PS5_21rocsparse_index_base_b: ; @_ZN9rocsparseL19gebsrmvn_4xn_kernelILj128ELj2ELj32E21rocsparse_complex_numIfEEEvi20rocsparse_direction_NS_24const_host_device_scalarIT2_EEPKiS8_PKS5_SA_S6_PS5_21rocsparse_index_base_b
; %bb.0:
	s_clause 0x2
	s_load_b64 s[12:13], s[0:1], 0x40
	s_load_b64 s[2:3], s[0:1], 0x8
	;; [unrolled: 1-line block ×3, first 2 shown]
	s_add_nc_u64 s[6:7], s[0:1], 8
	s_wait_kmcnt 0x0
	s_bitcmp1_b32 s13, 0
	s_cselect_b32 s2, s6, s2
	s_cselect_b32 s3, s7, s3
	s_delay_alu instid0(SALU_CYCLE_1)
	v_dual_mov_b32 v1, s2 :: v_dual_mov_b32 v2, s3
	s_add_nc_u64 s[2:3], s[0:1], 48
	s_wait_alu 0xfffe
	s_cselect_b32 s2, s2, s4
	s_cselect_b32 s3, s3, s5
	flat_load_b64 v[1:2], v[1:2]
	s_wait_alu 0xfffe
	v_dual_mov_b32 v3, s2 :: v_dual_mov_b32 v4, s3
	flat_load_b64 v[3:4], v[3:4]
	s_wait_loadcnt_dscnt 0x101
	v_cmp_eq_f32_e32 vcc_lo, 0, v1
	v_cmp_eq_f32_e64 s2, 0, v2
	s_and_b32 s4, vcc_lo, s2
	s_mov_b32 s2, -1
	s_and_saveexec_b32 s3, s4
	s_cbranch_execz .LBB82_2
; %bb.1:
	s_wait_loadcnt_dscnt 0x0
	v_cmp_neq_f32_e32 vcc_lo, 1.0, v3
	v_cmp_neq_f32_e64 s2, 0, v4
	s_wait_alu 0xfffe
	s_or_b32 s2, vcc_lo, s2
	s_wait_alu 0xfffe
	s_or_not1_b32 s2, s2, exec_lo
.LBB82_2:
	s_wait_alu 0xfffe
	s_or_b32 exec_lo, exec_lo, s3
	s_and_saveexec_b32 s3, s2
	s_cbranch_execz .LBB82_21
; %bb.3:
	s_load_b64 s[2:3], s[0:1], 0x0
	v_lshrrev_b32_e32 v5, 5, v0
	s_delay_alu instid0(VALU_DEP_1) | instskip(SKIP_1) | instid1(VALU_DEP_1)
	v_lshl_or_b32 v5, ttmp9, 2, v5
	s_wait_kmcnt 0x0
	v_cmp_gt_i32_e32 vcc_lo, s2, v5
	s_and_b32 exec_lo, exec_lo, vcc_lo
	s_cbranch_execz .LBB82_21
; %bb.4:
	s_load_b256 s[4:11], s[0:1], 0x10
	v_ashrrev_i32_e32 v6, 31, v5
	v_and_b32_e32 v0, 31, v0
	s_cmp_lg_u32 s3, 0
	s_delay_alu instid0(VALU_DEP_2) | instskip(SKIP_1) | instid1(VALU_DEP_1)
	v_lshlrev_b64_e32 v[6:7], 2, v[5:6]
	s_wait_kmcnt 0x0
	v_add_co_u32 v6, vcc_lo, s4, v6
	s_delay_alu instid0(VALU_DEP_1) | instskip(SKIP_4) | instid1(VALU_DEP_2)
	v_add_co_ci_u32_e64 v7, null, s5, v7, vcc_lo
	global_load_b64 v[6:7], v[6:7], off
	s_wait_loadcnt 0x0
	v_subrev_nc_u32_e32 v6, s12, v6
	v_subrev_nc_u32_e32 v19, s12, v7
	v_add_nc_u32_e32 v6, v6, v0
	s_delay_alu instid0(VALU_DEP_1)
	v_cmp_lt_i32_e64 s2, v6, v19
	s_cbranch_scc0 .LBB82_10
; %bb.5:
	v_dual_mov_b32 v11, 0 :: v_dual_mov_b32 v16, 0
	v_dual_mov_b32 v15, 0 :: v_dual_mov_b32 v12, 0
	;; [unrolled: 1-line block ×4, first 2 shown]
	s_and_saveexec_b32 s3, s2
	s_cbranch_execz .LBB82_9
; %bb.6:
	v_dual_mov_b32 v8, 0 :: v_dual_lshlrev_b32 v7, 3, v6
	v_mov_b32_e32 v9, v6
	s_mov_b32 s4, 0
	s_delay_alu instid0(VALU_DEP_2)
	v_dual_mov_b32 v11, v8 :: v_dual_mov_b32 v12, v8
	v_dual_mov_b32 v16, v8 :: v_dual_mov_b32 v15, v8
	;; [unrolled: 1-line block ×4, first 2 shown]
.LBB82_7:                               ; =>This Inner Loop Header: Depth=1
	v_ashrrev_i32_e32 v10, 31, v9
	s_delay_alu instid0(VALU_DEP_1) | instskip(NEXT) | instid1(VALU_DEP_1)
	v_lshlrev_b64_e32 v[20:21], 2, v[9:10]
	v_add_co_u32 v20, vcc_lo, s6, v20
	s_wait_alu 0xfffd
	s_delay_alu instid0(VALU_DEP_2) | instskip(SKIP_2) | instid1(VALU_DEP_1)
	v_add_co_ci_u32_e64 v21, null, s7, v21, vcc_lo
	global_load_b32 v10, v[20:21], off
	v_lshlrev_b64_e32 v[20:21], 3, v[7:8]
	v_add_co_u32 v36, vcc_lo, s8, v20
	s_wait_alu 0xfffd
	s_delay_alu instid0(VALU_DEP_2)
	v_add_co_ci_u32_e64 v37, null, s9, v21, vcc_lo
	s_clause 0x1
	global_load_b128 v[20:23], v[36:37], off offset:16
	global_load_b128 v[24:27], v[36:37], off
	s_wait_loadcnt 0x2
	v_subrev_nc_u32_e32 v10, s12, v10
	s_delay_alu instid0(VALU_DEP_1) | instskip(NEXT) | instid1(VALU_DEP_1)
	v_dual_mov_b32 v29, v8 :: v_dual_lshlrev_b32 v28, 1, v10
	v_lshlrev_b64_e32 v[28:29], 3, v[28:29]
	s_delay_alu instid0(VALU_DEP_1) | instskip(SKIP_1) | instid1(VALU_DEP_2)
	v_add_co_u32 v28, vcc_lo, s10, v28
	s_wait_alu 0xfffd
	v_add_co_ci_u32_e64 v29, null, s11, v29, vcc_lo
	global_load_b128 v[28:31], v[28:29], off
	s_clause 0x1
	global_load_b128 v[32:35], v[36:37], off offset:32
	global_load_b128 v[36:39], v[36:37], off offset:48
	v_add_nc_u32_e32 v7, 0x100, v7
	s_wait_loadcnt 0x2
	v_dual_fmac_f32 v18, v26, v28 :: v_dual_add_nc_u32 v9, 32, v9
	v_fmac_f32_e32 v16, v24, v28
	v_fmac_f32_e32 v14, v27, v28
	v_fmac_f32_e32 v11, v25, v28
	s_delay_alu instid0(VALU_DEP_4)
	v_cmp_ge_i32_e32 vcc_lo, v9, v19
	v_fma_f32 v18, -v27, v29, v18
	v_fma_f32 v10, -v25, v29, v16
	v_dual_fmac_f32 v13, v21, v28 :: v_dual_fmac_f32 v14, v26, v29
	v_fmac_f32_e32 v15, v22, v28
	v_fmac_f32_e32 v11, v24, v29
	s_wait_loadcnt 0x1
	v_fmac_f32_e32 v10, v32, v30
	v_dual_fmac_f32 v12, v23, v28 :: v_dual_fmac_f32 v13, v20, v29
	v_dual_fmac_f32 v17, v20, v28 :: v_dual_fmac_f32 v14, v35, v30
	v_fma_f32 v15, -v23, v29, v15
	s_wait_loadcnt 0x0
	s_delay_alu instid0(VALU_DEP_3) | instskip(NEXT) | instid1(VALU_DEP_3)
	v_dual_fmac_f32 v12, v22, v29 :: v_dual_fmac_f32 v13, v37, v30
	v_fma_f32 v17, -v21, v29, v17
	v_dual_fmac_f32 v11, v33, v30 :: v_dual_fmac_f32 v14, v34, v31
	v_fmac_f32_e32 v18, v34, v30
	v_fmac_f32_e32 v15, v38, v30
	v_dual_fmac_f32 v12, v39, v30 :: v_dual_fmac_f32 v13, v36, v31
	v_fmac_f32_e32 v17, v36, v30
	v_fma_f32 v16, -v33, v31, v10
	v_fmac_f32_e32 v11, v32, v31
	v_fma_f32 v18, -v35, v31, v18
	v_fma_f32 v15, -v39, v31, v15
	v_fmac_f32_e32 v12, v38, v31
	v_fma_f32 v17, -v37, v31, v17
	s_wait_alu 0xfffe
	s_or_b32 s4, vcc_lo, s4
	s_wait_alu 0xfffe
	s_and_not1_b32 exec_lo, exec_lo, s4
	s_cbranch_execnz .LBB82_7
; %bb.8:
	s_or_b32 exec_lo, exec_lo, s4
.LBB82_9:
	s_wait_alu 0xfffe
	s_or_b32 exec_lo, exec_lo, s3
	s_cbranch_execz .LBB82_11
	s_branch .LBB82_16
.LBB82_10:
                                        ; implicit-def: $vgpr11
                                        ; implicit-def: $vgpr16
                                        ; implicit-def: $vgpr15
                                        ; implicit-def: $vgpr12
                                        ; implicit-def: $vgpr17
                                        ; implicit-def: $vgpr13
                                        ; implicit-def: $vgpr18
                                        ; implicit-def: $vgpr14
.LBB82_11:
	v_dual_mov_b32 v11, 0 :: v_dual_mov_b32 v16, 0
	v_dual_mov_b32 v15, 0 :: v_dual_mov_b32 v12, 0
	;; [unrolled: 1-line block ×4, first 2 shown]
	s_and_saveexec_b32 s3, s2
	s_cbranch_execz .LBB82_15
; %bb.12:
	v_dual_mov_b32 v9, 0 :: v_dual_lshlrev_b32 v8, 3, v6
	s_mov_b32 s2, 0
	s_delay_alu instid0(VALU_DEP_1)
	v_dual_mov_b32 v11, v9 :: v_dual_mov_b32 v16, v9
	v_dual_mov_b32 v15, v9 :: v_dual_mov_b32 v12, v9
	;; [unrolled: 1-line block ×4, first 2 shown]
.LBB82_13:                              ; =>This Inner Loop Header: Depth=1
	v_ashrrev_i32_e32 v7, 31, v6
	s_delay_alu instid0(VALU_DEP_1) | instskip(NEXT) | instid1(VALU_DEP_1)
	v_lshlrev_b64_e32 v[20:21], 2, v[6:7]
	v_add_co_u32 v20, vcc_lo, s6, v20
	s_wait_alu 0xfffd
	s_delay_alu instid0(VALU_DEP_2) | instskip(SKIP_2) | instid1(VALU_DEP_1)
	v_add_co_ci_u32_e64 v21, null, s7, v21, vcc_lo
	global_load_b32 v7, v[20:21], off
	v_lshlrev_b64_e32 v[20:21], 3, v[8:9]
	v_add_co_u32 v32, vcc_lo, s8, v20
	s_wait_alu 0xfffd
	s_delay_alu instid0(VALU_DEP_2)
	v_add_co_ci_u32_e64 v33, null, s9, v21, vcc_lo
	s_clause 0x3
	global_load_b128 v[20:23], v[32:33], off offset:48
	global_load_b128 v[24:27], v[32:33], off offset:32
	;; [unrolled: 1-line block ×3, first 2 shown]
	global_load_b128 v[32:35], v[32:33], off
	s_wait_loadcnt 0x4
	v_subrev_nc_u32_e32 v7, s12, v7
	s_delay_alu instid0(VALU_DEP_1) | instskip(NEXT) | instid1(VALU_DEP_1)
	v_dual_mov_b32 v37, v9 :: v_dual_lshlrev_b32 v36, 1, v7
	v_lshlrev_b64_e32 v[36:37], 3, v[36:37]
	s_delay_alu instid0(VALU_DEP_1) | instskip(SKIP_1) | instid1(VALU_DEP_2)
	v_add_co_u32 v36, vcc_lo, s10, v36
	s_wait_alu 0xfffd
	v_add_co_ci_u32_e64 v37, null, s11, v37, vcc_lo
	global_load_b128 v[36:39], v[36:37], off
	s_wait_loadcnt 0x0
	v_dual_fmac_f32 v11, v33, v36 :: v_dual_add_nc_u32 v6, 32, v6
	v_add_nc_u32_e32 v8, 0x100, v8
	v_fmac_f32_e32 v13, v25, v36
	v_fmac_f32_e32 v14, v29, v36
	;; [unrolled: 1-line block ×9, first 2 shown]
	v_fma_f32 v10, -v29, v37, v18
	v_fmac_f32_e32 v17, v24, v36
	v_fma_f32 v7, -v33, v37, v16
	v_fmac_f32_e32 v14, v31, v38
	;; [unrolled: 2-line block ×3, first 2 shown]
	v_fma_f32 v17, -v25, v37, v17
	v_dual_fmac_f32 v12, v21, v36 :: v_dual_fmac_f32 v7, v34, v38
	v_fmac_f32_e32 v13, v27, v38
	v_fmac_f32_e32 v15, v22, v38
	s_delay_alu instid0(VALU_DEP_3)
	v_dual_fmac_f32 v17, v26, v38 :: v_dual_fmac_f32 v12, v20, v37
	v_cmp_ge_i32_e32 vcc_lo, v6, v19
	v_fma_f32 v16, -v35, v39, v7
	v_fmac_f32_e32 v11, v34, v39
	v_fma_f32 v18, -v31, v39, v10
	v_fmac_f32_e32 v12, v23, v38
	v_fmac_f32_e32 v14, v30, v39
	v_fma_f32 v17, -v27, v39, v17
	v_fmac_f32_e32 v13, v26, v39
	v_fma_f32 v15, -v23, v39, v15
	v_fmac_f32_e32 v12, v22, v39
	s_wait_alu 0xfffe
	s_or_b32 s2, vcc_lo, s2
	s_wait_alu 0xfffe
	s_and_not1_b32 exec_lo, exec_lo, s2
	s_cbranch_execnz .LBB82_13
; %bb.14:
	s_or_b32 exec_lo, exec_lo, s2
.LBB82_15:
	s_wait_alu 0xfffe
	s_or_b32 exec_lo, exec_lo, s3
.LBB82_16:
	v_mbcnt_lo_u32_b32 v6, -1, 0
	s_delay_alu instid0(VALU_DEP_1) | instskip(SKIP_1) | instid1(VALU_DEP_2)
	v_xor_b32_e32 v7, 16, v6
	v_xor_b32_e32 v23, 8, v6
	v_cmp_gt_i32_e32 vcc_lo, 32, v7
	s_wait_alu 0xfffd
	v_cndmask_b32_e32 v7, v6, v7, vcc_lo
	s_delay_alu instid0(VALU_DEP_3) | instskip(NEXT) | instid1(VALU_DEP_2)
	v_cmp_gt_i32_e32 vcc_lo, 32, v23
	v_lshlrev_b32_e32 v7, 2, v7
	ds_bpermute_b32 v10, v7, v18
	s_wait_dscnt 0x0
	v_add_f32_e32 v10, v18, v10
	ds_bpermute_b32 v8, v7, v16
	ds_bpermute_b32 v9, v7, v11
	;; [unrolled: 1-line block ×7, first 2 shown]
	s_wait_dscnt 0x6
	s_wait_alu 0xfffd
	v_dual_cndmask_b32 v23, v6, v23 :: v_dual_add_f32 v8, v16, v8
	s_wait_dscnt 0x5
	v_add_f32_e32 v9, v11, v9
	s_wait_dscnt 0x2
	v_add_f32_e32 v15, v15, v22
	v_dual_add_f32 v11, v14, v19 :: v_dual_add_f32 v14, v17, v20
	v_lshlrev_b32_e32 v23, 2, v23
	s_wait_dscnt 0x0
	v_add_f32_e32 v7, v12, v7
	ds_bpermute_b32 v12, v23, v8
	s_wait_dscnt 0x0
	v_add_f32_e32 v8, v8, v12
	ds_bpermute_b32 v17, v23, v10
	v_add_f32_e32 v13, v13, v21
	ds_bpermute_b32 v19, v23, v14
	ds_bpermute_b32 v22, v23, v7
	;; [unrolled: 1-line block ×3, first 2 shown]
	s_wait_dscnt 0x3
	v_add_f32_e32 v10, v10, v17
	ds_bpermute_b32 v21, v23, v15
	s_wait_dscnt 0x3
	v_add_f32_e32 v12, v14, v19
	ds_bpermute_b32 v16, v23, v9
	;; [unrolled: 3-line block ×3, first 2 shown]
	v_xor_b32_e32 v23, 4, v6
	s_wait_dscnt 0x1
	v_add_f32_e32 v9, v9, v16
	s_delay_alu instid0(VALU_DEP_2) | instskip(SKIP_2) | instid1(VALU_DEP_1)
	v_cmp_gt_i32_e32 vcc_lo, 32, v23
	s_wait_alu 0xfffd
	v_cndmask_b32_e32 v23, v6, v23, vcc_lo
	v_lshlrev_b32_e32 v23, 2, v23
	s_wait_dscnt 0x0
	v_add_f32_e32 v11, v11, v18
	ds_bpermute_b32 v16, v23, v9
	ds_bpermute_b32 v21, v23, v14
	;; [unrolled: 1-line block ×3, first 2 shown]
	s_wait_dscnt 0x0
	v_dual_add_f32 v9, v9, v16 :: v_dual_add_f32 v16, v11, v18
	v_add_f32_e32 v18, v14, v21
	ds_bpermute_b32 v15, v23, v8
	v_add_f32_e32 v7, v7, v22
	ds_bpermute_b32 v19, v23, v12
	ds_bpermute_b32 v17, v23, v10
	;; [unrolled: 1-line block ×3, first 2 shown]
	s_wait_dscnt 0x3
	v_dual_add_f32 v8, v8, v15 :: v_dual_add_f32 v13, v13, v20
	s_wait_dscnt 0x1
	v_dual_add_f32 v12, v12, v19 :: v_dual_add_f32 v15, v10, v17
	ds_bpermute_b32 v20, v23, v13
	v_xor_b32_e32 v23, 2, v6
	s_wait_dscnt 0x1
	v_add_f32_e32 v19, v7, v22
	s_delay_alu instid0(VALU_DEP_2) | instskip(SKIP_2) | instid1(VALU_DEP_1)
	v_cmp_gt_i32_e32 vcc_lo, 32, v23
	s_wait_alu 0xfffd
	v_cndmask_b32_e32 v23, v6, v23, vcc_lo
	v_lshlrev_b32_e32 v23, 2, v23
	s_wait_dscnt 0x0
	v_add_f32_e32 v17, v13, v20
	ds_bpermute_b32 v7, v23, v8
	ds_bpermute_b32 v10, v23, v9
	;; [unrolled: 1-line block ×8, first 2 shown]
	v_xor_b32_e32 v23, 1, v6
	s_delay_alu instid0(VALU_DEP_1)
	v_cmp_gt_i32_e32 vcc_lo, 32, v23
	s_wait_alu 0xfffd
	v_cndmask_b32_e32 v6, v6, v23, vcc_lo
	v_cmp_eq_u32_e32 vcc_lo, 31, v0
	s_wait_dscnt 0x5
	v_dual_add_f32 v10, v9, v10 :: v_dual_add_f32 v11, v15, v11
	s_delay_alu instid0(VALU_DEP_3)
	v_dual_add_f32 v6, v8, v7 :: v_dual_lshlrev_b32 v23, 2, v6
	s_wait_dscnt 0x4
	v_add_f32_e32 v13, v16, v13
	s_wait_dscnt 0x2
	v_dual_add_f32 v14, v12, v14 :: v_dual_add_f32 v15, v17, v20
	s_wait_dscnt 0x1
	v_add_f32_e32 v7, v18, v21
	s_wait_dscnt 0x0
	v_add_f32_e32 v9, v19, v22
	ds_bpermute_b32 v8, v23, v6
	ds_bpermute_b32 v12, v23, v10
	;; [unrolled: 1-line block ×8, first 2 shown]
	s_and_b32 exec_lo, exec_lo, vcc_lo
	s_cbranch_execz .LBB82_21
; %bb.17:
	s_load_b64 s[2:3], s[0:1], 0x38
	v_cmp_eq_f32_e32 vcc_lo, 0, v3
	v_cmp_eq_f32_e64 s0, 0, v4
	s_wait_dscnt 0x7
	v_add_f32_e32 v8, v6, v8
	s_wait_dscnt 0x0
	v_dual_add_f32 v12, v10, v12 :: v_dual_add_f32 v9, v9, v17
	v_dual_add_f32 v0, v11, v18 :: v_dual_add_f32 v11, v13, v19
	v_add_f32_e32 v6, v14, v20
	v_add_f32_e32 v10, v15, v21
	;; [unrolled: 1-line block ×3, first 2 shown]
	s_and_b32 s0, vcc_lo, s0
	s_wait_alu 0xfffe
	s_and_saveexec_b32 s1, s0
	s_wait_alu 0xfffe
	s_xor_b32 s0, exec_lo, s1
	s_cbranch_execz .LBB82_19
; %bb.18:
	v_dual_mul_f32 v14, v1, v12 :: v_dual_lshlrev_b32 v3, 2, v5
	v_mul_f32_e64 v13, v12, -v2
	v_mul_f32_e64 v15, v11, -v2
	v_mul_f32_e32 v16, v1, v11
	s_delay_alu instid0(VALU_DEP_4)
	v_ashrrev_i32_e32 v4, 31, v3
	v_mul_f32_e64 v17, v10, -v2
	v_mul_f32_e32 v18, v1, v10
	v_mul_f32_e64 v19, v9, -v2
	v_mul_f32_e32 v20, v1, v9
	v_lshlrev_b64_e32 v[3:4], 3, v[3:4]
	s_delay_alu instid0(VALU_DEP_4) | instskip(SKIP_1) | instid1(VALU_DEP_4)
	v_dual_fmac_f32 v13, v1, v8 :: v_dual_fmac_f32 v18, v2, v6
	v_dual_fmac_f32 v14, v2, v8 :: v_dual_fmac_f32 v17, v1, v6
	;; [unrolled: 1-line block ×3, first 2 shown]
	s_wait_kmcnt 0x0
	s_delay_alu instid0(VALU_DEP_4)
	v_add_co_u32 v3, vcc_lo, s2, v3
	s_wait_alu 0xfffd
	v_add_co_ci_u32_e64 v4, null, s3, v4, vcc_lo
	v_dual_fmac_f32 v16, v2, v0 :: v_dual_fmac_f32 v19, v1, v7
	s_clause 0x1
	global_store_b128 v[3:4], v[13:16], off
	global_store_b128 v[3:4], v[17:20], off offset:16
                                        ; implicit-def: $vgpr5
                                        ; implicit-def: $vgpr8
                                        ; implicit-def: $vgpr12
                                        ; implicit-def: $vgpr0
                                        ; implicit-def: $vgpr11
                                        ; implicit-def: $vgpr6
                                        ; implicit-def: $vgpr10
                                        ; implicit-def: $vgpr7
                                        ; implicit-def: $vgpr9
                                        ; implicit-def: $vgpr1_vgpr2
                                        ; implicit-def: $vgpr3_vgpr4
.LBB82_19:
	s_wait_alu 0xfffe
	s_and_not1_saveexec_b32 s0, s0
	s_cbranch_execz .LBB82_21
; %bb.20:
	v_dual_mul_f32 v22, v1, v12 :: v_dual_lshlrev_b32 v13, 2, v5
	v_mul_f32_e64 v5, v12, -v2
	v_mul_f32_e64 v23, v11, -v2
	;; [unrolled: 1-line block ×3, first 2 shown]
	s_delay_alu instid0(VALU_DEP_4) | instskip(NEXT) | instid1(VALU_DEP_4)
	v_ashrrev_i32_e32 v14, 31, v13
	v_fmac_f32_e32 v5, v1, v8
	s_delay_alu instid0(VALU_DEP_2) | instskip(SKIP_1) | instid1(VALU_DEP_1)
	v_lshlrev_b64_e32 v[13:14], 3, v[13:14]
	s_wait_kmcnt 0x0
	v_add_co_u32 v25, vcc_lo, s2, v13
	s_wait_alu 0xfffd
	s_delay_alu instid0(VALU_DEP_2)
	v_add_co_ci_u32_e64 v26, null, s3, v14, vcc_lo
	s_clause 0x1
	global_load_b128 v[13:16], v[25:26], off
	global_load_b128 v[17:20], v[25:26], off offset:16
	v_mul_f32_e32 v24, v1, v11
	v_mul_f32_e64 v11, v10, -v2
	s_delay_alu instid0(VALU_DEP_1) | instskip(SKIP_1) | instid1(VALU_DEP_1)
	v_dual_fmac_f32 v22, v2, v8 :: v_dual_fmac_f32 v11, v1, v6
	s_wait_loadcnt 0x1
	v_dual_fmac_f32 v27, v1, v7 :: v_dual_fmac_f32 v22, v4, v13
	s_wait_loadcnt 0x0
	s_delay_alu instid0(VALU_DEP_1) | instskip(SKIP_3) | instid1(VALU_DEP_4)
	v_dual_mul_f32 v12, v1, v9 :: v_dual_fmac_f32 v27, v3, v19
	v_fmac_f32_e32 v23, v1, v0
	v_fmac_f32_e32 v11, v3, v17
	;; [unrolled: 1-line block ×4, first 2 shown]
	s_delay_alu instid0(VALU_DEP_4) | instskip(NEXT) | instid1(VALU_DEP_4)
	v_dual_mul_f32 v10, v1, v10 :: v_dual_fmac_f32 v23, v3, v15
	v_fma_f32 v9, -v4, v18, v11
	v_fma_f32 v11, -v4, v20, v27
	s_delay_alu instid0(VALU_DEP_4) | instskip(NEXT) | instid1(VALU_DEP_4)
	v_fmac_f32_e32 v12, v4, v19
	v_dual_fmac_f32 v10, v2, v6 :: v_dual_fmac_f32 v5, v3, v13
	v_fmac_f32_e32 v24, v2, v0
	v_fma_f32 v23, -v4, v16, v23
	s_delay_alu instid0(VALU_DEP_4) | instskip(NEXT) | instid1(VALU_DEP_4)
	v_fmac_f32_e32 v12, v3, v20
	v_fmac_f32_e32 v10, v4, v17
	v_fma_f32 v21, -v4, v14, v5
	v_fmac_f32_e32 v24, v4, v15
	s_delay_alu instid0(VALU_DEP_3) | instskip(NEXT) | instid1(VALU_DEP_2)
	v_fmac_f32_e32 v10, v3, v18
	v_fmac_f32_e32 v24, v3, v16
	s_clause 0x1
	global_store_b128 v[25:26], v[21:24], off
	global_store_b128 v[25:26], v[9:12], off offset:16
.LBB82_21:
	s_endpgm
	.section	.rodata,"a",@progbits
	.p2align	6, 0x0
	.amdhsa_kernel _ZN9rocsparseL19gebsrmvn_4xn_kernelILj128ELj2ELj32E21rocsparse_complex_numIfEEEvi20rocsparse_direction_NS_24const_host_device_scalarIT2_EEPKiS8_PKS5_SA_S6_PS5_21rocsparse_index_base_b
		.amdhsa_group_segment_fixed_size 0
		.amdhsa_private_segment_fixed_size 0
		.amdhsa_kernarg_size 72
		.amdhsa_user_sgpr_count 2
		.amdhsa_user_sgpr_dispatch_ptr 0
		.amdhsa_user_sgpr_queue_ptr 0
		.amdhsa_user_sgpr_kernarg_segment_ptr 1
		.amdhsa_user_sgpr_dispatch_id 0
		.amdhsa_user_sgpr_private_segment_size 0
		.amdhsa_wavefront_size32 1
		.amdhsa_uses_dynamic_stack 0
		.amdhsa_enable_private_segment 0
		.amdhsa_system_sgpr_workgroup_id_x 1
		.amdhsa_system_sgpr_workgroup_id_y 0
		.amdhsa_system_sgpr_workgroup_id_z 0
		.amdhsa_system_sgpr_workgroup_info 0
		.amdhsa_system_vgpr_workitem_id 0
		.amdhsa_next_free_vgpr 40
		.amdhsa_next_free_sgpr 14
		.amdhsa_reserve_vcc 1
		.amdhsa_float_round_mode_32 0
		.amdhsa_float_round_mode_16_64 0
		.amdhsa_float_denorm_mode_32 3
		.amdhsa_float_denorm_mode_16_64 3
		.amdhsa_fp16_overflow 0
		.amdhsa_workgroup_processor_mode 1
		.amdhsa_memory_ordered 1
		.amdhsa_forward_progress 1
		.amdhsa_inst_pref_size 21
		.amdhsa_round_robin_scheduling 0
		.amdhsa_exception_fp_ieee_invalid_op 0
		.amdhsa_exception_fp_denorm_src 0
		.amdhsa_exception_fp_ieee_div_zero 0
		.amdhsa_exception_fp_ieee_overflow 0
		.amdhsa_exception_fp_ieee_underflow 0
		.amdhsa_exception_fp_ieee_inexact 0
		.amdhsa_exception_int_div_zero 0
	.end_amdhsa_kernel
	.section	.text._ZN9rocsparseL19gebsrmvn_4xn_kernelILj128ELj2ELj32E21rocsparse_complex_numIfEEEvi20rocsparse_direction_NS_24const_host_device_scalarIT2_EEPKiS8_PKS5_SA_S6_PS5_21rocsparse_index_base_b,"axG",@progbits,_ZN9rocsparseL19gebsrmvn_4xn_kernelILj128ELj2ELj32E21rocsparse_complex_numIfEEEvi20rocsparse_direction_NS_24const_host_device_scalarIT2_EEPKiS8_PKS5_SA_S6_PS5_21rocsparse_index_base_b,comdat
.Lfunc_end82:
	.size	_ZN9rocsparseL19gebsrmvn_4xn_kernelILj128ELj2ELj32E21rocsparse_complex_numIfEEEvi20rocsparse_direction_NS_24const_host_device_scalarIT2_EEPKiS8_PKS5_SA_S6_PS5_21rocsparse_index_base_b, .Lfunc_end82-_ZN9rocsparseL19gebsrmvn_4xn_kernelILj128ELj2ELj32E21rocsparse_complex_numIfEEEvi20rocsparse_direction_NS_24const_host_device_scalarIT2_EEPKiS8_PKS5_SA_S6_PS5_21rocsparse_index_base_b
                                        ; -- End function
	.set _ZN9rocsparseL19gebsrmvn_4xn_kernelILj128ELj2ELj32E21rocsparse_complex_numIfEEEvi20rocsparse_direction_NS_24const_host_device_scalarIT2_EEPKiS8_PKS5_SA_S6_PS5_21rocsparse_index_base_b.num_vgpr, 40
	.set _ZN9rocsparseL19gebsrmvn_4xn_kernelILj128ELj2ELj32E21rocsparse_complex_numIfEEEvi20rocsparse_direction_NS_24const_host_device_scalarIT2_EEPKiS8_PKS5_SA_S6_PS5_21rocsparse_index_base_b.num_agpr, 0
	.set _ZN9rocsparseL19gebsrmvn_4xn_kernelILj128ELj2ELj32E21rocsparse_complex_numIfEEEvi20rocsparse_direction_NS_24const_host_device_scalarIT2_EEPKiS8_PKS5_SA_S6_PS5_21rocsparse_index_base_b.numbered_sgpr, 14
	.set _ZN9rocsparseL19gebsrmvn_4xn_kernelILj128ELj2ELj32E21rocsparse_complex_numIfEEEvi20rocsparse_direction_NS_24const_host_device_scalarIT2_EEPKiS8_PKS5_SA_S6_PS5_21rocsparse_index_base_b.num_named_barrier, 0
	.set _ZN9rocsparseL19gebsrmvn_4xn_kernelILj128ELj2ELj32E21rocsparse_complex_numIfEEEvi20rocsparse_direction_NS_24const_host_device_scalarIT2_EEPKiS8_PKS5_SA_S6_PS5_21rocsparse_index_base_b.private_seg_size, 0
	.set _ZN9rocsparseL19gebsrmvn_4xn_kernelILj128ELj2ELj32E21rocsparse_complex_numIfEEEvi20rocsparse_direction_NS_24const_host_device_scalarIT2_EEPKiS8_PKS5_SA_S6_PS5_21rocsparse_index_base_b.uses_vcc, 1
	.set _ZN9rocsparseL19gebsrmvn_4xn_kernelILj128ELj2ELj32E21rocsparse_complex_numIfEEEvi20rocsparse_direction_NS_24const_host_device_scalarIT2_EEPKiS8_PKS5_SA_S6_PS5_21rocsparse_index_base_b.uses_flat_scratch, 0
	.set _ZN9rocsparseL19gebsrmvn_4xn_kernelILj128ELj2ELj32E21rocsparse_complex_numIfEEEvi20rocsparse_direction_NS_24const_host_device_scalarIT2_EEPKiS8_PKS5_SA_S6_PS5_21rocsparse_index_base_b.has_dyn_sized_stack, 0
	.set _ZN9rocsparseL19gebsrmvn_4xn_kernelILj128ELj2ELj32E21rocsparse_complex_numIfEEEvi20rocsparse_direction_NS_24const_host_device_scalarIT2_EEPKiS8_PKS5_SA_S6_PS5_21rocsparse_index_base_b.has_recursion, 0
	.set _ZN9rocsparseL19gebsrmvn_4xn_kernelILj128ELj2ELj32E21rocsparse_complex_numIfEEEvi20rocsparse_direction_NS_24const_host_device_scalarIT2_EEPKiS8_PKS5_SA_S6_PS5_21rocsparse_index_base_b.has_indirect_call, 0
	.section	.AMDGPU.csdata,"",@progbits
; Kernel info:
; codeLenInByte = 2568
; TotalNumSgprs: 16
; NumVgprs: 40
; ScratchSize: 0
; MemoryBound: 0
; FloatMode: 240
; IeeeMode: 1
; LDSByteSize: 0 bytes/workgroup (compile time only)
; SGPRBlocks: 0
; VGPRBlocks: 4
; NumSGPRsForWavesPerEU: 16
; NumVGPRsForWavesPerEU: 40
; Occupancy: 16
; WaveLimiterHint : 1
; COMPUTE_PGM_RSRC2:SCRATCH_EN: 0
; COMPUTE_PGM_RSRC2:USER_SGPR: 2
; COMPUTE_PGM_RSRC2:TRAP_HANDLER: 0
; COMPUTE_PGM_RSRC2:TGID_X_EN: 1
; COMPUTE_PGM_RSRC2:TGID_Y_EN: 0
; COMPUTE_PGM_RSRC2:TGID_Z_EN: 0
; COMPUTE_PGM_RSRC2:TIDIG_COMP_CNT: 0
	.section	.text._ZN9rocsparseL19gebsrmvn_4xn_kernelILj128ELj2ELj64E21rocsparse_complex_numIfEEEvi20rocsparse_direction_NS_24const_host_device_scalarIT2_EEPKiS8_PKS5_SA_S6_PS5_21rocsparse_index_base_b,"axG",@progbits,_ZN9rocsparseL19gebsrmvn_4xn_kernelILj128ELj2ELj64E21rocsparse_complex_numIfEEEvi20rocsparse_direction_NS_24const_host_device_scalarIT2_EEPKiS8_PKS5_SA_S6_PS5_21rocsparse_index_base_b,comdat
	.globl	_ZN9rocsparseL19gebsrmvn_4xn_kernelILj128ELj2ELj64E21rocsparse_complex_numIfEEEvi20rocsparse_direction_NS_24const_host_device_scalarIT2_EEPKiS8_PKS5_SA_S6_PS5_21rocsparse_index_base_b ; -- Begin function _ZN9rocsparseL19gebsrmvn_4xn_kernelILj128ELj2ELj64E21rocsparse_complex_numIfEEEvi20rocsparse_direction_NS_24const_host_device_scalarIT2_EEPKiS8_PKS5_SA_S6_PS5_21rocsparse_index_base_b
	.p2align	8
	.type	_ZN9rocsparseL19gebsrmvn_4xn_kernelILj128ELj2ELj64E21rocsparse_complex_numIfEEEvi20rocsparse_direction_NS_24const_host_device_scalarIT2_EEPKiS8_PKS5_SA_S6_PS5_21rocsparse_index_base_b,@function
_ZN9rocsparseL19gebsrmvn_4xn_kernelILj128ELj2ELj64E21rocsparse_complex_numIfEEEvi20rocsparse_direction_NS_24const_host_device_scalarIT2_EEPKiS8_PKS5_SA_S6_PS5_21rocsparse_index_base_b: ; @_ZN9rocsparseL19gebsrmvn_4xn_kernelILj128ELj2ELj64E21rocsparse_complex_numIfEEEvi20rocsparse_direction_NS_24const_host_device_scalarIT2_EEPKiS8_PKS5_SA_S6_PS5_21rocsparse_index_base_b
; %bb.0:
	s_clause 0x2
	s_load_b64 s[12:13], s[0:1], 0x40
	s_load_b64 s[2:3], s[0:1], 0x8
	;; [unrolled: 1-line block ×3, first 2 shown]
	s_add_nc_u64 s[6:7], s[0:1], 8
	s_wait_kmcnt 0x0
	s_bitcmp1_b32 s13, 0
	s_cselect_b32 s2, s6, s2
	s_cselect_b32 s3, s7, s3
	s_delay_alu instid0(SALU_CYCLE_1)
	v_dual_mov_b32 v1, s2 :: v_dual_mov_b32 v2, s3
	s_add_nc_u64 s[2:3], s[0:1], 48
	s_wait_alu 0xfffe
	s_cselect_b32 s2, s2, s4
	s_cselect_b32 s3, s3, s5
	flat_load_b64 v[1:2], v[1:2]
	s_wait_alu 0xfffe
	v_dual_mov_b32 v3, s2 :: v_dual_mov_b32 v4, s3
	flat_load_b64 v[3:4], v[3:4]
	s_wait_loadcnt_dscnt 0x101
	v_cmp_eq_f32_e32 vcc_lo, 0, v1
	v_cmp_eq_f32_e64 s2, 0, v2
	s_and_b32 s4, vcc_lo, s2
	s_mov_b32 s2, -1
	s_and_saveexec_b32 s3, s4
	s_cbranch_execz .LBB83_2
; %bb.1:
	s_wait_loadcnt_dscnt 0x0
	v_cmp_neq_f32_e32 vcc_lo, 1.0, v3
	v_cmp_neq_f32_e64 s2, 0, v4
	s_wait_alu 0xfffe
	s_or_b32 s2, vcc_lo, s2
	s_wait_alu 0xfffe
	s_or_not1_b32 s2, s2, exec_lo
.LBB83_2:
	s_wait_alu 0xfffe
	s_or_b32 exec_lo, exec_lo, s3
	s_and_saveexec_b32 s3, s2
	s_cbranch_execz .LBB83_21
; %bb.3:
	s_load_b64 s[2:3], s[0:1], 0x0
	v_lshrrev_b32_e32 v5, 6, v0
	s_delay_alu instid0(VALU_DEP_1) | instskip(SKIP_1) | instid1(VALU_DEP_1)
	v_lshl_or_b32 v5, ttmp9, 1, v5
	s_wait_kmcnt 0x0
	v_cmp_gt_i32_e32 vcc_lo, s2, v5
	s_and_b32 exec_lo, exec_lo, vcc_lo
	s_cbranch_execz .LBB83_21
; %bb.4:
	s_load_b256 s[4:11], s[0:1], 0x10
	v_ashrrev_i32_e32 v6, 31, v5
	v_and_b32_e32 v0, 63, v0
	s_cmp_lg_u32 s3, 0
	s_delay_alu instid0(VALU_DEP_2) | instskip(SKIP_1) | instid1(VALU_DEP_1)
	v_lshlrev_b64_e32 v[6:7], 2, v[5:6]
	s_wait_kmcnt 0x0
	v_add_co_u32 v6, vcc_lo, s4, v6
	s_delay_alu instid0(VALU_DEP_1) | instskip(SKIP_4) | instid1(VALU_DEP_2)
	v_add_co_ci_u32_e64 v7, null, s5, v7, vcc_lo
	global_load_b64 v[6:7], v[6:7], off
	s_wait_loadcnt 0x0
	v_subrev_nc_u32_e32 v6, s12, v6
	v_subrev_nc_u32_e32 v19, s12, v7
	v_add_nc_u32_e32 v6, v6, v0
	s_delay_alu instid0(VALU_DEP_1)
	v_cmp_lt_i32_e64 s2, v6, v19
	s_cbranch_scc0 .LBB83_10
; %bb.5:
	v_dual_mov_b32 v11, 0 :: v_dual_mov_b32 v16, 0
	v_dual_mov_b32 v15, 0 :: v_dual_mov_b32 v12, 0
	;; [unrolled: 1-line block ×4, first 2 shown]
	s_and_saveexec_b32 s3, s2
	s_cbranch_execz .LBB83_9
; %bb.6:
	v_dual_mov_b32 v8, 0 :: v_dual_lshlrev_b32 v7, 3, v6
	v_mov_b32_e32 v9, v6
	s_mov_b32 s4, 0
	s_delay_alu instid0(VALU_DEP_2)
	v_dual_mov_b32 v11, v8 :: v_dual_mov_b32 v12, v8
	v_dual_mov_b32 v16, v8 :: v_dual_mov_b32 v15, v8
	;; [unrolled: 1-line block ×4, first 2 shown]
.LBB83_7:                               ; =>This Inner Loop Header: Depth=1
	v_ashrrev_i32_e32 v10, 31, v9
	s_delay_alu instid0(VALU_DEP_1) | instskip(NEXT) | instid1(VALU_DEP_1)
	v_lshlrev_b64_e32 v[20:21], 2, v[9:10]
	v_add_co_u32 v20, vcc_lo, s6, v20
	s_wait_alu 0xfffd
	s_delay_alu instid0(VALU_DEP_2) | instskip(SKIP_2) | instid1(VALU_DEP_1)
	v_add_co_ci_u32_e64 v21, null, s7, v21, vcc_lo
	global_load_b32 v10, v[20:21], off
	v_lshlrev_b64_e32 v[20:21], 3, v[7:8]
	v_add_co_u32 v36, vcc_lo, s8, v20
	s_wait_alu 0xfffd
	s_delay_alu instid0(VALU_DEP_2)
	v_add_co_ci_u32_e64 v37, null, s9, v21, vcc_lo
	s_clause 0x1
	global_load_b128 v[20:23], v[36:37], off offset:16
	global_load_b128 v[24:27], v[36:37], off
	s_wait_loadcnt 0x2
	v_subrev_nc_u32_e32 v10, s12, v10
	s_delay_alu instid0(VALU_DEP_1) | instskip(NEXT) | instid1(VALU_DEP_1)
	v_dual_mov_b32 v29, v8 :: v_dual_lshlrev_b32 v28, 1, v10
	v_lshlrev_b64_e32 v[28:29], 3, v[28:29]
	s_delay_alu instid0(VALU_DEP_1) | instskip(SKIP_1) | instid1(VALU_DEP_2)
	v_add_co_u32 v28, vcc_lo, s10, v28
	s_wait_alu 0xfffd
	v_add_co_ci_u32_e64 v29, null, s11, v29, vcc_lo
	global_load_b128 v[28:31], v[28:29], off
	s_clause 0x1
	global_load_b128 v[32:35], v[36:37], off offset:32
	global_load_b128 v[36:39], v[36:37], off offset:48
	v_add_nc_u32_e32 v7, 0x200, v7
	s_wait_loadcnt 0x2
	v_dual_fmac_f32 v18, v26, v28 :: v_dual_add_nc_u32 v9, 64, v9
	v_fmac_f32_e32 v16, v24, v28
	v_fmac_f32_e32 v14, v27, v28
	;; [unrolled: 1-line block ×3, first 2 shown]
	s_delay_alu instid0(VALU_DEP_4)
	v_cmp_ge_i32_e32 vcc_lo, v9, v19
	v_fma_f32 v18, -v27, v29, v18
	v_fma_f32 v10, -v25, v29, v16
	v_dual_fmac_f32 v13, v21, v28 :: v_dual_fmac_f32 v14, v26, v29
	v_fmac_f32_e32 v15, v22, v28
	v_fmac_f32_e32 v11, v24, v29
	s_wait_loadcnt 0x1
	v_fmac_f32_e32 v10, v32, v30
	v_dual_fmac_f32 v12, v23, v28 :: v_dual_fmac_f32 v13, v20, v29
	v_dual_fmac_f32 v17, v20, v28 :: v_dual_fmac_f32 v14, v35, v30
	v_fma_f32 v15, -v23, v29, v15
	s_wait_loadcnt 0x0
	s_delay_alu instid0(VALU_DEP_3) | instskip(NEXT) | instid1(VALU_DEP_3)
	v_dual_fmac_f32 v12, v22, v29 :: v_dual_fmac_f32 v13, v37, v30
	v_fma_f32 v17, -v21, v29, v17
	v_dual_fmac_f32 v11, v33, v30 :: v_dual_fmac_f32 v14, v34, v31
	v_fmac_f32_e32 v18, v34, v30
	v_fmac_f32_e32 v15, v38, v30
	v_dual_fmac_f32 v12, v39, v30 :: v_dual_fmac_f32 v13, v36, v31
	v_fmac_f32_e32 v17, v36, v30
	v_fma_f32 v16, -v33, v31, v10
	v_fmac_f32_e32 v11, v32, v31
	v_fma_f32 v18, -v35, v31, v18
	v_fma_f32 v15, -v39, v31, v15
	v_fmac_f32_e32 v12, v38, v31
	v_fma_f32 v17, -v37, v31, v17
	s_wait_alu 0xfffe
	s_or_b32 s4, vcc_lo, s4
	s_wait_alu 0xfffe
	s_and_not1_b32 exec_lo, exec_lo, s4
	s_cbranch_execnz .LBB83_7
; %bb.8:
	s_or_b32 exec_lo, exec_lo, s4
.LBB83_9:
	s_wait_alu 0xfffe
	s_or_b32 exec_lo, exec_lo, s3
	s_cbranch_execz .LBB83_11
	s_branch .LBB83_16
.LBB83_10:
                                        ; implicit-def: $vgpr11
                                        ; implicit-def: $vgpr16
                                        ; implicit-def: $vgpr15
                                        ; implicit-def: $vgpr12
                                        ; implicit-def: $vgpr17
                                        ; implicit-def: $vgpr13
                                        ; implicit-def: $vgpr18
                                        ; implicit-def: $vgpr14
.LBB83_11:
	v_dual_mov_b32 v11, 0 :: v_dual_mov_b32 v16, 0
	v_dual_mov_b32 v15, 0 :: v_dual_mov_b32 v12, 0
	;; [unrolled: 1-line block ×4, first 2 shown]
	s_and_saveexec_b32 s3, s2
	s_cbranch_execz .LBB83_15
; %bb.12:
	v_dual_mov_b32 v9, 0 :: v_dual_lshlrev_b32 v8, 3, v6
	s_mov_b32 s2, 0
	s_delay_alu instid0(VALU_DEP_1)
	v_dual_mov_b32 v11, v9 :: v_dual_mov_b32 v16, v9
	v_dual_mov_b32 v15, v9 :: v_dual_mov_b32 v12, v9
	;; [unrolled: 1-line block ×4, first 2 shown]
.LBB83_13:                              ; =>This Inner Loop Header: Depth=1
	v_ashrrev_i32_e32 v7, 31, v6
	s_delay_alu instid0(VALU_DEP_1) | instskip(NEXT) | instid1(VALU_DEP_1)
	v_lshlrev_b64_e32 v[20:21], 2, v[6:7]
	v_add_co_u32 v20, vcc_lo, s6, v20
	s_wait_alu 0xfffd
	s_delay_alu instid0(VALU_DEP_2) | instskip(SKIP_2) | instid1(VALU_DEP_1)
	v_add_co_ci_u32_e64 v21, null, s7, v21, vcc_lo
	global_load_b32 v7, v[20:21], off
	v_lshlrev_b64_e32 v[20:21], 3, v[8:9]
	v_add_co_u32 v32, vcc_lo, s8, v20
	s_wait_alu 0xfffd
	s_delay_alu instid0(VALU_DEP_2)
	v_add_co_ci_u32_e64 v33, null, s9, v21, vcc_lo
	s_clause 0x3
	global_load_b128 v[20:23], v[32:33], off offset:48
	global_load_b128 v[24:27], v[32:33], off offset:32
	;; [unrolled: 1-line block ×3, first 2 shown]
	global_load_b128 v[32:35], v[32:33], off
	s_wait_loadcnt 0x4
	v_subrev_nc_u32_e32 v7, s12, v7
	s_delay_alu instid0(VALU_DEP_1) | instskip(NEXT) | instid1(VALU_DEP_1)
	v_dual_mov_b32 v37, v9 :: v_dual_lshlrev_b32 v36, 1, v7
	v_lshlrev_b64_e32 v[36:37], 3, v[36:37]
	s_delay_alu instid0(VALU_DEP_1) | instskip(SKIP_1) | instid1(VALU_DEP_2)
	v_add_co_u32 v36, vcc_lo, s10, v36
	s_wait_alu 0xfffd
	v_add_co_ci_u32_e64 v37, null, s11, v37, vcc_lo
	global_load_b128 v[36:39], v[36:37], off
	s_wait_loadcnt 0x0
	v_dual_fmac_f32 v11, v33, v36 :: v_dual_add_nc_u32 v6, 64, v6
	v_add_nc_u32_e32 v8, 0x200, v8
	v_fmac_f32_e32 v13, v25, v36
	v_fmac_f32_e32 v14, v29, v36
	;; [unrolled: 1-line block ×9, first 2 shown]
	v_fma_f32 v10, -v29, v37, v18
	v_fmac_f32_e32 v17, v24, v36
	v_fma_f32 v7, -v33, v37, v16
	v_fmac_f32_e32 v14, v31, v38
	;; [unrolled: 2-line block ×3, first 2 shown]
	v_fma_f32 v17, -v25, v37, v17
	v_dual_fmac_f32 v12, v21, v36 :: v_dual_fmac_f32 v7, v34, v38
	v_fmac_f32_e32 v13, v27, v38
	v_fmac_f32_e32 v15, v22, v38
	s_delay_alu instid0(VALU_DEP_3)
	v_dual_fmac_f32 v17, v26, v38 :: v_dual_fmac_f32 v12, v20, v37
	v_cmp_ge_i32_e32 vcc_lo, v6, v19
	v_fma_f32 v16, -v35, v39, v7
	v_fmac_f32_e32 v11, v34, v39
	v_fma_f32 v18, -v31, v39, v10
	v_fmac_f32_e32 v12, v23, v38
	v_fmac_f32_e32 v14, v30, v39
	v_fma_f32 v17, -v27, v39, v17
	v_fmac_f32_e32 v13, v26, v39
	v_fma_f32 v15, -v23, v39, v15
	v_fmac_f32_e32 v12, v22, v39
	s_wait_alu 0xfffe
	s_or_b32 s2, vcc_lo, s2
	s_wait_alu 0xfffe
	s_and_not1_b32 exec_lo, exec_lo, s2
	s_cbranch_execnz .LBB83_13
; %bb.14:
	s_or_b32 exec_lo, exec_lo, s2
.LBB83_15:
	s_wait_alu 0xfffe
	s_or_b32 exec_lo, exec_lo, s3
.LBB83_16:
	v_mbcnt_lo_u32_b32 v6, -1, 0
	s_delay_alu instid0(VALU_DEP_1) | instskip(SKIP_1) | instid1(VALU_DEP_2)
	v_or_b32_e32 v7, 32, v6
	v_xor_b32_e32 v23, 16, v6
	v_cmp_gt_i32_e32 vcc_lo, 32, v7
	s_wait_alu 0xfffd
	v_cndmask_b32_e32 v7, v6, v7, vcc_lo
	s_delay_alu instid0(VALU_DEP_3) | instskip(NEXT) | instid1(VALU_DEP_2)
	v_cmp_gt_i32_e32 vcc_lo, 32, v23
	v_lshlrev_b32_e32 v7, 2, v7
	ds_bpermute_b32 v10, v7, v18
	s_wait_dscnt 0x0
	v_add_f32_e32 v10, v18, v10
	ds_bpermute_b32 v8, v7, v16
	ds_bpermute_b32 v9, v7, v11
	;; [unrolled: 1-line block ×7, first 2 shown]
	s_wait_dscnt 0x6
	s_wait_alu 0xfffd
	v_dual_cndmask_b32 v23, v6, v23 :: v_dual_add_f32 v8, v16, v8
	s_wait_dscnt 0x5
	v_add_f32_e32 v9, v11, v9
	s_wait_dscnt 0x2
	v_add_f32_e32 v15, v15, v22
	v_dual_add_f32 v11, v14, v19 :: v_dual_add_f32 v14, v17, v20
	v_lshlrev_b32_e32 v23, 2, v23
	s_wait_dscnt 0x0
	v_add_f32_e32 v7, v12, v7
	ds_bpermute_b32 v12, v23, v8
	s_wait_dscnt 0x0
	v_add_f32_e32 v8, v8, v12
	ds_bpermute_b32 v17, v23, v10
	v_add_f32_e32 v13, v13, v21
	ds_bpermute_b32 v19, v23, v14
	ds_bpermute_b32 v22, v23, v7
	;; [unrolled: 1-line block ×3, first 2 shown]
	s_wait_dscnt 0x3
	v_add_f32_e32 v10, v10, v17
	ds_bpermute_b32 v21, v23, v15
	s_wait_dscnt 0x3
	v_add_f32_e32 v12, v14, v19
	ds_bpermute_b32 v16, v23, v9
	;; [unrolled: 3-line block ×3, first 2 shown]
	v_xor_b32_e32 v23, 8, v6
	s_delay_alu instid0(VALU_DEP_1) | instskip(SKIP_2) | instid1(VALU_DEP_1)
	v_cmp_gt_i32_e32 vcc_lo, 32, v23
	s_wait_alu 0xfffd
	v_cndmask_b32_e32 v23, v6, v23, vcc_lo
	v_lshlrev_b32_e32 v23, 2, v23
	ds_bpermute_b32 v21, v23, v14
	s_wait_dscnt 0x0
	v_add_f32_e32 v14, v14, v21
	ds_bpermute_b32 v15, v23, v8
	ds_bpermute_b32 v17, v23, v10
	;; [unrolled: 1-line block ×3, first 2 shown]
	s_wait_dscnt 0x2
	v_dual_add_f32 v9, v9, v16 :: v_dual_add_f32 v8, v8, v15
	s_wait_dscnt 0x1
	v_dual_add_f32 v11, v11, v18 :: v_dual_add_f32 v10, v10, v17
	;; [unrolled: 2-line block ×3, first 2 shown]
	v_add_f32_e32 v13, v13, v20
	ds_bpermute_b32 v16, v23, v9
	ds_bpermute_b32 v18, v23, v11
	;; [unrolled: 1-line block ×4, first 2 shown]
	v_xor_b32_e32 v23, 4, v6
	s_delay_alu instid0(VALU_DEP_1) | instskip(SKIP_2) | instid1(VALU_DEP_1)
	v_cmp_gt_i32_e32 vcc_lo, 32, v23
	s_wait_alu 0xfffd
	v_cndmask_b32_e32 v23, v6, v23, vcc_lo
	v_lshlrev_b32_e32 v23, 2, v23
	s_wait_dscnt 0x3
	v_add_f32_e32 v9, v9, v16
	ds_bpermute_b32 v15, v23, v8
	ds_bpermute_b32 v16, v23, v9
	;; [unrolled: 1-line block ×5, first 2 shown]
	s_wait_dscnt 0x4
	v_dual_add_f32 v8, v8, v15 :: v_dual_add_f32 v11, v11, v18
	s_wait_dscnt 0x2
	v_dual_add_f32 v9, v9, v16 :: v_dual_add_f32 v12, v12, v19
	v_add_f32_e32 v13, v13, v20
	s_wait_dscnt 0x0
	v_add_f32_e32 v15, v10, v17
	ds_bpermute_b32 v18, v23, v11
	ds_bpermute_b32 v20, v23, v13
	s_wait_dscnt 0x1
	v_add_f32_e32 v16, v11, v18
	v_dual_add_f32 v18, v14, v21 :: v_dual_add_f32 v7, v7, v22
	s_wait_dscnt 0x0
	v_add_f32_e32 v17, v13, v20
	ds_bpermute_b32 v22, v23, v7
	v_xor_b32_e32 v23, 2, v6
	s_delay_alu instid0(VALU_DEP_1) | instskip(SKIP_2) | instid1(VALU_DEP_1)
	v_cmp_gt_i32_e32 vcc_lo, 32, v23
	s_wait_alu 0xfffd
	v_cndmask_b32_e32 v23, v6, v23, vcc_lo
	v_lshlrev_b32_e32 v23, 2, v23
	s_wait_dscnt 0x0
	v_add_f32_e32 v19, v7, v22
	ds_bpermute_b32 v7, v23, v8
	ds_bpermute_b32 v10, v23, v9
	;; [unrolled: 1-line block ×8, first 2 shown]
	v_xor_b32_e32 v23, 1, v6
	s_delay_alu instid0(VALU_DEP_1)
	v_cmp_gt_i32_e32 vcc_lo, 32, v23
	s_wait_alu 0xfffd
	v_cndmask_b32_e32 v6, v6, v23, vcc_lo
	v_cmp_eq_u32_e32 vcc_lo, 63, v0
	s_wait_dscnt 0x5
	v_dual_add_f32 v10, v9, v10 :: v_dual_add_f32 v11, v15, v11
	s_delay_alu instid0(VALU_DEP_3)
	v_dual_add_f32 v6, v8, v7 :: v_dual_lshlrev_b32 v23, 2, v6
	s_wait_dscnt 0x4
	v_add_f32_e32 v13, v16, v13
	s_wait_dscnt 0x2
	v_dual_add_f32 v14, v12, v14 :: v_dual_add_f32 v15, v17, v20
	s_wait_dscnt 0x1
	v_add_f32_e32 v7, v18, v21
	s_wait_dscnt 0x0
	v_add_f32_e32 v9, v19, v22
	ds_bpermute_b32 v8, v23, v6
	ds_bpermute_b32 v12, v23, v10
	;; [unrolled: 1-line block ×8, first 2 shown]
	s_and_b32 exec_lo, exec_lo, vcc_lo
	s_cbranch_execz .LBB83_21
; %bb.17:
	s_load_b64 s[2:3], s[0:1], 0x38
	v_cmp_eq_f32_e32 vcc_lo, 0, v3
	v_cmp_eq_f32_e64 s0, 0, v4
	s_wait_dscnt 0x7
	v_add_f32_e32 v8, v6, v8
	s_wait_dscnt 0x0
	v_dual_add_f32 v12, v10, v12 :: v_dual_add_f32 v9, v9, v17
	v_dual_add_f32 v0, v11, v18 :: v_dual_add_f32 v11, v13, v19
	v_add_f32_e32 v6, v14, v20
	v_add_f32_e32 v10, v15, v21
	;; [unrolled: 1-line block ×3, first 2 shown]
	s_and_b32 s0, vcc_lo, s0
	s_wait_alu 0xfffe
	s_and_saveexec_b32 s1, s0
	s_wait_alu 0xfffe
	s_xor_b32 s0, exec_lo, s1
	s_cbranch_execz .LBB83_19
; %bb.18:
	v_dual_mul_f32 v14, v1, v12 :: v_dual_lshlrev_b32 v3, 2, v5
	v_mul_f32_e64 v13, v12, -v2
	v_mul_f32_e64 v15, v11, -v2
	v_mul_f32_e32 v16, v1, v11
	s_delay_alu instid0(VALU_DEP_4)
	v_ashrrev_i32_e32 v4, 31, v3
	v_mul_f32_e64 v17, v10, -v2
	v_mul_f32_e32 v18, v1, v10
	v_mul_f32_e64 v19, v9, -v2
	v_mul_f32_e32 v20, v1, v9
	v_lshlrev_b64_e32 v[3:4], 3, v[3:4]
	s_delay_alu instid0(VALU_DEP_4) | instskip(SKIP_1) | instid1(VALU_DEP_4)
	v_dual_fmac_f32 v13, v1, v8 :: v_dual_fmac_f32 v18, v2, v6
	v_dual_fmac_f32 v14, v2, v8 :: v_dual_fmac_f32 v17, v1, v6
	;; [unrolled: 1-line block ×3, first 2 shown]
	s_wait_kmcnt 0x0
	s_delay_alu instid0(VALU_DEP_4)
	v_add_co_u32 v3, vcc_lo, s2, v3
	s_wait_alu 0xfffd
	v_add_co_ci_u32_e64 v4, null, s3, v4, vcc_lo
	v_dual_fmac_f32 v16, v2, v0 :: v_dual_fmac_f32 v19, v1, v7
	s_clause 0x1
	global_store_b128 v[3:4], v[13:16], off
	global_store_b128 v[3:4], v[17:20], off offset:16
                                        ; implicit-def: $vgpr5
                                        ; implicit-def: $vgpr8
                                        ; implicit-def: $vgpr12
                                        ; implicit-def: $vgpr0
                                        ; implicit-def: $vgpr11
                                        ; implicit-def: $vgpr6
                                        ; implicit-def: $vgpr10
                                        ; implicit-def: $vgpr7
                                        ; implicit-def: $vgpr9
                                        ; implicit-def: $vgpr1_vgpr2
                                        ; implicit-def: $vgpr3_vgpr4
.LBB83_19:
	s_wait_alu 0xfffe
	s_and_not1_saveexec_b32 s0, s0
	s_cbranch_execz .LBB83_21
; %bb.20:
	v_dual_mul_f32 v22, v1, v12 :: v_dual_lshlrev_b32 v13, 2, v5
	v_mul_f32_e64 v5, v12, -v2
	v_mul_f32_e64 v23, v11, -v2
	;; [unrolled: 1-line block ×3, first 2 shown]
	s_delay_alu instid0(VALU_DEP_4) | instskip(NEXT) | instid1(VALU_DEP_4)
	v_ashrrev_i32_e32 v14, 31, v13
	v_fmac_f32_e32 v5, v1, v8
	s_delay_alu instid0(VALU_DEP_2) | instskip(SKIP_1) | instid1(VALU_DEP_1)
	v_lshlrev_b64_e32 v[13:14], 3, v[13:14]
	s_wait_kmcnt 0x0
	v_add_co_u32 v25, vcc_lo, s2, v13
	s_wait_alu 0xfffd
	s_delay_alu instid0(VALU_DEP_2)
	v_add_co_ci_u32_e64 v26, null, s3, v14, vcc_lo
	s_clause 0x1
	global_load_b128 v[13:16], v[25:26], off
	global_load_b128 v[17:20], v[25:26], off offset:16
	v_mul_f32_e32 v24, v1, v11
	v_mul_f32_e64 v11, v10, -v2
	s_delay_alu instid0(VALU_DEP_1) | instskip(SKIP_1) | instid1(VALU_DEP_1)
	v_dual_fmac_f32 v22, v2, v8 :: v_dual_fmac_f32 v11, v1, v6
	s_wait_loadcnt 0x1
	v_dual_fmac_f32 v27, v1, v7 :: v_dual_fmac_f32 v22, v4, v13
	s_wait_loadcnt 0x0
	s_delay_alu instid0(VALU_DEP_1) | instskip(SKIP_3) | instid1(VALU_DEP_4)
	v_dual_mul_f32 v12, v1, v9 :: v_dual_fmac_f32 v27, v3, v19
	v_fmac_f32_e32 v23, v1, v0
	v_fmac_f32_e32 v11, v3, v17
	v_fmac_f32_e32 v22, v3, v14
	v_fmac_f32_e32 v12, v2, v7
	s_delay_alu instid0(VALU_DEP_4) | instskip(NEXT) | instid1(VALU_DEP_4)
	v_dual_mul_f32 v10, v1, v10 :: v_dual_fmac_f32 v23, v3, v15
	v_fma_f32 v9, -v4, v18, v11
	v_fma_f32 v11, -v4, v20, v27
	s_delay_alu instid0(VALU_DEP_4) | instskip(NEXT) | instid1(VALU_DEP_4)
	v_fmac_f32_e32 v12, v4, v19
	v_dual_fmac_f32 v10, v2, v6 :: v_dual_fmac_f32 v5, v3, v13
	v_fmac_f32_e32 v24, v2, v0
	v_fma_f32 v23, -v4, v16, v23
	s_delay_alu instid0(VALU_DEP_4) | instskip(NEXT) | instid1(VALU_DEP_4)
	v_fmac_f32_e32 v12, v3, v20
	v_fmac_f32_e32 v10, v4, v17
	v_fma_f32 v21, -v4, v14, v5
	v_fmac_f32_e32 v24, v4, v15
	s_delay_alu instid0(VALU_DEP_3) | instskip(NEXT) | instid1(VALU_DEP_2)
	v_fmac_f32_e32 v10, v3, v18
	v_fmac_f32_e32 v24, v3, v16
	s_clause 0x1
	global_store_b128 v[25:26], v[21:24], off
	global_store_b128 v[25:26], v[9:12], off offset:16
.LBB83_21:
	s_endpgm
	.section	.rodata,"a",@progbits
	.p2align	6, 0x0
	.amdhsa_kernel _ZN9rocsparseL19gebsrmvn_4xn_kernelILj128ELj2ELj64E21rocsparse_complex_numIfEEEvi20rocsparse_direction_NS_24const_host_device_scalarIT2_EEPKiS8_PKS5_SA_S6_PS5_21rocsparse_index_base_b
		.amdhsa_group_segment_fixed_size 0
		.amdhsa_private_segment_fixed_size 0
		.amdhsa_kernarg_size 72
		.amdhsa_user_sgpr_count 2
		.amdhsa_user_sgpr_dispatch_ptr 0
		.amdhsa_user_sgpr_queue_ptr 0
		.amdhsa_user_sgpr_kernarg_segment_ptr 1
		.amdhsa_user_sgpr_dispatch_id 0
		.amdhsa_user_sgpr_private_segment_size 0
		.amdhsa_wavefront_size32 1
		.amdhsa_uses_dynamic_stack 0
		.amdhsa_enable_private_segment 0
		.amdhsa_system_sgpr_workgroup_id_x 1
		.amdhsa_system_sgpr_workgroup_id_y 0
		.amdhsa_system_sgpr_workgroup_id_z 0
		.amdhsa_system_sgpr_workgroup_info 0
		.amdhsa_system_vgpr_workitem_id 0
		.amdhsa_next_free_vgpr 40
		.amdhsa_next_free_sgpr 14
		.amdhsa_reserve_vcc 1
		.amdhsa_float_round_mode_32 0
		.amdhsa_float_round_mode_16_64 0
		.amdhsa_float_denorm_mode_32 3
		.amdhsa_float_denorm_mode_16_64 3
		.amdhsa_fp16_overflow 0
		.amdhsa_workgroup_processor_mode 1
		.amdhsa_memory_ordered 1
		.amdhsa_forward_progress 1
		.amdhsa_inst_pref_size 22
		.amdhsa_round_robin_scheduling 0
		.amdhsa_exception_fp_ieee_invalid_op 0
		.amdhsa_exception_fp_denorm_src 0
		.amdhsa_exception_fp_ieee_div_zero 0
		.amdhsa_exception_fp_ieee_overflow 0
		.amdhsa_exception_fp_ieee_underflow 0
		.amdhsa_exception_fp_ieee_inexact 0
		.amdhsa_exception_int_div_zero 0
	.end_amdhsa_kernel
	.section	.text._ZN9rocsparseL19gebsrmvn_4xn_kernelILj128ELj2ELj64E21rocsparse_complex_numIfEEEvi20rocsparse_direction_NS_24const_host_device_scalarIT2_EEPKiS8_PKS5_SA_S6_PS5_21rocsparse_index_base_b,"axG",@progbits,_ZN9rocsparseL19gebsrmvn_4xn_kernelILj128ELj2ELj64E21rocsparse_complex_numIfEEEvi20rocsparse_direction_NS_24const_host_device_scalarIT2_EEPKiS8_PKS5_SA_S6_PS5_21rocsparse_index_base_b,comdat
.Lfunc_end83:
	.size	_ZN9rocsparseL19gebsrmvn_4xn_kernelILj128ELj2ELj64E21rocsparse_complex_numIfEEEvi20rocsparse_direction_NS_24const_host_device_scalarIT2_EEPKiS8_PKS5_SA_S6_PS5_21rocsparse_index_base_b, .Lfunc_end83-_ZN9rocsparseL19gebsrmvn_4xn_kernelILj128ELj2ELj64E21rocsparse_complex_numIfEEEvi20rocsparse_direction_NS_24const_host_device_scalarIT2_EEPKiS8_PKS5_SA_S6_PS5_21rocsparse_index_base_b
                                        ; -- End function
	.set _ZN9rocsparseL19gebsrmvn_4xn_kernelILj128ELj2ELj64E21rocsparse_complex_numIfEEEvi20rocsparse_direction_NS_24const_host_device_scalarIT2_EEPKiS8_PKS5_SA_S6_PS5_21rocsparse_index_base_b.num_vgpr, 40
	.set _ZN9rocsparseL19gebsrmvn_4xn_kernelILj128ELj2ELj64E21rocsparse_complex_numIfEEEvi20rocsparse_direction_NS_24const_host_device_scalarIT2_EEPKiS8_PKS5_SA_S6_PS5_21rocsparse_index_base_b.num_agpr, 0
	.set _ZN9rocsparseL19gebsrmvn_4xn_kernelILj128ELj2ELj64E21rocsparse_complex_numIfEEEvi20rocsparse_direction_NS_24const_host_device_scalarIT2_EEPKiS8_PKS5_SA_S6_PS5_21rocsparse_index_base_b.numbered_sgpr, 14
	.set _ZN9rocsparseL19gebsrmvn_4xn_kernelILj128ELj2ELj64E21rocsparse_complex_numIfEEEvi20rocsparse_direction_NS_24const_host_device_scalarIT2_EEPKiS8_PKS5_SA_S6_PS5_21rocsparse_index_base_b.num_named_barrier, 0
	.set _ZN9rocsparseL19gebsrmvn_4xn_kernelILj128ELj2ELj64E21rocsparse_complex_numIfEEEvi20rocsparse_direction_NS_24const_host_device_scalarIT2_EEPKiS8_PKS5_SA_S6_PS5_21rocsparse_index_base_b.private_seg_size, 0
	.set _ZN9rocsparseL19gebsrmvn_4xn_kernelILj128ELj2ELj64E21rocsparse_complex_numIfEEEvi20rocsparse_direction_NS_24const_host_device_scalarIT2_EEPKiS8_PKS5_SA_S6_PS5_21rocsparse_index_base_b.uses_vcc, 1
	.set _ZN9rocsparseL19gebsrmvn_4xn_kernelILj128ELj2ELj64E21rocsparse_complex_numIfEEEvi20rocsparse_direction_NS_24const_host_device_scalarIT2_EEPKiS8_PKS5_SA_S6_PS5_21rocsparse_index_base_b.uses_flat_scratch, 0
	.set _ZN9rocsparseL19gebsrmvn_4xn_kernelILj128ELj2ELj64E21rocsparse_complex_numIfEEEvi20rocsparse_direction_NS_24const_host_device_scalarIT2_EEPKiS8_PKS5_SA_S6_PS5_21rocsparse_index_base_b.has_dyn_sized_stack, 0
	.set _ZN9rocsparseL19gebsrmvn_4xn_kernelILj128ELj2ELj64E21rocsparse_complex_numIfEEEvi20rocsparse_direction_NS_24const_host_device_scalarIT2_EEPKiS8_PKS5_SA_S6_PS5_21rocsparse_index_base_b.has_recursion, 0
	.set _ZN9rocsparseL19gebsrmvn_4xn_kernelILj128ELj2ELj64E21rocsparse_complex_numIfEEEvi20rocsparse_direction_NS_24const_host_device_scalarIT2_EEPKiS8_PKS5_SA_S6_PS5_21rocsparse_index_base_b.has_indirect_call, 0
	.section	.AMDGPU.csdata,"",@progbits
; Kernel info:
; codeLenInByte = 2704
; TotalNumSgprs: 16
; NumVgprs: 40
; ScratchSize: 0
; MemoryBound: 0
; FloatMode: 240
; IeeeMode: 1
; LDSByteSize: 0 bytes/workgroup (compile time only)
; SGPRBlocks: 0
; VGPRBlocks: 4
; NumSGPRsForWavesPerEU: 16
; NumVGPRsForWavesPerEU: 40
; Occupancy: 16
; WaveLimiterHint : 1
; COMPUTE_PGM_RSRC2:SCRATCH_EN: 0
; COMPUTE_PGM_RSRC2:USER_SGPR: 2
; COMPUTE_PGM_RSRC2:TRAP_HANDLER: 0
; COMPUTE_PGM_RSRC2:TGID_X_EN: 1
; COMPUTE_PGM_RSRC2:TGID_Y_EN: 0
; COMPUTE_PGM_RSRC2:TGID_Z_EN: 0
; COMPUTE_PGM_RSRC2:TIDIG_COMP_CNT: 0
	.section	.text._ZN9rocsparseL19gebsrmvn_4xn_kernelILj128ELj3ELj4E21rocsparse_complex_numIfEEEvi20rocsparse_direction_NS_24const_host_device_scalarIT2_EEPKiS8_PKS5_SA_S6_PS5_21rocsparse_index_base_b,"axG",@progbits,_ZN9rocsparseL19gebsrmvn_4xn_kernelILj128ELj3ELj4E21rocsparse_complex_numIfEEEvi20rocsparse_direction_NS_24const_host_device_scalarIT2_EEPKiS8_PKS5_SA_S6_PS5_21rocsparse_index_base_b,comdat
	.globl	_ZN9rocsparseL19gebsrmvn_4xn_kernelILj128ELj3ELj4E21rocsparse_complex_numIfEEEvi20rocsparse_direction_NS_24const_host_device_scalarIT2_EEPKiS8_PKS5_SA_S6_PS5_21rocsparse_index_base_b ; -- Begin function _ZN9rocsparseL19gebsrmvn_4xn_kernelILj128ELj3ELj4E21rocsparse_complex_numIfEEEvi20rocsparse_direction_NS_24const_host_device_scalarIT2_EEPKiS8_PKS5_SA_S6_PS5_21rocsparse_index_base_b
	.p2align	8
	.type	_ZN9rocsparseL19gebsrmvn_4xn_kernelILj128ELj3ELj4E21rocsparse_complex_numIfEEEvi20rocsparse_direction_NS_24const_host_device_scalarIT2_EEPKiS8_PKS5_SA_S6_PS5_21rocsparse_index_base_b,@function
_ZN9rocsparseL19gebsrmvn_4xn_kernelILj128ELj3ELj4E21rocsparse_complex_numIfEEEvi20rocsparse_direction_NS_24const_host_device_scalarIT2_EEPKiS8_PKS5_SA_S6_PS5_21rocsparse_index_base_b: ; @_ZN9rocsparseL19gebsrmvn_4xn_kernelILj128ELj3ELj4E21rocsparse_complex_numIfEEEvi20rocsparse_direction_NS_24const_host_device_scalarIT2_EEPKiS8_PKS5_SA_S6_PS5_21rocsparse_index_base_b
; %bb.0:
	s_clause 0x2
	s_load_b64 s[12:13], s[0:1], 0x40
	s_load_b64 s[2:3], s[0:1], 0x8
	;; [unrolled: 1-line block ×3, first 2 shown]
	s_add_nc_u64 s[6:7], s[0:1], 8
	s_wait_kmcnt 0x0
	s_bitcmp1_b32 s13, 0
	s_cselect_b32 s2, s6, s2
	s_cselect_b32 s3, s7, s3
	s_delay_alu instid0(SALU_CYCLE_1)
	v_dual_mov_b32 v1, s2 :: v_dual_mov_b32 v2, s3
	s_add_nc_u64 s[2:3], s[0:1], 48
	s_wait_alu 0xfffe
	s_cselect_b32 s2, s2, s4
	s_cselect_b32 s3, s3, s5
	flat_load_b64 v[1:2], v[1:2]
	s_wait_alu 0xfffe
	v_dual_mov_b32 v3, s2 :: v_dual_mov_b32 v4, s3
	flat_load_b64 v[3:4], v[3:4]
	s_wait_loadcnt_dscnt 0x101
	v_cmp_eq_f32_e32 vcc_lo, 0, v1
	v_cmp_eq_f32_e64 s2, 0, v2
	s_and_b32 s4, vcc_lo, s2
	s_mov_b32 s2, -1
	s_and_saveexec_b32 s3, s4
	s_cbranch_execz .LBB84_2
; %bb.1:
	s_wait_loadcnt_dscnt 0x0
	v_cmp_neq_f32_e32 vcc_lo, 1.0, v3
	v_cmp_neq_f32_e64 s2, 0, v4
	s_wait_alu 0xfffe
	s_or_b32 s2, vcc_lo, s2
	s_wait_alu 0xfffe
	s_or_not1_b32 s2, s2, exec_lo
.LBB84_2:
	s_wait_alu 0xfffe
	s_or_b32 exec_lo, exec_lo, s3
	s_and_saveexec_b32 s3, s2
	s_cbranch_execz .LBB84_21
; %bb.3:
	s_load_b64 s[2:3], s[0:1], 0x0
	v_lshrrev_b32_e32 v5, 2, v0
	s_delay_alu instid0(VALU_DEP_1) | instskip(SKIP_1) | instid1(VALU_DEP_1)
	v_lshl_or_b32 v5, ttmp9, 5, v5
	s_wait_kmcnt 0x0
	v_cmp_gt_i32_e32 vcc_lo, s2, v5
	s_and_b32 exec_lo, exec_lo, vcc_lo
	s_cbranch_execz .LBB84_21
; %bb.4:
	s_load_b256 s[4:11], s[0:1], 0x10
	v_ashrrev_i32_e32 v6, 31, v5
	v_and_b32_e32 v0, 3, v0
	s_cmp_lg_u32 s3, 0
	s_delay_alu instid0(VALU_DEP_2) | instskip(SKIP_1) | instid1(VALU_DEP_1)
	v_lshlrev_b64_e32 v[6:7], 2, v[5:6]
	s_wait_kmcnt 0x0
	v_add_co_u32 v6, vcc_lo, s4, v6
	s_delay_alu instid0(VALU_DEP_1) | instskip(SKIP_4) | instid1(VALU_DEP_2)
	v_add_co_ci_u32_e64 v7, null, s5, v7, vcc_lo
	global_load_b64 v[6:7], v[6:7], off
	s_wait_loadcnt 0x0
	v_subrev_nc_u32_e32 v6, s12, v6
	v_subrev_nc_u32_e32 v16, s12, v7
	v_add_nc_u32_e32 v6, v6, v0
	s_delay_alu instid0(VALU_DEP_1)
	v_cmp_lt_i32_e64 s2, v6, v16
	s_cbranch_scc0 .LBB84_10
; %bb.5:
	v_dual_mov_b32 v12, 0 :: v_dual_mov_b32 v17, 0
	v_dual_mov_b32 v18, 0 :: v_dual_mov_b32 v13, 0
	v_dual_mov_b32 v19, 0 :: v_dual_mov_b32 v14, 0
	v_dual_mov_b32 v20, 0 :: v_dual_mov_b32 v15, 0
	s_and_saveexec_b32 s3, s2
	s_cbranch_execz .LBB84_9
; %bb.6:
	v_dual_mov_b32 v8, 0 :: v_dual_mov_b32 v9, v6
	v_mul_lo_u32 v7, v6, 12
	s_mov_b32 s4, 0
	s_delay_alu instid0(VALU_DEP_2)
	v_dual_mov_b32 v12, v8 :: v_dual_mov_b32 v17, v8
	v_dual_mov_b32 v18, v8 :: v_dual_mov_b32 v13, v8
	;; [unrolled: 1-line block ×4, first 2 shown]
.LBB84_7:                               ; =>This Inner Loop Header: Depth=1
	v_ashrrev_i32_e32 v10, 31, v9
	v_dual_mov_b32 v22, v8 :: v_dual_add_nc_u32 v21, 4, v7
	v_dual_mov_b32 v24, v8 :: v_dual_add_nc_u32 v23, 8, v7
	s_delay_alu instid0(VALU_DEP_3) | instskip(SKIP_1) | instid1(VALU_DEP_4)
	v_lshlrev_b64_e32 v[10:11], 2, v[9:10]
	v_mov_b32_e32 v50, v8
	v_lshlrev_b64_e32 v[21:22], 3, v[21:22]
	s_delay_alu instid0(VALU_DEP_4) | instskip(NEXT) | instid1(VALU_DEP_4)
	v_lshlrev_b64_e32 v[23:24], 3, v[23:24]
	v_add_co_u32 v10, vcc_lo, s6, v10
	s_wait_alu 0xfffd
	v_add_co_ci_u32_e64 v11, null, s7, v11, vcc_lo
	global_load_b32 v45, v[10:11], off
	v_lshlrev_b64_e32 v[10:11], 3, v[7:8]
	v_add_nc_u32_e32 v7, 48, v7
	s_delay_alu instid0(VALU_DEP_2) | instskip(SKIP_1) | instid1(VALU_DEP_3)
	v_add_co_u32 v10, vcc_lo, s8, v10
	s_wait_alu 0xfffd
	v_add_co_ci_u32_e64 v11, null, s9, v11, vcc_lo
	v_add_co_u32 v33, vcc_lo, s8, v21
	s_wait_alu 0xfffd
	v_add_co_ci_u32_e64 v34, null, s9, v22, vcc_lo
	;; [unrolled: 3-line block ×3, first 2 shown]
	s_clause 0x5
	global_load_b128 v[21:24], v[10:11], off offset:16
	global_load_b128 v[25:28], v[10:11], off
	global_load_b128 v[29:32], v[33:34], off offset:16
	global_load_b128 v[33:36], v[33:34], off
	;; [unrolled: 2-line block ×3, first 2 shown]
	s_wait_loadcnt 0x6
	v_subrev_nc_u32_e32 v10, s12, v45
	s_delay_alu instid0(VALU_DEP_1) | instskip(SKIP_1) | instid1(VALU_DEP_2)
	v_lshl_add_u32 v45, v10, 1, v10
	v_mov_b32_e32 v46, v8
	v_dual_mov_b32 v48, v8 :: v_dual_add_nc_u32 v49, 2, v45
	v_add_nc_u32_e32 v47, 1, v45
	s_delay_alu instid0(VALU_DEP_3) | instskip(NEXT) | instid1(VALU_DEP_2)
	v_lshlrev_b64_e32 v[10:11], 3, v[45:46]
	v_lshlrev_b64_e32 v[45:46], 3, v[47:48]
	s_delay_alu instid0(VALU_DEP_4) | instskip(NEXT) | instid1(VALU_DEP_3)
	v_lshlrev_b64_e32 v[47:48], 3, v[49:50]
	v_add_co_u32 v10, vcc_lo, s10, v10
	s_wait_alu 0xfffd
	s_delay_alu instid0(VALU_DEP_4) | instskip(NEXT) | instid1(VALU_DEP_4)
	v_add_co_ci_u32_e64 v11, null, s11, v11, vcc_lo
	v_add_co_u32 v45, vcc_lo, s10, v45
	s_wait_alu 0xfffd
	v_add_co_ci_u32_e64 v46, null, s11, v46, vcc_lo
	global_load_b64 v[10:11], v[10:11], off
	v_add_co_u32 v47, vcc_lo, s10, v47
	s_wait_alu 0xfffd
	v_add_co_ci_u32_e64 v48, null, s11, v48, vcc_lo
	s_clause 0x1
	global_load_b64 v[45:46], v[45:46], off
	global_load_b64 v[47:48], v[47:48], off
	s_wait_loadcnt 0x2
	v_dual_fmac_f32 v12, v26, v10 :: v_dual_add_nc_u32 v9, 4, v9
	v_fmac_f32_e32 v15, v28, v10
	s_delay_alu instid0(VALU_DEP_2) | instskip(NEXT) | instid1(VALU_DEP_3)
	v_cmp_ge_i32_e32 vcc_lo, v9, v16
	v_fmac_f32_e32 v12, v25, v11
	s_delay_alu instid0(VALU_DEP_3) | instskip(SKIP_3) | instid1(VALU_DEP_4)
	v_dual_fmac_f32 v14, v22, v10 :: v_dual_fmac_f32 v15, v27, v11
	v_fmac_f32_e32 v17, v25, v10
	v_fmac_f32_e32 v13, v24, v10
	;; [unrolled: 1-line block ×4, first 2 shown]
	s_wait_loadcnt 0x1
	v_dual_fmac_f32 v19, v21, v10 :: v_dual_fmac_f32 v12, v34, v45
	v_fmac_f32_e32 v15, v36, v45
	s_wait_alu 0xfffe
	s_or_b32 s4, vcc_lo, s4
	v_fmac_f32_e32 v14, v30, v45
	v_fma_f32 v19, -v22, v11, v19
	v_fmac_f32_e32 v18, v23, v10
	v_fma_f32 v10, -v26, v11, v17
	v_fmac_f32_e32 v13, v23, v11
	v_fma_f32 v17, -v28, v11, v20
	v_fmac_f32_e32 v19, v29, v45
	v_fma_f32 v18, -v24, v11, v18
	v_fmac_f32_e32 v10, v33, v45
	v_dual_fmac_f32 v13, v32, v45 :: v_dual_fmac_f32 v14, v29, v46
	v_dual_fmac_f32 v17, v35, v45 :: v_dual_fmac_f32 v12, v33, v46
	s_delay_alu instid0(VALU_DEP_3) | instskip(SKIP_2) | instid1(VALU_DEP_4)
	v_fma_f32 v10, -v34, v46, v10
	v_fmac_f32_e32 v15, v35, v46
	v_fma_f32 v19, -v30, v46, v19
	v_fma_f32 v11, -v36, v46, v17
	s_wait_loadcnt 0x0
	v_dual_fmac_f32 v13, v31, v46 :: v_dual_fmac_f32 v12, v42, v47
	v_fmac_f32_e32 v10, v41, v47
	v_dual_fmac_f32 v18, v31, v45 :: v_dual_fmac_f32 v15, v44, v47
	s_delay_alu instid0(VALU_DEP_3) | instskip(SKIP_1) | instid1(VALU_DEP_3)
	v_dual_fmac_f32 v11, v43, v47 :: v_dual_fmac_f32 v12, v41, v48
	v_fmac_f32_e32 v19, v37, v47
	v_fma_f32 v18, -v32, v46, v18
	s_delay_alu instid0(VALU_DEP_4) | instskip(SKIP_2) | instid1(VALU_DEP_4)
	v_dual_fmac_f32 v14, v38, v47 :: v_dual_fmac_f32 v15, v43, v48
	v_fmac_f32_e32 v13, v40, v47
	v_fma_f32 v17, -v42, v48, v10
	v_fmac_f32_e32 v18, v39, v47
	v_fma_f32 v20, -v44, v48, v11
	v_fma_f32 v19, -v38, v48, v19
	v_fmac_f32_e32 v14, v37, v48
	v_fmac_f32_e32 v13, v39, v48
	v_fma_f32 v18, -v40, v48, v18
	s_wait_alu 0xfffe
	s_and_not1_b32 exec_lo, exec_lo, s4
	s_cbranch_execnz .LBB84_7
; %bb.8:
	s_or_b32 exec_lo, exec_lo, s4
.LBB84_9:
	s_wait_alu 0xfffe
	s_or_b32 exec_lo, exec_lo, s3
	s_cbranch_execz .LBB84_11
	s_branch .LBB84_16
.LBB84_10:
                                        ; implicit-def: $vgpr12
                                        ; implicit-def: $vgpr17
                                        ; implicit-def: $vgpr18
                                        ; implicit-def: $vgpr13
                                        ; implicit-def: $vgpr19
                                        ; implicit-def: $vgpr14
                                        ; implicit-def: $vgpr20
                                        ; implicit-def: $vgpr15
.LBB84_11:
	v_dual_mov_b32 v12, 0 :: v_dual_mov_b32 v17, 0
	v_dual_mov_b32 v18, 0 :: v_dual_mov_b32 v13, 0
	;; [unrolled: 1-line block ×4, first 2 shown]
	s_and_saveexec_b32 s3, s2
	s_cbranch_execz .LBB84_15
; %bb.12:
	v_mad_co_u64_u32 v[8:9], null, v6, 12, 11
	v_dual_mov_b32 v11, 0 :: v_dual_mov_b32 v12, 0
	v_dual_mov_b32 v17, 0 :: v_dual_mov_b32 v18, 0
	;; [unrolled: 1-line block ×4, first 2 shown]
	v_mov_b32_e32 v15, 0
	s_mov_b32 s2, 0
.LBB84_13:                              ; =>This Inner Loop Header: Depth=1
	v_ashrrev_i32_e32 v7, 31, v6
	v_dual_mov_b32 v30, v11 :: v_dual_add_nc_u32 v21, -5, v8
	v_dual_mov_b32 v22, v11 :: v_dual_add_nc_u32 v23, -2, v8
	s_delay_alu instid0(VALU_DEP_3) | instskip(SKIP_1) | instid1(VALU_DEP_3)
	v_lshlrev_b64_e32 v[9:10], 2, v[6:7]
	v_mov_b32_e32 v24, v11
	v_lshlrev_b64_e32 v[21:22], 3, v[21:22]
	s_delay_alu instid0(VALU_DEP_2) | instskip(NEXT) | instid1(VALU_DEP_4)
	v_lshlrev_b64_e32 v[23:24], 3, v[23:24]
	v_add_co_u32 v9, vcc_lo, s6, v9
	s_wait_alu 0xfffd
	v_add_co_ci_u32_e64 v10, null, s7, v10, vcc_lo
	global_load_b32 v7, v[9:10], off
	v_dual_mov_b32 v9, v11 :: v_dual_add_nc_u32 v10, -11, v8
	s_delay_alu instid0(VALU_DEP_1) | instskip(NEXT) | instid1(VALU_DEP_2)
	v_lshlrev_b64_e32 v[25:26], 3, v[10:11]
	v_lshlrev_b64_e32 v[9:10], 3, v[8:9]
	s_delay_alu instid0(VALU_DEP_2) | instskip(SKIP_1) | instid1(VALU_DEP_3)
	v_add_co_u32 v25, vcc_lo, s8, v25
	s_wait_alu 0xfffd
	v_add_co_ci_u32_e64 v26, null, s9, v26, vcc_lo
	v_add_co_u32 v31, vcc_lo, s8, v21
	s_wait_alu 0xfffd
	v_add_co_ci_u32_e64 v32, null, s9, v22, vcc_lo
	;; [unrolled: 3-line block ×4, first 2 shown]
	s_clause 0x3
	global_load_b128 v[21:24], v[25:26], off offset:16
	global_load_b128 v[25:28], v[25:26], off
	global_load_b64 v[31:32], v[31:32], off
	global_load_b64 v[33:34], v[33:34], off
	s_wait_loadcnt 0x4
	v_subrev_nc_u32_e32 v7, s12, v7
	s_delay_alu instid0(VALU_DEP_1) | instskip(NEXT) | instid1(VALU_DEP_1)
	v_lshl_add_u32 v29, v7, 1, v7
	v_lshlrev_b64_e32 v[37:38], 3, v[29:30]
	s_delay_alu instid0(VALU_DEP_1) | instskip(SKIP_1) | instid1(VALU_DEP_2)
	v_add_co_u32 v37, vcc_lo, s10, v37
	s_wait_alu 0xfffd
	v_add_co_ci_u32_e64 v38, null, s11, v38, vcc_lo
	global_load_b64 v[37:38], v[37:38], off
	v_add_nc_u32_e32 v10, 1, v29
	s_delay_alu instid0(VALU_DEP_1) | instskip(NEXT) | instid1(VALU_DEP_1)
	v_lshlrev_b64_e32 v[39:40], 3, v[10:11]
	v_add_co_u32 v39, vcc_lo, s10, v39
	s_wait_alu 0xfffd
	s_delay_alu instid0(VALU_DEP_2) | instskip(SKIP_3) | instid1(VALU_DEP_1)
	v_add_co_ci_u32_e64 v40, null, s11, v40, vcc_lo
	global_load_b64 v[39:40], v[39:40], off
	s_wait_loadcnt 0x1
	v_dual_fmac_f32 v15, v24, v37 :: v_dual_add_nc_u32 v10, -7, v8
	v_lshlrev_b64_e32 v[41:42], 3, v[10:11]
	v_dual_fmac_f32 v19, v31, v37 :: v_dual_add_nc_u32 v10, -4, v8
	v_fmac_f32_e32 v13, v34, v37
	v_fmac_f32_e32 v17, v25, v37
	;; [unrolled: 1-line block ×3, first 2 shown]
	s_delay_alu instid0(VALU_DEP_4) | instskip(SKIP_4) | instid1(VALU_DEP_3)
	v_lshlrev_b64_e32 v[43:44], 3, v[10:11]
	v_add_nc_u32_e32 v10, -1, v8
	v_add_co_u32 v41, vcc_lo, s8, v41
	s_wait_alu 0xfffd
	v_add_co_ci_u32_e64 v42, null, s9, v42, vcc_lo
	v_lshlrev_b64_e32 v[45:46], 3, v[10:11]
	v_dual_fmac_f32 v13, v33, v38 :: v_dual_add_nc_u32 v10, 2, v29
	v_add_co_u32 v29, vcc_lo, s8, v43
	s_wait_alu 0xfffd
	v_add_co_ci_u32_e64 v30, null, s9, v44, vcc_lo
	s_delay_alu instid0(VALU_DEP_4)
	v_add_co_u32 v45, vcc_lo, s8, v45
	s_wait_alu 0xfffd
	v_add_co_ci_u32_e64 v46, null, s9, v46, vcc_lo
	global_load_b64 v[41:42], v[41:42], off
	v_lshlrev_b64_e32 v[43:44], 3, v[10:11]
	v_fma_f32 v7, -v26, v38, v17
	global_load_b64 v[45:46], v[45:46], off
	v_add_nc_u32_e32 v10, -6, v8
	v_fmac_f32_e32 v20, v23, v37
	global_load_b64 v[29:30], v[29:30], off
	s_wait_loadcnt 0x3
	v_fmac_f32_e32 v7, v27, v39
	v_add_co_u32 v43, vcc_lo, s10, v43
	v_lshlrev_b64_e32 v[47:48], 3, v[10:11]
	s_wait_alu 0xfffd
	v_add_co_ci_u32_e64 v44, null, s11, v44, vcc_lo
	v_add_nc_u32_e32 v6, 4, v6
	v_fma_f32 v7, -v28, v40, v7
	v_fma_f32 v19, -v32, v38, v19
	v_add_co_u32 v47, vcc_lo, s8, v47
	s_wait_alu 0xfffd
	v_add_co_ci_u32_e64 v48, null, s9, v48, vcc_lo
	global_load_b64 v[43:44], v[43:44], off
	s_wait_loadcnt 0x3
	v_dual_fmac_f32 v14, v32, v37 :: v_dual_fmac_f32 v15, v42, v39
	v_fmac_f32_e32 v12, v26, v37
	s_wait_loadcnt 0x2
	v_fmac_f32_e32 v13, v46, v39
	v_fma_f32 v17, -v24, v38, v20
	v_add_nc_u32_e32 v10, -3, v8
	v_fmac_f32_e32 v15, v41, v40
	s_wait_loadcnt 0x1
	v_dual_fmac_f32 v19, v29, v39 :: v_dual_add_nc_u32 v8, 48, v8
	v_fmac_f32_e32 v17, v41, v39
	v_lshlrev_b64_e32 v[9:10], 3, v[10:11]
	v_fmac_f32_e32 v13, v45, v40
	s_delay_alu instid0(VALU_DEP_4) | instskip(NEXT) | instid1(VALU_DEP_4)
	v_fma_f32 v19, -v30, v40, v19
	v_fma_f32 v20, -v42, v40, v17
	s_delay_alu instid0(VALU_DEP_4)
	v_add_co_u32 v9, vcc_lo, s8, v9
	s_wait_alu 0xfffd
	v_add_co_ci_u32_e64 v10, null, s9, v10, vcc_lo
	s_clause 0x2
	global_load_b64 v[47:48], v[47:48], off
	global_load_b64 v[9:10], v[9:10], off
	;; [unrolled: 1-line block ×3, first 2 shown]
	v_fmac_f32_e32 v18, v33, v37
	v_fmac_f32_e32 v12, v25, v38
	s_wait_loadcnt 0x3
	v_dual_fmac_f32 v7, v21, v43 :: v_dual_fmac_f32 v14, v31, v38
	v_cmp_ge_i32_e32 vcc_lo, v6, v16
	s_delay_alu instid0(VALU_DEP_2)
	v_fma_f32 v17, -v22, v44, v7
	s_wait_alu 0xfffe
	s_or_b32 s2, vcc_lo, s2
	s_wait_loadcnt 0x2
	v_fmac_f32_e32 v15, v48, v43
	v_fma_f32 v18, -v34, v38, v18
	s_wait_loadcnt 0x0
	v_fmac_f32_e32 v13, v36, v43
	v_fmac_f32_e32 v12, v28, v39
	v_dual_fmac_f32 v14, v30, v39 :: v_dual_fmac_f32 v15, v47, v44
	s_delay_alu instid0(VALU_DEP_3) | instskip(NEXT) | instid1(VALU_DEP_3)
	v_dual_fmac_f32 v18, v45, v39 :: v_dual_fmac_f32 v13, v35, v44
	v_dual_fmac_f32 v12, v27, v40 :: v_dual_fmac_f32 v19, v9, v43
	s_delay_alu instid0(VALU_DEP_3) | instskip(NEXT) | instid1(VALU_DEP_3)
	v_fmac_f32_e32 v14, v29, v40
	v_fma_f32 v18, -v46, v40, v18
	v_fmac_f32_e32 v20, v47, v43
	s_delay_alu instid0(VALU_DEP_4)
	v_fmac_f32_e32 v12, v22, v43
	v_fma_f32 v19, -v10, v44, v19
	v_fmac_f32_e32 v14, v10, v43
	v_fmac_f32_e32 v18, v35, v43
	v_fma_f32 v20, -v48, v44, v20
	v_fmac_f32_e32 v12, v21, v44
	s_delay_alu instid0(VALU_DEP_4) | instskip(NEXT) | instid1(VALU_DEP_4)
	v_fmac_f32_e32 v14, v9, v44
	v_fma_f32 v18, -v36, v44, v18
	s_wait_alu 0xfffe
	s_and_not1_b32 exec_lo, exec_lo, s2
	s_cbranch_execnz .LBB84_13
; %bb.14:
	s_or_b32 exec_lo, exec_lo, s2
.LBB84_15:
	s_wait_alu 0xfffe
	s_or_b32 exec_lo, exec_lo, s3
.LBB84_16:
	v_mbcnt_lo_u32_b32 v6, -1, 0
	s_delay_alu instid0(VALU_DEP_1) | instskip(NEXT) | instid1(VALU_DEP_1)
	v_xor_b32_e32 v7, 2, v6
	v_cmp_gt_i32_e32 vcc_lo, 32, v7
	s_wait_alu 0xfffd
	v_cndmask_b32_e32 v7, v6, v7, vcc_lo
	s_delay_alu instid0(VALU_DEP_1)
	v_lshlrev_b32_e32 v7, 2, v7
	ds_bpermute_b32 v9, v7, v12
	s_wait_dscnt 0x0
	v_add_f32_e32 v10, v12, v9
	ds_bpermute_b32 v8, v7, v17
	ds_bpermute_b32 v11, v7, v20
	;; [unrolled: 1-line block ×7, first 2 shown]
	v_xor_b32_e32 v7, 1, v6
	s_delay_alu instid0(VALU_DEP_1)
	v_cmp_gt_i32_e32 vcc_lo, 32, v7
	s_wait_alu 0xfffd
	v_cndmask_b32_e32 v6, v6, v7, vcc_lo
	v_cmp_eq_u32_e32 vcc_lo, 3, v0
	s_wait_dscnt 0x5
	v_add_f32_e32 v11, v20, v11
	s_wait_dscnt 0x4
	v_add_f32_e32 v15, v15, v16
	s_wait_dscnt 0x3
	v_dual_add_f32 v16, v19, v21 :: v_dual_lshlrev_b32 v25, 2, v6
	v_add_f32_e32 v6, v17, v8
	s_wait_dscnt 0x2
	v_add_f32_e32 v14, v14, v22
	s_wait_dscnt 0x1
	v_add_f32_e32 v7, v18, v23
	s_wait_dscnt 0x0
	v_add_f32_e32 v9, v13, v24
	ds_bpermute_b32 v12, v25, v10
	ds_bpermute_b32 v8, v25, v6
	;; [unrolled: 1-line block ×8, first 2 shown]
	s_and_b32 exec_lo, exec_lo, vcc_lo
	s_cbranch_execz .LBB84_21
; %bb.17:
	s_load_b64 s[2:3], s[0:1], 0x38
	v_cmp_eq_f32_e32 vcc_lo, 0, v3
	v_cmp_eq_f32_e64 s0, 0, v4
	s_wait_dscnt 0x6
	v_add_f32_e32 v8, v6, v8
	s_wait_dscnt 0x1
	v_dual_add_f32 v12, v10, v12 :: v_dual_add_f32 v7, v7, v13
	s_wait_dscnt 0x0
	v_dual_add_f32 v0, v11, v18 :: v_dual_add_f32 v9, v9, v17
	v_dual_add_f32 v11, v15, v19 :: v_dual_add_f32 v6, v16, v20
	v_add_f32_e32 v10, v14, v21
	s_and_b32 s0, vcc_lo, s0
	s_wait_alu 0xfffe
	s_and_saveexec_b32 s1, s0
	s_wait_alu 0xfffe
	s_xor_b32 s0, exec_lo, s1
	s_cbranch_execz .LBB84_19
; %bb.18:
	v_dual_mul_f32 v14, v1, v12 :: v_dual_lshlrev_b32 v3, 2, v5
	v_mul_f32_e64 v13, v12, -v2
	v_mul_f32_e64 v15, v11, -v2
	v_mul_f32_e32 v16, v1, v11
	s_delay_alu instid0(VALU_DEP_4)
	v_ashrrev_i32_e32 v4, 31, v3
	v_mul_f32_e64 v17, v10, -v2
	v_mul_f32_e32 v18, v1, v10
	v_mul_f32_e64 v19, v9, -v2
	v_mul_f32_e32 v20, v1, v9
	v_lshlrev_b64_e32 v[3:4], 3, v[3:4]
	s_delay_alu instid0(VALU_DEP_4) | instskip(SKIP_1) | instid1(VALU_DEP_4)
	v_dual_fmac_f32 v13, v1, v8 :: v_dual_fmac_f32 v18, v2, v6
	v_dual_fmac_f32 v14, v2, v8 :: v_dual_fmac_f32 v17, v1, v6
	;; [unrolled: 1-line block ×3, first 2 shown]
	s_wait_kmcnt 0x0
	s_delay_alu instid0(VALU_DEP_4)
	v_add_co_u32 v3, vcc_lo, s2, v3
	s_wait_alu 0xfffd
	v_add_co_ci_u32_e64 v4, null, s3, v4, vcc_lo
	v_dual_fmac_f32 v16, v2, v0 :: v_dual_fmac_f32 v19, v1, v7
	s_clause 0x1
	global_store_b128 v[3:4], v[13:16], off
	global_store_b128 v[3:4], v[17:20], off offset:16
                                        ; implicit-def: $vgpr5
                                        ; implicit-def: $vgpr8
                                        ; implicit-def: $vgpr12
                                        ; implicit-def: $vgpr0
                                        ; implicit-def: $vgpr11
                                        ; implicit-def: $vgpr6
                                        ; implicit-def: $vgpr10
                                        ; implicit-def: $vgpr7
                                        ; implicit-def: $vgpr9
                                        ; implicit-def: $vgpr1_vgpr2
                                        ; implicit-def: $vgpr3_vgpr4
.LBB84_19:
	s_wait_alu 0xfffe
	s_and_not1_saveexec_b32 s0, s0
	s_cbranch_execz .LBB84_21
; %bb.20:
	v_dual_mul_f32 v22, v1, v12 :: v_dual_lshlrev_b32 v13, 2, v5
	v_mul_f32_e64 v5, v12, -v2
	v_mul_f32_e64 v23, v11, -v2
	v_mul_f32_e64 v27, v9, -v2
	s_delay_alu instid0(VALU_DEP_4) | instskip(NEXT) | instid1(VALU_DEP_4)
	v_ashrrev_i32_e32 v14, 31, v13
	v_fmac_f32_e32 v5, v1, v8
	s_delay_alu instid0(VALU_DEP_2) | instskip(SKIP_1) | instid1(VALU_DEP_1)
	v_lshlrev_b64_e32 v[13:14], 3, v[13:14]
	s_wait_kmcnt 0x0
	v_add_co_u32 v25, vcc_lo, s2, v13
	s_wait_alu 0xfffd
	s_delay_alu instid0(VALU_DEP_2)
	v_add_co_ci_u32_e64 v26, null, s3, v14, vcc_lo
	s_clause 0x1
	global_load_b128 v[13:16], v[25:26], off
	global_load_b128 v[17:20], v[25:26], off offset:16
	v_mul_f32_e32 v24, v1, v11
	v_mul_f32_e64 v11, v10, -v2
	s_delay_alu instid0(VALU_DEP_1) | instskip(SKIP_1) | instid1(VALU_DEP_1)
	v_dual_fmac_f32 v22, v2, v8 :: v_dual_fmac_f32 v11, v1, v6
	s_wait_loadcnt 0x1
	v_dual_fmac_f32 v27, v1, v7 :: v_dual_fmac_f32 v22, v4, v13
	s_wait_loadcnt 0x0
	s_delay_alu instid0(VALU_DEP_1) | instskip(SKIP_3) | instid1(VALU_DEP_4)
	v_dual_mul_f32 v12, v1, v9 :: v_dual_fmac_f32 v27, v3, v19
	v_fmac_f32_e32 v23, v1, v0
	v_fmac_f32_e32 v11, v3, v17
	;; [unrolled: 1-line block ×4, first 2 shown]
	s_delay_alu instid0(VALU_DEP_4) | instskip(NEXT) | instid1(VALU_DEP_4)
	v_dual_mul_f32 v10, v1, v10 :: v_dual_fmac_f32 v23, v3, v15
	v_fma_f32 v9, -v4, v18, v11
	v_fma_f32 v11, -v4, v20, v27
	s_delay_alu instid0(VALU_DEP_4) | instskip(NEXT) | instid1(VALU_DEP_4)
	v_fmac_f32_e32 v12, v4, v19
	v_dual_fmac_f32 v10, v2, v6 :: v_dual_fmac_f32 v5, v3, v13
	v_fmac_f32_e32 v24, v2, v0
	v_fma_f32 v23, -v4, v16, v23
	s_delay_alu instid0(VALU_DEP_4) | instskip(NEXT) | instid1(VALU_DEP_4)
	v_fmac_f32_e32 v12, v3, v20
	v_fmac_f32_e32 v10, v4, v17
	v_fma_f32 v21, -v4, v14, v5
	v_fmac_f32_e32 v24, v4, v15
	s_delay_alu instid0(VALU_DEP_3) | instskip(NEXT) | instid1(VALU_DEP_2)
	v_fmac_f32_e32 v10, v3, v18
	v_fmac_f32_e32 v24, v3, v16
	s_clause 0x1
	global_store_b128 v[25:26], v[21:24], off
	global_store_b128 v[25:26], v[9:12], off offset:16
.LBB84_21:
	s_endpgm
	.section	.rodata,"a",@progbits
	.p2align	6, 0x0
	.amdhsa_kernel _ZN9rocsparseL19gebsrmvn_4xn_kernelILj128ELj3ELj4E21rocsparse_complex_numIfEEEvi20rocsparse_direction_NS_24const_host_device_scalarIT2_EEPKiS8_PKS5_SA_S6_PS5_21rocsparse_index_base_b
		.amdhsa_group_segment_fixed_size 0
		.amdhsa_private_segment_fixed_size 0
		.amdhsa_kernarg_size 72
		.amdhsa_user_sgpr_count 2
		.amdhsa_user_sgpr_dispatch_ptr 0
		.amdhsa_user_sgpr_queue_ptr 0
		.amdhsa_user_sgpr_kernarg_segment_ptr 1
		.amdhsa_user_sgpr_dispatch_id 0
		.amdhsa_user_sgpr_private_segment_size 0
		.amdhsa_wavefront_size32 1
		.amdhsa_uses_dynamic_stack 0
		.amdhsa_enable_private_segment 0
		.amdhsa_system_sgpr_workgroup_id_x 1
		.amdhsa_system_sgpr_workgroup_id_y 0
		.amdhsa_system_sgpr_workgroup_id_z 0
		.amdhsa_system_sgpr_workgroup_info 0
		.amdhsa_system_vgpr_workitem_id 0
		.amdhsa_next_free_vgpr 51
		.amdhsa_next_free_sgpr 14
		.amdhsa_reserve_vcc 1
		.amdhsa_float_round_mode_32 0
		.amdhsa_float_round_mode_16_64 0
		.amdhsa_float_denorm_mode_32 3
		.amdhsa_float_denorm_mode_16_64 3
		.amdhsa_fp16_overflow 0
		.amdhsa_workgroup_processor_mode 1
		.amdhsa_memory_ordered 1
		.amdhsa_forward_progress 1
		.amdhsa_inst_pref_size 24
		.amdhsa_round_robin_scheduling 0
		.amdhsa_exception_fp_ieee_invalid_op 0
		.amdhsa_exception_fp_denorm_src 0
		.amdhsa_exception_fp_ieee_div_zero 0
		.amdhsa_exception_fp_ieee_overflow 0
		.amdhsa_exception_fp_ieee_underflow 0
		.amdhsa_exception_fp_ieee_inexact 0
		.amdhsa_exception_int_div_zero 0
	.end_amdhsa_kernel
	.section	.text._ZN9rocsparseL19gebsrmvn_4xn_kernelILj128ELj3ELj4E21rocsparse_complex_numIfEEEvi20rocsparse_direction_NS_24const_host_device_scalarIT2_EEPKiS8_PKS5_SA_S6_PS5_21rocsparse_index_base_b,"axG",@progbits,_ZN9rocsparseL19gebsrmvn_4xn_kernelILj128ELj3ELj4E21rocsparse_complex_numIfEEEvi20rocsparse_direction_NS_24const_host_device_scalarIT2_EEPKiS8_PKS5_SA_S6_PS5_21rocsparse_index_base_b,comdat
.Lfunc_end84:
	.size	_ZN9rocsparseL19gebsrmvn_4xn_kernelILj128ELj3ELj4E21rocsparse_complex_numIfEEEvi20rocsparse_direction_NS_24const_host_device_scalarIT2_EEPKiS8_PKS5_SA_S6_PS5_21rocsparse_index_base_b, .Lfunc_end84-_ZN9rocsparseL19gebsrmvn_4xn_kernelILj128ELj3ELj4E21rocsparse_complex_numIfEEEvi20rocsparse_direction_NS_24const_host_device_scalarIT2_EEPKiS8_PKS5_SA_S6_PS5_21rocsparse_index_base_b
                                        ; -- End function
	.set _ZN9rocsparseL19gebsrmvn_4xn_kernelILj128ELj3ELj4E21rocsparse_complex_numIfEEEvi20rocsparse_direction_NS_24const_host_device_scalarIT2_EEPKiS8_PKS5_SA_S6_PS5_21rocsparse_index_base_b.num_vgpr, 51
	.set _ZN9rocsparseL19gebsrmvn_4xn_kernelILj128ELj3ELj4E21rocsparse_complex_numIfEEEvi20rocsparse_direction_NS_24const_host_device_scalarIT2_EEPKiS8_PKS5_SA_S6_PS5_21rocsparse_index_base_b.num_agpr, 0
	.set _ZN9rocsparseL19gebsrmvn_4xn_kernelILj128ELj3ELj4E21rocsparse_complex_numIfEEEvi20rocsparse_direction_NS_24const_host_device_scalarIT2_EEPKiS8_PKS5_SA_S6_PS5_21rocsparse_index_base_b.numbered_sgpr, 14
	.set _ZN9rocsparseL19gebsrmvn_4xn_kernelILj128ELj3ELj4E21rocsparse_complex_numIfEEEvi20rocsparse_direction_NS_24const_host_device_scalarIT2_EEPKiS8_PKS5_SA_S6_PS5_21rocsparse_index_base_b.num_named_barrier, 0
	.set _ZN9rocsparseL19gebsrmvn_4xn_kernelILj128ELj3ELj4E21rocsparse_complex_numIfEEEvi20rocsparse_direction_NS_24const_host_device_scalarIT2_EEPKiS8_PKS5_SA_S6_PS5_21rocsparse_index_base_b.private_seg_size, 0
	.set _ZN9rocsparseL19gebsrmvn_4xn_kernelILj128ELj3ELj4E21rocsparse_complex_numIfEEEvi20rocsparse_direction_NS_24const_host_device_scalarIT2_EEPKiS8_PKS5_SA_S6_PS5_21rocsparse_index_base_b.uses_vcc, 1
	.set _ZN9rocsparseL19gebsrmvn_4xn_kernelILj128ELj3ELj4E21rocsparse_complex_numIfEEEvi20rocsparse_direction_NS_24const_host_device_scalarIT2_EEPKiS8_PKS5_SA_S6_PS5_21rocsparse_index_base_b.uses_flat_scratch, 0
	.set _ZN9rocsparseL19gebsrmvn_4xn_kernelILj128ELj3ELj4E21rocsparse_complex_numIfEEEvi20rocsparse_direction_NS_24const_host_device_scalarIT2_EEPKiS8_PKS5_SA_S6_PS5_21rocsparse_index_base_b.has_dyn_sized_stack, 0
	.set _ZN9rocsparseL19gebsrmvn_4xn_kernelILj128ELj3ELj4E21rocsparse_complex_numIfEEEvi20rocsparse_direction_NS_24const_host_device_scalarIT2_EEPKiS8_PKS5_SA_S6_PS5_21rocsparse_index_base_b.has_recursion, 0
	.set _ZN9rocsparseL19gebsrmvn_4xn_kernelILj128ELj3ELj4E21rocsparse_complex_numIfEEEvi20rocsparse_direction_NS_24const_host_device_scalarIT2_EEPKiS8_PKS5_SA_S6_PS5_21rocsparse_index_base_b.has_indirect_call, 0
	.section	.AMDGPU.csdata,"",@progbits
; Kernel info:
; codeLenInByte = 2980
; TotalNumSgprs: 16
; NumVgprs: 51
; ScratchSize: 0
; MemoryBound: 0
; FloatMode: 240
; IeeeMode: 1
; LDSByteSize: 0 bytes/workgroup (compile time only)
; SGPRBlocks: 0
; VGPRBlocks: 6
; NumSGPRsForWavesPerEU: 16
; NumVGPRsForWavesPerEU: 51
; Occupancy: 16
; WaveLimiterHint : 1
; COMPUTE_PGM_RSRC2:SCRATCH_EN: 0
; COMPUTE_PGM_RSRC2:USER_SGPR: 2
; COMPUTE_PGM_RSRC2:TRAP_HANDLER: 0
; COMPUTE_PGM_RSRC2:TGID_X_EN: 1
; COMPUTE_PGM_RSRC2:TGID_Y_EN: 0
; COMPUTE_PGM_RSRC2:TGID_Z_EN: 0
; COMPUTE_PGM_RSRC2:TIDIG_COMP_CNT: 0
	.section	.text._ZN9rocsparseL19gebsrmvn_4xn_kernelILj128ELj3ELj8E21rocsparse_complex_numIfEEEvi20rocsparse_direction_NS_24const_host_device_scalarIT2_EEPKiS8_PKS5_SA_S6_PS5_21rocsparse_index_base_b,"axG",@progbits,_ZN9rocsparseL19gebsrmvn_4xn_kernelILj128ELj3ELj8E21rocsparse_complex_numIfEEEvi20rocsparse_direction_NS_24const_host_device_scalarIT2_EEPKiS8_PKS5_SA_S6_PS5_21rocsparse_index_base_b,comdat
	.globl	_ZN9rocsparseL19gebsrmvn_4xn_kernelILj128ELj3ELj8E21rocsparse_complex_numIfEEEvi20rocsparse_direction_NS_24const_host_device_scalarIT2_EEPKiS8_PKS5_SA_S6_PS5_21rocsparse_index_base_b ; -- Begin function _ZN9rocsparseL19gebsrmvn_4xn_kernelILj128ELj3ELj8E21rocsparse_complex_numIfEEEvi20rocsparse_direction_NS_24const_host_device_scalarIT2_EEPKiS8_PKS5_SA_S6_PS5_21rocsparse_index_base_b
	.p2align	8
	.type	_ZN9rocsparseL19gebsrmvn_4xn_kernelILj128ELj3ELj8E21rocsparse_complex_numIfEEEvi20rocsparse_direction_NS_24const_host_device_scalarIT2_EEPKiS8_PKS5_SA_S6_PS5_21rocsparse_index_base_b,@function
_ZN9rocsparseL19gebsrmvn_4xn_kernelILj128ELj3ELj8E21rocsparse_complex_numIfEEEvi20rocsparse_direction_NS_24const_host_device_scalarIT2_EEPKiS8_PKS5_SA_S6_PS5_21rocsparse_index_base_b: ; @_ZN9rocsparseL19gebsrmvn_4xn_kernelILj128ELj3ELj8E21rocsparse_complex_numIfEEEvi20rocsparse_direction_NS_24const_host_device_scalarIT2_EEPKiS8_PKS5_SA_S6_PS5_21rocsparse_index_base_b
; %bb.0:
	s_clause 0x2
	s_load_b64 s[12:13], s[0:1], 0x40
	s_load_b64 s[2:3], s[0:1], 0x8
	;; [unrolled: 1-line block ×3, first 2 shown]
	s_add_nc_u64 s[6:7], s[0:1], 8
	s_wait_kmcnt 0x0
	s_bitcmp1_b32 s13, 0
	s_cselect_b32 s2, s6, s2
	s_cselect_b32 s3, s7, s3
	s_delay_alu instid0(SALU_CYCLE_1)
	v_dual_mov_b32 v1, s2 :: v_dual_mov_b32 v2, s3
	s_add_nc_u64 s[2:3], s[0:1], 48
	s_wait_alu 0xfffe
	s_cselect_b32 s2, s2, s4
	s_cselect_b32 s3, s3, s5
	flat_load_b64 v[1:2], v[1:2]
	s_wait_alu 0xfffe
	v_dual_mov_b32 v3, s2 :: v_dual_mov_b32 v4, s3
	flat_load_b64 v[3:4], v[3:4]
	s_wait_loadcnt_dscnt 0x101
	v_cmp_eq_f32_e32 vcc_lo, 0, v1
	v_cmp_eq_f32_e64 s2, 0, v2
	s_and_b32 s4, vcc_lo, s2
	s_mov_b32 s2, -1
	s_and_saveexec_b32 s3, s4
	s_cbranch_execz .LBB85_2
; %bb.1:
	s_wait_loadcnt_dscnt 0x0
	v_cmp_neq_f32_e32 vcc_lo, 1.0, v3
	v_cmp_neq_f32_e64 s2, 0, v4
	s_wait_alu 0xfffe
	s_or_b32 s2, vcc_lo, s2
	s_wait_alu 0xfffe
	s_or_not1_b32 s2, s2, exec_lo
.LBB85_2:
	s_wait_alu 0xfffe
	s_or_b32 exec_lo, exec_lo, s3
	s_and_saveexec_b32 s3, s2
	s_cbranch_execz .LBB85_21
; %bb.3:
	s_load_b64 s[2:3], s[0:1], 0x0
	v_lshrrev_b32_e32 v5, 3, v0
	s_delay_alu instid0(VALU_DEP_1) | instskip(SKIP_1) | instid1(VALU_DEP_1)
	v_lshl_or_b32 v5, ttmp9, 4, v5
	s_wait_kmcnt 0x0
	v_cmp_gt_i32_e32 vcc_lo, s2, v5
	s_and_b32 exec_lo, exec_lo, vcc_lo
	s_cbranch_execz .LBB85_21
; %bb.4:
	s_load_b256 s[4:11], s[0:1], 0x10
	v_ashrrev_i32_e32 v6, 31, v5
	v_and_b32_e32 v0, 7, v0
	s_cmp_lg_u32 s3, 0
	s_delay_alu instid0(VALU_DEP_2) | instskip(SKIP_1) | instid1(VALU_DEP_1)
	v_lshlrev_b64_e32 v[6:7], 2, v[5:6]
	s_wait_kmcnt 0x0
	v_add_co_u32 v6, vcc_lo, s4, v6
	s_delay_alu instid0(VALU_DEP_1) | instskip(SKIP_4) | instid1(VALU_DEP_2)
	v_add_co_ci_u32_e64 v7, null, s5, v7, vcc_lo
	global_load_b64 v[6:7], v[6:7], off
	s_wait_loadcnt 0x0
	v_subrev_nc_u32_e32 v6, s12, v6
	v_subrev_nc_u32_e32 v16, s12, v7
	v_add_nc_u32_e32 v6, v6, v0
	s_delay_alu instid0(VALU_DEP_1)
	v_cmp_lt_i32_e64 s2, v6, v16
	s_cbranch_scc0 .LBB85_10
; %bb.5:
	v_dual_mov_b32 v12, 0 :: v_dual_mov_b32 v17, 0
	v_dual_mov_b32 v18, 0 :: v_dual_mov_b32 v13, 0
	;; [unrolled: 1-line block ×4, first 2 shown]
	s_and_saveexec_b32 s3, s2
	s_cbranch_execz .LBB85_9
; %bb.6:
	v_dual_mov_b32 v8, 0 :: v_dual_mov_b32 v9, v6
	v_mul_lo_u32 v7, v6, 12
	s_mov_b32 s4, 0
	s_delay_alu instid0(VALU_DEP_2)
	v_dual_mov_b32 v12, v8 :: v_dual_mov_b32 v17, v8
	v_dual_mov_b32 v18, v8 :: v_dual_mov_b32 v13, v8
	;; [unrolled: 1-line block ×4, first 2 shown]
.LBB85_7:                               ; =>This Inner Loop Header: Depth=1
	v_ashrrev_i32_e32 v10, 31, v9
	v_dual_mov_b32 v22, v8 :: v_dual_add_nc_u32 v21, 4, v7
	v_dual_mov_b32 v24, v8 :: v_dual_add_nc_u32 v23, 8, v7
	s_delay_alu instid0(VALU_DEP_3) | instskip(SKIP_1) | instid1(VALU_DEP_4)
	v_lshlrev_b64_e32 v[10:11], 2, v[9:10]
	v_mov_b32_e32 v50, v8
	v_lshlrev_b64_e32 v[21:22], 3, v[21:22]
	s_delay_alu instid0(VALU_DEP_4) | instskip(NEXT) | instid1(VALU_DEP_4)
	v_lshlrev_b64_e32 v[23:24], 3, v[23:24]
	v_add_co_u32 v10, vcc_lo, s6, v10
	s_wait_alu 0xfffd
	v_add_co_ci_u32_e64 v11, null, s7, v11, vcc_lo
	global_load_b32 v45, v[10:11], off
	v_lshlrev_b64_e32 v[10:11], 3, v[7:8]
	v_add_nc_u32_e32 v7, 0x60, v7
	s_delay_alu instid0(VALU_DEP_2) | instskip(SKIP_1) | instid1(VALU_DEP_3)
	v_add_co_u32 v10, vcc_lo, s8, v10
	s_wait_alu 0xfffd
	v_add_co_ci_u32_e64 v11, null, s9, v11, vcc_lo
	v_add_co_u32 v33, vcc_lo, s8, v21
	s_wait_alu 0xfffd
	v_add_co_ci_u32_e64 v34, null, s9, v22, vcc_lo
	;; [unrolled: 3-line block ×3, first 2 shown]
	s_clause 0x5
	global_load_b128 v[21:24], v[10:11], off offset:16
	global_load_b128 v[25:28], v[10:11], off
	global_load_b128 v[29:32], v[33:34], off offset:16
	global_load_b128 v[33:36], v[33:34], off
	;; [unrolled: 2-line block ×3, first 2 shown]
	s_wait_loadcnt 0x6
	v_subrev_nc_u32_e32 v10, s12, v45
	s_delay_alu instid0(VALU_DEP_1) | instskip(SKIP_1) | instid1(VALU_DEP_2)
	v_lshl_add_u32 v45, v10, 1, v10
	v_mov_b32_e32 v46, v8
	v_dual_mov_b32 v48, v8 :: v_dual_add_nc_u32 v49, 2, v45
	v_add_nc_u32_e32 v47, 1, v45
	s_delay_alu instid0(VALU_DEP_3) | instskip(NEXT) | instid1(VALU_DEP_2)
	v_lshlrev_b64_e32 v[10:11], 3, v[45:46]
	v_lshlrev_b64_e32 v[45:46], 3, v[47:48]
	s_delay_alu instid0(VALU_DEP_4) | instskip(NEXT) | instid1(VALU_DEP_3)
	v_lshlrev_b64_e32 v[47:48], 3, v[49:50]
	v_add_co_u32 v10, vcc_lo, s10, v10
	s_wait_alu 0xfffd
	s_delay_alu instid0(VALU_DEP_4) | instskip(NEXT) | instid1(VALU_DEP_4)
	v_add_co_ci_u32_e64 v11, null, s11, v11, vcc_lo
	v_add_co_u32 v45, vcc_lo, s10, v45
	s_wait_alu 0xfffd
	v_add_co_ci_u32_e64 v46, null, s11, v46, vcc_lo
	global_load_b64 v[10:11], v[10:11], off
	v_add_co_u32 v47, vcc_lo, s10, v47
	s_wait_alu 0xfffd
	v_add_co_ci_u32_e64 v48, null, s11, v48, vcc_lo
	s_clause 0x1
	global_load_b64 v[45:46], v[45:46], off
	global_load_b64 v[47:48], v[47:48], off
	s_wait_loadcnt 0x2
	v_dual_fmac_f32 v12, v26, v10 :: v_dual_add_nc_u32 v9, 8, v9
	v_fmac_f32_e32 v15, v28, v10
	s_delay_alu instid0(VALU_DEP_2) | instskip(NEXT) | instid1(VALU_DEP_3)
	v_cmp_ge_i32_e32 vcc_lo, v9, v16
	v_fmac_f32_e32 v12, v25, v11
	s_delay_alu instid0(VALU_DEP_3) | instskip(SKIP_3) | instid1(VALU_DEP_4)
	v_dual_fmac_f32 v14, v22, v10 :: v_dual_fmac_f32 v15, v27, v11
	v_fmac_f32_e32 v17, v25, v10
	v_fmac_f32_e32 v13, v24, v10
	;; [unrolled: 1-line block ×4, first 2 shown]
	s_wait_loadcnt 0x1
	v_dual_fmac_f32 v19, v21, v10 :: v_dual_fmac_f32 v12, v34, v45
	v_fmac_f32_e32 v15, v36, v45
	s_wait_alu 0xfffe
	s_or_b32 s4, vcc_lo, s4
	v_fmac_f32_e32 v14, v30, v45
	v_fma_f32 v19, -v22, v11, v19
	v_fmac_f32_e32 v18, v23, v10
	v_fma_f32 v10, -v26, v11, v17
	;; [unrolled: 2-line block ×4, first 2 shown]
	v_fmac_f32_e32 v10, v33, v45
	v_dual_fmac_f32 v13, v32, v45 :: v_dual_fmac_f32 v14, v29, v46
	v_dual_fmac_f32 v17, v35, v45 :: v_dual_fmac_f32 v12, v33, v46
	s_delay_alu instid0(VALU_DEP_3) | instskip(SKIP_2) | instid1(VALU_DEP_4)
	v_fma_f32 v10, -v34, v46, v10
	v_fmac_f32_e32 v15, v35, v46
	v_fma_f32 v19, -v30, v46, v19
	v_fma_f32 v11, -v36, v46, v17
	s_wait_loadcnt 0x0
	v_dual_fmac_f32 v13, v31, v46 :: v_dual_fmac_f32 v12, v42, v47
	v_fmac_f32_e32 v10, v41, v47
	v_dual_fmac_f32 v18, v31, v45 :: v_dual_fmac_f32 v15, v44, v47
	s_delay_alu instid0(VALU_DEP_3) | instskip(SKIP_1) | instid1(VALU_DEP_3)
	v_dual_fmac_f32 v11, v43, v47 :: v_dual_fmac_f32 v12, v41, v48
	v_fmac_f32_e32 v19, v37, v47
	v_fma_f32 v18, -v32, v46, v18
	s_delay_alu instid0(VALU_DEP_4) | instskip(SKIP_2) | instid1(VALU_DEP_4)
	v_dual_fmac_f32 v14, v38, v47 :: v_dual_fmac_f32 v15, v43, v48
	v_fmac_f32_e32 v13, v40, v47
	v_fma_f32 v17, -v42, v48, v10
	v_fmac_f32_e32 v18, v39, v47
	v_fma_f32 v20, -v44, v48, v11
	v_fma_f32 v19, -v38, v48, v19
	v_fmac_f32_e32 v14, v37, v48
	v_fmac_f32_e32 v13, v39, v48
	v_fma_f32 v18, -v40, v48, v18
	s_wait_alu 0xfffe
	s_and_not1_b32 exec_lo, exec_lo, s4
	s_cbranch_execnz .LBB85_7
; %bb.8:
	s_or_b32 exec_lo, exec_lo, s4
.LBB85_9:
	s_wait_alu 0xfffe
	s_or_b32 exec_lo, exec_lo, s3
	s_cbranch_execz .LBB85_11
	s_branch .LBB85_16
.LBB85_10:
                                        ; implicit-def: $vgpr12
                                        ; implicit-def: $vgpr17
                                        ; implicit-def: $vgpr18
                                        ; implicit-def: $vgpr13
                                        ; implicit-def: $vgpr19
                                        ; implicit-def: $vgpr14
                                        ; implicit-def: $vgpr20
                                        ; implicit-def: $vgpr15
.LBB85_11:
	v_dual_mov_b32 v12, 0 :: v_dual_mov_b32 v17, 0
	v_dual_mov_b32 v18, 0 :: v_dual_mov_b32 v13, 0
	;; [unrolled: 1-line block ×4, first 2 shown]
	s_and_saveexec_b32 s3, s2
	s_cbranch_execz .LBB85_15
; %bb.12:
	v_mad_co_u64_u32 v[8:9], null, v6, 12, 11
	v_dual_mov_b32 v11, 0 :: v_dual_mov_b32 v12, 0
	v_dual_mov_b32 v17, 0 :: v_dual_mov_b32 v18, 0
	;; [unrolled: 1-line block ×4, first 2 shown]
	v_mov_b32_e32 v15, 0
	s_mov_b32 s2, 0
.LBB85_13:                              ; =>This Inner Loop Header: Depth=1
	v_ashrrev_i32_e32 v7, 31, v6
	v_dual_mov_b32 v30, v11 :: v_dual_add_nc_u32 v21, -5, v8
	v_dual_mov_b32 v22, v11 :: v_dual_add_nc_u32 v23, -2, v8
	s_delay_alu instid0(VALU_DEP_3) | instskip(SKIP_1) | instid1(VALU_DEP_3)
	v_lshlrev_b64_e32 v[9:10], 2, v[6:7]
	v_mov_b32_e32 v24, v11
	v_lshlrev_b64_e32 v[21:22], 3, v[21:22]
	s_delay_alu instid0(VALU_DEP_2) | instskip(NEXT) | instid1(VALU_DEP_4)
	v_lshlrev_b64_e32 v[23:24], 3, v[23:24]
	v_add_co_u32 v9, vcc_lo, s6, v9
	s_wait_alu 0xfffd
	v_add_co_ci_u32_e64 v10, null, s7, v10, vcc_lo
	global_load_b32 v7, v[9:10], off
	v_dual_mov_b32 v9, v11 :: v_dual_add_nc_u32 v10, -11, v8
	s_delay_alu instid0(VALU_DEP_1) | instskip(NEXT) | instid1(VALU_DEP_2)
	v_lshlrev_b64_e32 v[25:26], 3, v[10:11]
	v_lshlrev_b64_e32 v[9:10], 3, v[8:9]
	s_delay_alu instid0(VALU_DEP_2) | instskip(SKIP_1) | instid1(VALU_DEP_3)
	v_add_co_u32 v25, vcc_lo, s8, v25
	s_wait_alu 0xfffd
	v_add_co_ci_u32_e64 v26, null, s9, v26, vcc_lo
	v_add_co_u32 v31, vcc_lo, s8, v21
	s_wait_alu 0xfffd
	v_add_co_ci_u32_e64 v32, null, s9, v22, vcc_lo
	;; [unrolled: 3-line block ×4, first 2 shown]
	s_clause 0x3
	global_load_b128 v[21:24], v[25:26], off offset:16
	global_load_b128 v[25:28], v[25:26], off
	global_load_b64 v[31:32], v[31:32], off
	global_load_b64 v[33:34], v[33:34], off
	s_wait_loadcnt 0x4
	v_subrev_nc_u32_e32 v7, s12, v7
	s_delay_alu instid0(VALU_DEP_1) | instskip(NEXT) | instid1(VALU_DEP_1)
	v_lshl_add_u32 v29, v7, 1, v7
	v_lshlrev_b64_e32 v[37:38], 3, v[29:30]
	s_delay_alu instid0(VALU_DEP_1) | instskip(SKIP_1) | instid1(VALU_DEP_2)
	v_add_co_u32 v37, vcc_lo, s10, v37
	s_wait_alu 0xfffd
	v_add_co_ci_u32_e64 v38, null, s11, v38, vcc_lo
	global_load_b64 v[37:38], v[37:38], off
	v_add_nc_u32_e32 v10, 1, v29
	s_delay_alu instid0(VALU_DEP_1) | instskip(NEXT) | instid1(VALU_DEP_1)
	v_lshlrev_b64_e32 v[39:40], 3, v[10:11]
	v_add_co_u32 v39, vcc_lo, s10, v39
	s_wait_alu 0xfffd
	s_delay_alu instid0(VALU_DEP_2) | instskip(SKIP_3) | instid1(VALU_DEP_1)
	v_add_co_ci_u32_e64 v40, null, s11, v40, vcc_lo
	global_load_b64 v[39:40], v[39:40], off
	s_wait_loadcnt 0x1
	v_dual_fmac_f32 v15, v24, v37 :: v_dual_add_nc_u32 v10, -7, v8
	v_lshlrev_b64_e32 v[41:42], 3, v[10:11]
	v_dual_fmac_f32 v19, v31, v37 :: v_dual_add_nc_u32 v10, -4, v8
	v_fmac_f32_e32 v13, v34, v37
	v_fmac_f32_e32 v17, v25, v37
	;; [unrolled: 1-line block ×3, first 2 shown]
	s_delay_alu instid0(VALU_DEP_4) | instskip(SKIP_4) | instid1(VALU_DEP_3)
	v_lshlrev_b64_e32 v[43:44], 3, v[10:11]
	v_add_nc_u32_e32 v10, -1, v8
	v_add_co_u32 v41, vcc_lo, s8, v41
	s_wait_alu 0xfffd
	v_add_co_ci_u32_e64 v42, null, s9, v42, vcc_lo
	v_lshlrev_b64_e32 v[45:46], 3, v[10:11]
	v_dual_fmac_f32 v13, v33, v38 :: v_dual_add_nc_u32 v10, 2, v29
	v_add_co_u32 v29, vcc_lo, s8, v43
	s_wait_alu 0xfffd
	v_add_co_ci_u32_e64 v30, null, s9, v44, vcc_lo
	s_delay_alu instid0(VALU_DEP_4)
	v_add_co_u32 v45, vcc_lo, s8, v45
	s_wait_alu 0xfffd
	v_add_co_ci_u32_e64 v46, null, s9, v46, vcc_lo
	global_load_b64 v[41:42], v[41:42], off
	v_lshlrev_b64_e32 v[43:44], 3, v[10:11]
	v_fma_f32 v7, -v26, v38, v17
	global_load_b64 v[45:46], v[45:46], off
	v_add_nc_u32_e32 v10, -6, v8
	v_fmac_f32_e32 v20, v23, v37
	global_load_b64 v[29:30], v[29:30], off
	s_wait_loadcnt 0x3
	v_fmac_f32_e32 v7, v27, v39
	v_add_co_u32 v43, vcc_lo, s10, v43
	v_lshlrev_b64_e32 v[47:48], 3, v[10:11]
	s_wait_alu 0xfffd
	v_add_co_ci_u32_e64 v44, null, s11, v44, vcc_lo
	v_add_nc_u32_e32 v6, 8, v6
	v_fma_f32 v7, -v28, v40, v7
	v_fma_f32 v19, -v32, v38, v19
	v_add_co_u32 v47, vcc_lo, s8, v47
	s_wait_alu 0xfffd
	v_add_co_ci_u32_e64 v48, null, s9, v48, vcc_lo
	global_load_b64 v[43:44], v[43:44], off
	s_wait_loadcnt 0x3
	v_dual_fmac_f32 v14, v32, v37 :: v_dual_fmac_f32 v15, v42, v39
	v_fmac_f32_e32 v12, v26, v37
	s_wait_loadcnt 0x2
	v_fmac_f32_e32 v13, v46, v39
	v_fma_f32 v17, -v24, v38, v20
	v_add_nc_u32_e32 v10, -3, v8
	v_fmac_f32_e32 v15, v41, v40
	s_wait_loadcnt 0x1
	v_dual_fmac_f32 v19, v29, v39 :: v_dual_add_nc_u32 v8, 0x60, v8
	v_fmac_f32_e32 v17, v41, v39
	v_lshlrev_b64_e32 v[9:10], 3, v[10:11]
	v_fmac_f32_e32 v13, v45, v40
	s_delay_alu instid0(VALU_DEP_4) | instskip(NEXT) | instid1(VALU_DEP_4)
	v_fma_f32 v19, -v30, v40, v19
	v_fma_f32 v20, -v42, v40, v17
	s_delay_alu instid0(VALU_DEP_4)
	v_add_co_u32 v9, vcc_lo, s8, v9
	s_wait_alu 0xfffd
	v_add_co_ci_u32_e64 v10, null, s9, v10, vcc_lo
	s_clause 0x2
	global_load_b64 v[47:48], v[47:48], off
	global_load_b64 v[9:10], v[9:10], off
	;; [unrolled: 1-line block ×3, first 2 shown]
	v_fmac_f32_e32 v18, v33, v37
	v_fmac_f32_e32 v12, v25, v38
	s_wait_loadcnt 0x3
	v_dual_fmac_f32 v7, v21, v43 :: v_dual_fmac_f32 v14, v31, v38
	v_cmp_ge_i32_e32 vcc_lo, v6, v16
	s_delay_alu instid0(VALU_DEP_2)
	v_fma_f32 v17, -v22, v44, v7
	s_wait_alu 0xfffe
	s_or_b32 s2, vcc_lo, s2
	s_wait_loadcnt 0x2
	v_fmac_f32_e32 v15, v48, v43
	v_fma_f32 v18, -v34, v38, v18
	s_wait_loadcnt 0x0
	v_fmac_f32_e32 v13, v36, v43
	v_fmac_f32_e32 v12, v28, v39
	v_dual_fmac_f32 v14, v30, v39 :: v_dual_fmac_f32 v15, v47, v44
	s_delay_alu instid0(VALU_DEP_3) | instskip(NEXT) | instid1(VALU_DEP_3)
	v_dual_fmac_f32 v18, v45, v39 :: v_dual_fmac_f32 v13, v35, v44
	v_dual_fmac_f32 v12, v27, v40 :: v_dual_fmac_f32 v19, v9, v43
	s_delay_alu instid0(VALU_DEP_3) | instskip(NEXT) | instid1(VALU_DEP_3)
	v_fmac_f32_e32 v14, v29, v40
	v_fma_f32 v18, -v46, v40, v18
	v_fmac_f32_e32 v20, v47, v43
	s_delay_alu instid0(VALU_DEP_4)
	v_fmac_f32_e32 v12, v22, v43
	v_fma_f32 v19, -v10, v44, v19
	v_fmac_f32_e32 v14, v10, v43
	v_fmac_f32_e32 v18, v35, v43
	v_fma_f32 v20, -v48, v44, v20
	v_fmac_f32_e32 v12, v21, v44
	s_delay_alu instid0(VALU_DEP_4) | instskip(NEXT) | instid1(VALU_DEP_4)
	v_fmac_f32_e32 v14, v9, v44
	v_fma_f32 v18, -v36, v44, v18
	s_wait_alu 0xfffe
	s_and_not1_b32 exec_lo, exec_lo, s2
	s_cbranch_execnz .LBB85_13
; %bb.14:
	s_or_b32 exec_lo, exec_lo, s2
.LBB85_15:
	s_wait_alu 0xfffe
	s_or_b32 exec_lo, exec_lo, s3
.LBB85_16:
	v_mbcnt_lo_u32_b32 v6, -1, 0
	s_delay_alu instid0(VALU_DEP_1) | instskip(SKIP_1) | instid1(VALU_DEP_2)
	v_xor_b32_e32 v7, 4, v6
	v_xor_b32_e32 v23, 2, v6
	v_cmp_gt_i32_e32 vcc_lo, 32, v7
	s_wait_alu 0xfffd
	v_cndmask_b32_e32 v7, v6, v7, vcc_lo
	s_delay_alu instid0(VALU_DEP_3) | instskip(NEXT) | instid1(VALU_DEP_2)
	v_cmp_gt_i32_e32 vcc_lo, 32, v23
	v_lshlrev_b32_e32 v7, 2, v7
	ds_bpermute_b32 v9, v7, v12
	ds_bpermute_b32 v10, v7, v20
	s_wait_dscnt 0x1
	v_add_f32_e32 v9, v12, v9
	s_wait_dscnt 0x0
	v_add_f32_e32 v12, v20, v10
	ds_bpermute_b32 v8, v7, v17
	ds_bpermute_b32 v16, v7, v19
	ds_bpermute_b32 v11, v7, v15
	ds_bpermute_b32 v21, v7, v14
	ds_bpermute_b32 v22, v7, v18
	ds_bpermute_b32 v7, v7, v13
	s_wait_dscnt 0x5
	s_wait_alu 0xfffd
	v_dual_cndmask_b32 v23, v6, v23 :: v_dual_add_f32 v8, v17, v8
	s_wait_dscnt 0x4
	s_delay_alu instid0(VALU_DEP_1)
	v_dual_add_f32 v16, v19, v16 :: v_dual_lshlrev_b32 v23, 2, v23
	s_wait_dscnt 0x0
	v_dual_add_f32 v18, v18, v22 :: v_dual_add_f32 v19, v13, v7
	ds_bpermute_b32 v7, v23, v8
	v_add_f32_e32 v17, v14, v21
	ds_bpermute_b32 v14, v23, v16
	ds_bpermute_b32 v10, v23, v9
	v_add_f32_e32 v15, v15, v11
	ds_bpermute_b32 v11, v23, v12
	ds_bpermute_b32 v20, v23, v17
	;; [unrolled: 1-line block ×4, first 2 shown]
	s_wait_dscnt 0x5
	v_add_f32_e32 v14, v16, v14
	ds_bpermute_b32 v22, v23, v19
	v_xor_b32_e32 v23, 1, v6
	s_wait_dscnt 0x4
	v_add_f32_e32 v11, v12, v11
	s_delay_alu instid0(VALU_DEP_2)
	v_cmp_gt_i32_e32 vcc_lo, 32, v23
	s_wait_alu 0xfffd
	v_cndmask_b32_e32 v6, v6, v23, vcc_lo
	s_wait_dscnt 0x1
	v_dual_add_f32 v10, v9, v10 :: v_dual_add_f32 v13, v15, v13
	v_cmp_eq_u32_e32 vcc_lo, 7, v0
	s_delay_alu instid0(VALU_DEP_3)
	v_dual_add_f32 v6, v8, v7 :: v_dual_lshlrev_b32 v23, 2, v6
	v_add_f32_e32 v15, v17, v20
	v_add_f32_e32 v7, v18, v21
	s_wait_dscnt 0x0
	v_add_f32_e32 v9, v19, v22
	ds_bpermute_b32 v12, v23, v10
	ds_bpermute_b32 v8, v23, v6
	;; [unrolled: 1-line block ×8, first 2 shown]
	s_and_b32 exec_lo, exec_lo, vcc_lo
	s_cbranch_execz .LBB85_21
; %bb.17:
	s_load_b64 s[2:3], s[0:1], 0x38
	v_cmp_eq_f32_e32 vcc_lo, 0, v3
	v_cmp_eq_f32_e64 s0, 0, v4
	s_wait_dscnt 0x6
	v_add_f32_e32 v8, v6, v8
	s_wait_dscnt 0x0
	v_dual_add_f32 v12, v10, v12 :: v_dual_add_f32 v9, v9, v17
	v_dual_add_f32 v0, v11, v18 :: v_dual_add_f32 v11, v13, v19
	v_add_f32_e32 v6, v14, v20
	v_add_f32_e32 v10, v15, v21
	;; [unrolled: 1-line block ×3, first 2 shown]
	s_and_b32 s0, vcc_lo, s0
	s_wait_alu 0xfffe
	s_and_saveexec_b32 s1, s0
	s_wait_alu 0xfffe
	s_xor_b32 s0, exec_lo, s1
	s_cbranch_execz .LBB85_19
; %bb.18:
	v_dual_mul_f32 v14, v1, v12 :: v_dual_lshlrev_b32 v3, 2, v5
	v_mul_f32_e64 v13, v12, -v2
	v_mul_f32_e64 v15, v11, -v2
	v_mul_f32_e32 v16, v1, v11
	s_delay_alu instid0(VALU_DEP_4)
	v_ashrrev_i32_e32 v4, 31, v3
	v_mul_f32_e64 v17, v10, -v2
	v_mul_f32_e32 v18, v1, v10
	v_mul_f32_e64 v19, v9, -v2
	v_mul_f32_e32 v20, v1, v9
	v_lshlrev_b64_e32 v[3:4], 3, v[3:4]
	s_delay_alu instid0(VALU_DEP_4) | instskip(SKIP_1) | instid1(VALU_DEP_4)
	v_dual_fmac_f32 v13, v1, v8 :: v_dual_fmac_f32 v18, v2, v6
	v_dual_fmac_f32 v14, v2, v8 :: v_dual_fmac_f32 v17, v1, v6
	;; [unrolled: 1-line block ×3, first 2 shown]
	s_wait_kmcnt 0x0
	s_delay_alu instid0(VALU_DEP_4)
	v_add_co_u32 v3, vcc_lo, s2, v3
	s_wait_alu 0xfffd
	v_add_co_ci_u32_e64 v4, null, s3, v4, vcc_lo
	v_dual_fmac_f32 v16, v2, v0 :: v_dual_fmac_f32 v19, v1, v7
	s_clause 0x1
	global_store_b128 v[3:4], v[13:16], off
	global_store_b128 v[3:4], v[17:20], off offset:16
                                        ; implicit-def: $vgpr5
                                        ; implicit-def: $vgpr8
                                        ; implicit-def: $vgpr12
                                        ; implicit-def: $vgpr0
                                        ; implicit-def: $vgpr11
                                        ; implicit-def: $vgpr6
                                        ; implicit-def: $vgpr10
                                        ; implicit-def: $vgpr7
                                        ; implicit-def: $vgpr9
                                        ; implicit-def: $vgpr1_vgpr2
                                        ; implicit-def: $vgpr3_vgpr4
.LBB85_19:
	s_wait_alu 0xfffe
	s_and_not1_saveexec_b32 s0, s0
	s_cbranch_execz .LBB85_21
; %bb.20:
	v_dual_mul_f32 v22, v1, v12 :: v_dual_lshlrev_b32 v13, 2, v5
	v_mul_f32_e64 v5, v12, -v2
	v_mul_f32_e64 v23, v11, -v2
	;; [unrolled: 1-line block ×3, first 2 shown]
	s_delay_alu instid0(VALU_DEP_4) | instskip(NEXT) | instid1(VALU_DEP_4)
	v_ashrrev_i32_e32 v14, 31, v13
	v_fmac_f32_e32 v5, v1, v8
	s_delay_alu instid0(VALU_DEP_2) | instskip(SKIP_1) | instid1(VALU_DEP_1)
	v_lshlrev_b64_e32 v[13:14], 3, v[13:14]
	s_wait_kmcnt 0x0
	v_add_co_u32 v25, vcc_lo, s2, v13
	s_wait_alu 0xfffd
	s_delay_alu instid0(VALU_DEP_2)
	v_add_co_ci_u32_e64 v26, null, s3, v14, vcc_lo
	s_clause 0x1
	global_load_b128 v[13:16], v[25:26], off
	global_load_b128 v[17:20], v[25:26], off offset:16
	v_mul_f32_e32 v24, v1, v11
	v_mul_f32_e64 v11, v10, -v2
	s_delay_alu instid0(VALU_DEP_1) | instskip(SKIP_1) | instid1(VALU_DEP_1)
	v_dual_fmac_f32 v22, v2, v8 :: v_dual_fmac_f32 v11, v1, v6
	s_wait_loadcnt 0x1
	v_dual_fmac_f32 v27, v1, v7 :: v_dual_fmac_f32 v22, v4, v13
	s_wait_loadcnt 0x0
	s_delay_alu instid0(VALU_DEP_1) | instskip(SKIP_3) | instid1(VALU_DEP_4)
	v_dual_mul_f32 v12, v1, v9 :: v_dual_fmac_f32 v27, v3, v19
	v_fmac_f32_e32 v23, v1, v0
	v_fmac_f32_e32 v11, v3, v17
	;; [unrolled: 1-line block ×4, first 2 shown]
	s_delay_alu instid0(VALU_DEP_4) | instskip(NEXT) | instid1(VALU_DEP_4)
	v_dual_mul_f32 v10, v1, v10 :: v_dual_fmac_f32 v23, v3, v15
	v_fma_f32 v9, -v4, v18, v11
	v_fma_f32 v11, -v4, v20, v27
	s_delay_alu instid0(VALU_DEP_4) | instskip(NEXT) | instid1(VALU_DEP_4)
	v_fmac_f32_e32 v12, v4, v19
	v_dual_fmac_f32 v10, v2, v6 :: v_dual_fmac_f32 v5, v3, v13
	v_fmac_f32_e32 v24, v2, v0
	v_fma_f32 v23, -v4, v16, v23
	s_delay_alu instid0(VALU_DEP_4) | instskip(NEXT) | instid1(VALU_DEP_4)
	v_fmac_f32_e32 v12, v3, v20
	v_fmac_f32_e32 v10, v4, v17
	v_fma_f32 v21, -v4, v14, v5
	v_fmac_f32_e32 v24, v4, v15
	s_delay_alu instid0(VALU_DEP_3) | instskip(NEXT) | instid1(VALU_DEP_2)
	v_fmac_f32_e32 v10, v3, v18
	v_fmac_f32_e32 v24, v3, v16
	s_clause 0x1
	global_store_b128 v[25:26], v[21:24], off
	global_store_b128 v[25:26], v[9:12], off offset:16
.LBB85_21:
	s_endpgm
	.section	.rodata,"a",@progbits
	.p2align	6, 0x0
	.amdhsa_kernel _ZN9rocsparseL19gebsrmvn_4xn_kernelILj128ELj3ELj8E21rocsparse_complex_numIfEEEvi20rocsparse_direction_NS_24const_host_device_scalarIT2_EEPKiS8_PKS5_SA_S6_PS5_21rocsparse_index_base_b
		.amdhsa_group_segment_fixed_size 0
		.amdhsa_private_segment_fixed_size 0
		.amdhsa_kernarg_size 72
		.amdhsa_user_sgpr_count 2
		.amdhsa_user_sgpr_dispatch_ptr 0
		.amdhsa_user_sgpr_queue_ptr 0
		.amdhsa_user_sgpr_kernarg_segment_ptr 1
		.amdhsa_user_sgpr_dispatch_id 0
		.amdhsa_user_sgpr_private_segment_size 0
		.amdhsa_wavefront_size32 1
		.amdhsa_uses_dynamic_stack 0
		.amdhsa_enable_private_segment 0
		.amdhsa_system_sgpr_workgroup_id_x 1
		.amdhsa_system_sgpr_workgroup_id_y 0
		.amdhsa_system_sgpr_workgroup_id_z 0
		.amdhsa_system_sgpr_workgroup_info 0
		.amdhsa_system_vgpr_workitem_id 0
		.amdhsa_next_free_vgpr 51
		.amdhsa_next_free_sgpr 14
		.amdhsa_reserve_vcc 1
		.amdhsa_float_round_mode_32 0
		.amdhsa_float_round_mode_16_64 0
		.amdhsa_float_denorm_mode_32 3
		.amdhsa_float_denorm_mode_16_64 3
		.amdhsa_fp16_overflow 0
		.amdhsa_workgroup_processor_mode 1
		.amdhsa_memory_ordered 1
		.amdhsa_forward_progress 1
		.amdhsa_inst_pref_size 25
		.amdhsa_round_robin_scheduling 0
		.amdhsa_exception_fp_ieee_invalid_op 0
		.amdhsa_exception_fp_denorm_src 0
		.amdhsa_exception_fp_ieee_div_zero 0
		.amdhsa_exception_fp_ieee_overflow 0
		.amdhsa_exception_fp_ieee_underflow 0
		.amdhsa_exception_fp_ieee_inexact 0
		.amdhsa_exception_int_div_zero 0
	.end_amdhsa_kernel
	.section	.text._ZN9rocsparseL19gebsrmvn_4xn_kernelILj128ELj3ELj8E21rocsparse_complex_numIfEEEvi20rocsparse_direction_NS_24const_host_device_scalarIT2_EEPKiS8_PKS5_SA_S6_PS5_21rocsparse_index_base_b,"axG",@progbits,_ZN9rocsparseL19gebsrmvn_4xn_kernelILj128ELj3ELj8E21rocsparse_complex_numIfEEEvi20rocsparse_direction_NS_24const_host_device_scalarIT2_EEPKiS8_PKS5_SA_S6_PS5_21rocsparse_index_base_b,comdat
.Lfunc_end85:
	.size	_ZN9rocsparseL19gebsrmvn_4xn_kernelILj128ELj3ELj8E21rocsparse_complex_numIfEEEvi20rocsparse_direction_NS_24const_host_device_scalarIT2_EEPKiS8_PKS5_SA_S6_PS5_21rocsparse_index_base_b, .Lfunc_end85-_ZN9rocsparseL19gebsrmvn_4xn_kernelILj128ELj3ELj8E21rocsparse_complex_numIfEEEvi20rocsparse_direction_NS_24const_host_device_scalarIT2_EEPKiS8_PKS5_SA_S6_PS5_21rocsparse_index_base_b
                                        ; -- End function
	.set _ZN9rocsparseL19gebsrmvn_4xn_kernelILj128ELj3ELj8E21rocsparse_complex_numIfEEEvi20rocsparse_direction_NS_24const_host_device_scalarIT2_EEPKiS8_PKS5_SA_S6_PS5_21rocsparse_index_base_b.num_vgpr, 51
	.set _ZN9rocsparseL19gebsrmvn_4xn_kernelILj128ELj3ELj8E21rocsparse_complex_numIfEEEvi20rocsparse_direction_NS_24const_host_device_scalarIT2_EEPKiS8_PKS5_SA_S6_PS5_21rocsparse_index_base_b.num_agpr, 0
	.set _ZN9rocsparseL19gebsrmvn_4xn_kernelILj128ELj3ELj8E21rocsparse_complex_numIfEEEvi20rocsparse_direction_NS_24const_host_device_scalarIT2_EEPKiS8_PKS5_SA_S6_PS5_21rocsparse_index_base_b.numbered_sgpr, 14
	.set _ZN9rocsparseL19gebsrmvn_4xn_kernelILj128ELj3ELj8E21rocsparse_complex_numIfEEEvi20rocsparse_direction_NS_24const_host_device_scalarIT2_EEPKiS8_PKS5_SA_S6_PS5_21rocsparse_index_base_b.num_named_barrier, 0
	.set _ZN9rocsparseL19gebsrmvn_4xn_kernelILj128ELj3ELj8E21rocsparse_complex_numIfEEEvi20rocsparse_direction_NS_24const_host_device_scalarIT2_EEPKiS8_PKS5_SA_S6_PS5_21rocsparse_index_base_b.private_seg_size, 0
	.set _ZN9rocsparseL19gebsrmvn_4xn_kernelILj128ELj3ELj8E21rocsparse_complex_numIfEEEvi20rocsparse_direction_NS_24const_host_device_scalarIT2_EEPKiS8_PKS5_SA_S6_PS5_21rocsparse_index_base_b.uses_vcc, 1
	.set _ZN9rocsparseL19gebsrmvn_4xn_kernelILj128ELj3ELj8E21rocsparse_complex_numIfEEEvi20rocsparse_direction_NS_24const_host_device_scalarIT2_EEPKiS8_PKS5_SA_S6_PS5_21rocsparse_index_base_b.uses_flat_scratch, 0
	.set _ZN9rocsparseL19gebsrmvn_4xn_kernelILj128ELj3ELj8E21rocsparse_complex_numIfEEEvi20rocsparse_direction_NS_24const_host_device_scalarIT2_EEPKiS8_PKS5_SA_S6_PS5_21rocsparse_index_base_b.has_dyn_sized_stack, 0
	.set _ZN9rocsparseL19gebsrmvn_4xn_kernelILj128ELj3ELj8E21rocsparse_complex_numIfEEEvi20rocsparse_direction_NS_24const_host_device_scalarIT2_EEPKiS8_PKS5_SA_S6_PS5_21rocsparse_index_base_b.has_recursion, 0
	.set _ZN9rocsparseL19gebsrmvn_4xn_kernelILj128ELj3ELj8E21rocsparse_complex_numIfEEEvi20rocsparse_direction_NS_24const_host_device_scalarIT2_EEPKiS8_PKS5_SA_S6_PS5_21rocsparse_index_base_b.has_indirect_call, 0
	.section	.AMDGPU.csdata,"",@progbits
; Kernel info:
; codeLenInByte = 3116
; TotalNumSgprs: 16
; NumVgprs: 51
; ScratchSize: 0
; MemoryBound: 0
; FloatMode: 240
; IeeeMode: 1
; LDSByteSize: 0 bytes/workgroup (compile time only)
; SGPRBlocks: 0
; VGPRBlocks: 6
; NumSGPRsForWavesPerEU: 16
; NumVGPRsForWavesPerEU: 51
; Occupancy: 16
; WaveLimiterHint : 1
; COMPUTE_PGM_RSRC2:SCRATCH_EN: 0
; COMPUTE_PGM_RSRC2:USER_SGPR: 2
; COMPUTE_PGM_RSRC2:TRAP_HANDLER: 0
; COMPUTE_PGM_RSRC2:TGID_X_EN: 1
; COMPUTE_PGM_RSRC2:TGID_Y_EN: 0
; COMPUTE_PGM_RSRC2:TGID_Z_EN: 0
; COMPUTE_PGM_RSRC2:TIDIG_COMP_CNT: 0
	.section	.text._ZN9rocsparseL19gebsrmvn_4xn_kernelILj128ELj3ELj16E21rocsparse_complex_numIfEEEvi20rocsparse_direction_NS_24const_host_device_scalarIT2_EEPKiS8_PKS5_SA_S6_PS5_21rocsparse_index_base_b,"axG",@progbits,_ZN9rocsparseL19gebsrmvn_4xn_kernelILj128ELj3ELj16E21rocsparse_complex_numIfEEEvi20rocsparse_direction_NS_24const_host_device_scalarIT2_EEPKiS8_PKS5_SA_S6_PS5_21rocsparse_index_base_b,comdat
	.globl	_ZN9rocsparseL19gebsrmvn_4xn_kernelILj128ELj3ELj16E21rocsparse_complex_numIfEEEvi20rocsparse_direction_NS_24const_host_device_scalarIT2_EEPKiS8_PKS5_SA_S6_PS5_21rocsparse_index_base_b ; -- Begin function _ZN9rocsparseL19gebsrmvn_4xn_kernelILj128ELj3ELj16E21rocsparse_complex_numIfEEEvi20rocsparse_direction_NS_24const_host_device_scalarIT2_EEPKiS8_PKS5_SA_S6_PS5_21rocsparse_index_base_b
	.p2align	8
	.type	_ZN9rocsparseL19gebsrmvn_4xn_kernelILj128ELj3ELj16E21rocsparse_complex_numIfEEEvi20rocsparse_direction_NS_24const_host_device_scalarIT2_EEPKiS8_PKS5_SA_S6_PS5_21rocsparse_index_base_b,@function
_ZN9rocsparseL19gebsrmvn_4xn_kernelILj128ELj3ELj16E21rocsparse_complex_numIfEEEvi20rocsparse_direction_NS_24const_host_device_scalarIT2_EEPKiS8_PKS5_SA_S6_PS5_21rocsparse_index_base_b: ; @_ZN9rocsparseL19gebsrmvn_4xn_kernelILj128ELj3ELj16E21rocsparse_complex_numIfEEEvi20rocsparse_direction_NS_24const_host_device_scalarIT2_EEPKiS8_PKS5_SA_S6_PS5_21rocsparse_index_base_b
; %bb.0:
	s_clause 0x2
	s_load_b64 s[12:13], s[0:1], 0x40
	s_load_b64 s[2:3], s[0:1], 0x8
	;; [unrolled: 1-line block ×3, first 2 shown]
	s_add_nc_u64 s[6:7], s[0:1], 8
	s_wait_kmcnt 0x0
	s_bitcmp1_b32 s13, 0
	s_cselect_b32 s2, s6, s2
	s_cselect_b32 s3, s7, s3
	s_delay_alu instid0(SALU_CYCLE_1)
	v_dual_mov_b32 v1, s2 :: v_dual_mov_b32 v2, s3
	s_add_nc_u64 s[2:3], s[0:1], 48
	s_wait_alu 0xfffe
	s_cselect_b32 s2, s2, s4
	s_cselect_b32 s3, s3, s5
	flat_load_b64 v[1:2], v[1:2]
	s_wait_alu 0xfffe
	v_dual_mov_b32 v3, s2 :: v_dual_mov_b32 v4, s3
	flat_load_b64 v[3:4], v[3:4]
	s_wait_loadcnt_dscnt 0x101
	v_cmp_eq_f32_e32 vcc_lo, 0, v1
	v_cmp_eq_f32_e64 s2, 0, v2
	s_and_b32 s4, vcc_lo, s2
	s_mov_b32 s2, -1
	s_and_saveexec_b32 s3, s4
	s_cbranch_execz .LBB86_2
; %bb.1:
	s_wait_loadcnt_dscnt 0x0
	v_cmp_neq_f32_e32 vcc_lo, 1.0, v3
	v_cmp_neq_f32_e64 s2, 0, v4
	s_wait_alu 0xfffe
	s_or_b32 s2, vcc_lo, s2
	s_wait_alu 0xfffe
	s_or_not1_b32 s2, s2, exec_lo
.LBB86_2:
	s_wait_alu 0xfffe
	s_or_b32 exec_lo, exec_lo, s3
	s_and_saveexec_b32 s3, s2
	s_cbranch_execz .LBB86_21
; %bb.3:
	s_load_b64 s[2:3], s[0:1], 0x0
	v_lshrrev_b32_e32 v5, 4, v0
	s_delay_alu instid0(VALU_DEP_1) | instskip(SKIP_1) | instid1(VALU_DEP_1)
	v_lshl_or_b32 v5, ttmp9, 3, v5
	s_wait_kmcnt 0x0
	v_cmp_gt_i32_e32 vcc_lo, s2, v5
	s_and_b32 exec_lo, exec_lo, vcc_lo
	s_cbranch_execz .LBB86_21
; %bb.4:
	s_load_b256 s[4:11], s[0:1], 0x10
	v_ashrrev_i32_e32 v6, 31, v5
	v_and_b32_e32 v0, 15, v0
	s_cmp_lg_u32 s3, 0
	s_delay_alu instid0(VALU_DEP_2) | instskip(SKIP_1) | instid1(VALU_DEP_1)
	v_lshlrev_b64_e32 v[6:7], 2, v[5:6]
	s_wait_kmcnt 0x0
	v_add_co_u32 v6, vcc_lo, s4, v6
	s_delay_alu instid0(VALU_DEP_1) | instskip(SKIP_4) | instid1(VALU_DEP_2)
	v_add_co_ci_u32_e64 v7, null, s5, v7, vcc_lo
	global_load_b64 v[6:7], v[6:7], off
	s_wait_loadcnt 0x0
	v_subrev_nc_u32_e32 v6, s12, v6
	v_subrev_nc_u32_e32 v19, s12, v7
	v_add_nc_u32_e32 v6, v6, v0
	s_delay_alu instid0(VALU_DEP_1)
	v_cmp_lt_i32_e64 s2, v6, v19
	s_cbranch_scc0 .LBB86_10
; %bb.5:
	v_dual_mov_b32 v12, 0 :: v_dual_mov_b32 v17, 0
	v_dual_mov_b32 v16, 0 :: v_dual_mov_b32 v13, 0
	;; [unrolled: 1-line block ×3, first 2 shown]
	v_mov_b32_e32 v14, 0
	v_mov_b32_e32 v20, 0
	s_and_saveexec_b32 s3, s2
	s_cbranch_execz .LBB86_9
; %bb.6:
	v_dual_mov_b32 v8, 0 :: v_dual_mov_b32 v9, v6
	v_mul_lo_u32 v7, v6, 12
	s_mov_b32 s4, 0
	s_delay_alu instid0(VALU_DEP_2)
	v_dual_mov_b32 v12, v8 :: v_dual_mov_b32 v17, v8
	v_dual_mov_b32 v16, v8 :: v_dual_mov_b32 v13, v8
	;; [unrolled: 1-line block ×3, first 2 shown]
	v_mov_b32_e32 v14, v8
	v_mov_b32_e32 v20, v8
.LBB86_7:                               ; =>This Inner Loop Header: Depth=1
	v_ashrrev_i32_e32 v10, 31, v9
	v_dual_mov_b32 v22, v8 :: v_dual_add_nc_u32 v21, 4, v7
	v_dual_mov_b32 v24, v8 :: v_dual_add_nc_u32 v23, 8, v7
	s_delay_alu instid0(VALU_DEP_3) | instskip(SKIP_1) | instid1(VALU_DEP_4)
	v_lshlrev_b64_e32 v[10:11], 2, v[9:10]
	v_mov_b32_e32 v50, v8
	v_lshlrev_b64_e32 v[21:22], 3, v[21:22]
	s_delay_alu instid0(VALU_DEP_4) | instskip(NEXT) | instid1(VALU_DEP_4)
	v_lshlrev_b64_e32 v[23:24], 3, v[23:24]
	v_add_co_u32 v10, vcc_lo, s6, v10
	s_wait_alu 0xfffd
	v_add_co_ci_u32_e64 v11, null, s7, v11, vcc_lo
	global_load_b32 v45, v[10:11], off
	v_lshlrev_b64_e32 v[10:11], 3, v[7:8]
	v_add_nc_u32_e32 v7, 0xc0, v7
	s_delay_alu instid0(VALU_DEP_2) | instskip(SKIP_1) | instid1(VALU_DEP_3)
	v_add_co_u32 v10, vcc_lo, s8, v10
	s_wait_alu 0xfffd
	v_add_co_ci_u32_e64 v11, null, s9, v11, vcc_lo
	v_add_co_u32 v33, vcc_lo, s8, v21
	s_wait_alu 0xfffd
	v_add_co_ci_u32_e64 v34, null, s9, v22, vcc_lo
	;; [unrolled: 3-line block ×3, first 2 shown]
	s_clause 0x5
	global_load_b128 v[21:24], v[10:11], off offset:16
	global_load_b128 v[25:28], v[10:11], off
	global_load_b128 v[29:32], v[33:34], off offset:16
	global_load_b128 v[33:36], v[33:34], off
	;; [unrolled: 2-line block ×3, first 2 shown]
	s_wait_loadcnt 0x6
	v_subrev_nc_u32_e32 v10, s12, v45
	s_delay_alu instid0(VALU_DEP_1) | instskip(SKIP_1) | instid1(VALU_DEP_2)
	v_lshl_add_u32 v45, v10, 1, v10
	v_mov_b32_e32 v46, v8
	v_dual_mov_b32 v48, v8 :: v_dual_add_nc_u32 v49, 2, v45
	v_add_nc_u32_e32 v47, 1, v45
	s_delay_alu instid0(VALU_DEP_3) | instskip(NEXT) | instid1(VALU_DEP_2)
	v_lshlrev_b64_e32 v[10:11], 3, v[45:46]
	v_lshlrev_b64_e32 v[45:46], 3, v[47:48]
	s_delay_alu instid0(VALU_DEP_4) | instskip(NEXT) | instid1(VALU_DEP_3)
	v_lshlrev_b64_e32 v[47:48], 3, v[49:50]
	v_add_co_u32 v10, vcc_lo, s10, v10
	s_wait_alu 0xfffd
	s_delay_alu instid0(VALU_DEP_4) | instskip(NEXT) | instid1(VALU_DEP_4)
	v_add_co_ci_u32_e64 v11, null, s11, v11, vcc_lo
	v_add_co_u32 v45, vcc_lo, s10, v45
	s_wait_alu 0xfffd
	v_add_co_ci_u32_e64 v46, null, s11, v46, vcc_lo
	global_load_b64 v[10:11], v[10:11], off
	v_add_co_u32 v47, vcc_lo, s10, v47
	s_wait_alu 0xfffd
	v_add_co_ci_u32_e64 v48, null, s11, v48, vcc_lo
	s_clause 0x1
	global_load_b64 v[45:46], v[45:46], off
	global_load_b64 v[47:48], v[47:48], off
	s_wait_loadcnt 0x2
	v_dual_fmac_f32 v16, v25, v10 :: v_dual_add_nc_u32 v9, 16, v9
	v_fmac_f32_e32 v15, v28, v10
	v_fmac_f32_e32 v12, v26, v10
	v_fmac_f32_e32 v17, v23, v10
	v_fmac_f32_e32 v13, v24, v10
	s_delay_alu instid0(VALU_DEP_4)
	v_dual_fmac_f32 v18, v21, v10 :: v_dual_fmac_f32 v15, v27, v11
	v_fmac_f32_e32 v20, v27, v10
	v_fmac_f32_e32 v12, v25, v11
	v_fma_f32 v17, -v24, v11, v17
	v_fmac_f32_e32 v14, v22, v10
	v_fma_f32 v10, -v26, v11, v16
	s_wait_loadcnt 0x1
	v_fmac_f32_e32 v15, v36, v45
	v_fma_f32 v16, -v28, v11, v20
	v_fmac_f32_e32 v12, v34, v45
	v_dual_fmac_f32 v17, v31, v45 :: v_dual_fmac_f32 v14, v21, v11
	v_dual_fmac_f32 v10, v33, v45 :: v_dual_fmac_f32 v13, v23, v11
	v_fma_f32 v18, -v22, v11, v18
	v_fmac_f32_e32 v15, v35, v46
	v_fmac_f32_e32 v16, v35, v45
	s_delay_alu instid0(VALU_DEP_4) | instskip(SKIP_1) | instid1(VALU_DEP_3)
	v_dual_fmac_f32 v12, v33, v46 :: v_dual_fmac_f32 v13, v32, v45
	s_wait_loadcnt 0x0
	v_dual_fmac_f32 v18, v29, v45 :: v_dual_fmac_f32 v15, v44, v47
	s_delay_alu instid0(VALU_DEP_3)
	v_fma_f32 v11, -v36, v46, v16
	v_fmac_f32_e32 v14, v30, v45
	v_fma_f32 v10, -v34, v46, v10
	v_fma_f32 v17, -v32, v46, v17
	v_fmac_f32_e32 v13, v31, v46
	v_fma_f32 v18, -v30, v46, v18
	v_dual_fmac_f32 v11, v43, v47 :: v_dual_fmac_f32 v14, v29, v46
	s_delay_alu instid0(VALU_DEP_4) | instskip(SKIP_1) | instid1(VALU_DEP_4)
	v_fmac_f32_e32 v17, v39, v47
	v_dual_fmac_f32 v10, v41, v47 :: v_dual_fmac_f32 v15, v43, v48
	v_fmac_f32_e32 v18, v37, v47
	s_delay_alu instid0(VALU_DEP_4)
	v_fmac_f32_e32 v14, v38, v47
	v_fmac_f32_e32 v13, v40, v47
	;; [unrolled: 1-line block ×3, first 2 shown]
	v_cmp_ge_i32_e32 vcc_lo, v9, v19
	v_fma_f32 v16, -v42, v48, v10
	v_fma_f32 v20, -v44, v48, v11
	;; [unrolled: 1-line block ×3, first 2 shown]
	v_fmac_f32_e32 v14, v37, v48
	v_fma_f32 v17, -v40, v48, v17
	v_fmac_f32_e32 v13, v39, v48
	v_fmac_f32_e32 v12, v41, v48
	s_wait_alu 0xfffe
	s_or_b32 s4, vcc_lo, s4
	s_wait_alu 0xfffe
	s_and_not1_b32 exec_lo, exec_lo, s4
	s_cbranch_execnz .LBB86_7
; %bb.8:
	s_or_b32 exec_lo, exec_lo, s4
.LBB86_9:
	s_wait_alu 0xfffe
	s_or_b32 exec_lo, exec_lo, s3
	s_cbranch_execz .LBB86_11
	s_branch .LBB86_16
.LBB86_10:
                                        ; implicit-def: $vgpr12
                                        ; implicit-def: $vgpr16
                                        ; implicit-def: $vgpr17
                                        ; implicit-def: $vgpr13
                                        ; implicit-def: $vgpr18
                                        ; implicit-def: $vgpr14
                                        ; implicit-def: $vgpr20
                                        ; implicit-def: $vgpr15
.LBB86_11:
	v_dual_mov_b32 v12, 0 :: v_dual_mov_b32 v17, 0
	v_dual_mov_b32 v16, 0 :: v_dual_mov_b32 v13, 0
	v_dual_mov_b32 v18, 0 :: v_dual_mov_b32 v15, 0
	v_mov_b32_e32 v14, 0
	v_mov_b32_e32 v20, 0
	s_and_saveexec_b32 s3, s2
	s_cbranch_execz .LBB86_15
; %bb.12:
	v_mad_co_u64_u32 v[8:9], null, v6, 12, 11
	v_dual_mov_b32 v11, 0 :: v_dual_mov_b32 v12, 0
	v_dual_mov_b32 v16, 0 :: v_dual_mov_b32 v17, 0
	;; [unrolled: 1-line block ×4, first 2 shown]
	v_mov_b32_e32 v20, 0
	s_mov_b32 s2, 0
.LBB86_13:                              ; =>This Inner Loop Header: Depth=1
	v_ashrrev_i32_e32 v7, 31, v6
	v_dual_mov_b32 v30, v11 :: v_dual_add_nc_u32 v21, -5, v8
	v_dual_mov_b32 v22, v11 :: v_dual_add_nc_u32 v23, -2, v8
	s_delay_alu instid0(VALU_DEP_3) | instskip(SKIP_1) | instid1(VALU_DEP_3)
	v_lshlrev_b64_e32 v[9:10], 2, v[6:7]
	v_mov_b32_e32 v24, v11
	v_lshlrev_b64_e32 v[21:22], 3, v[21:22]
	s_delay_alu instid0(VALU_DEP_2) | instskip(NEXT) | instid1(VALU_DEP_4)
	v_lshlrev_b64_e32 v[23:24], 3, v[23:24]
	v_add_co_u32 v9, vcc_lo, s6, v9
	s_wait_alu 0xfffd
	v_add_co_ci_u32_e64 v10, null, s7, v10, vcc_lo
	global_load_b32 v7, v[9:10], off
	v_dual_mov_b32 v9, v11 :: v_dual_add_nc_u32 v10, -11, v8
	s_delay_alu instid0(VALU_DEP_1) | instskip(NEXT) | instid1(VALU_DEP_2)
	v_lshlrev_b64_e32 v[25:26], 3, v[10:11]
	v_lshlrev_b64_e32 v[9:10], 3, v[8:9]
	s_delay_alu instid0(VALU_DEP_2) | instskip(SKIP_1) | instid1(VALU_DEP_3)
	v_add_co_u32 v25, vcc_lo, s8, v25
	s_wait_alu 0xfffd
	v_add_co_ci_u32_e64 v26, null, s9, v26, vcc_lo
	v_add_co_u32 v31, vcc_lo, s8, v21
	s_wait_alu 0xfffd
	v_add_co_ci_u32_e64 v32, null, s9, v22, vcc_lo
	;; [unrolled: 3-line block ×4, first 2 shown]
	s_clause 0x3
	global_load_b128 v[21:24], v[25:26], off offset:16
	global_load_b128 v[25:28], v[25:26], off
	global_load_b64 v[31:32], v[31:32], off
	global_load_b64 v[33:34], v[33:34], off
	s_wait_loadcnt 0x4
	v_subrev_nc_u32_e32 v7, s12, v7
	s_delay_alu instid0(VALU_DEP_1) | instskip(NEXT) | instid1(VALU_DEP_1)
	v_lshl_add_u32 v29, v7, 1, v7
	v_lshlrev_b64_e32 v[37:38], 3, v[29:30]
	s_delay_alu instid0(VALU_DEP_1) | instskip(SKIP_1) | instid1(VALU_DEP_2)
	v_add_co_u32 v37, vcc_lo, s10, v37
	s_wait_alu 0xfffd
	v_add_co_ci_u32_e64 v38, null, s11, v38, vcc_lo
	global_load_b64 v[37:38], v[37:38], off
	v_add_nc_u32_e32 v10, 1, v29
	s_delay_alu instid0(VALU_DEP_1) | instskip(NEXT) | instid1(VALU_DEP_1)
	v_lshlrev_b64_e32 v[39:40], 3, v[10:11]
	v_add_co_u32 v39, vcc_lo, s10, v39
	s_wait_alu 0xfffd
	s_delay_alu instid0(VALU_DEP_2) | instskip(SKIP_3) | instid1(VALU_DEP_1)
	v_add_co_ci_u32_e64 v40, null, s11, v40, vcc_lo
	global_load_b64 v[39:40], v[39:40], off
	s_wait_loadcnt 0x1
	v_dual_fmac_f32 v15, v24, v37 :: v_dual_add_nc_u32 v10, -7, v8
	v_lshlrev_b64_e32 v[41:42], 3, v[10:11]
	v_dual_fmac_f32 v13, v34, v37 :: v_dual_add_nc_u32 v10, -4, v8
	v_fmac_f32_e32 v16, v25, v37
	v_fmac_f32_e32 v17, v33, v37
	;; [unrolled: 1-line block ×3, first 2 shown]
	s_delay_alu instid0(VALU_DEP_4) | instskip(SKIP_4) | instid1(VALU_DEP_3)
	v_lshlrev_b64_e32 v[43:44], 3, v[10:11]
	v_dual_fmac_f32 v13, v33, v38 :: v_dual_add_nc_u32 v10, -1, v8
	v_add_co_u32 v41, vcc_lo, s8, v41
	s_wait_alu 0xfffd
	v_add_co_ci_u32_e64 v42, null, s9, v42, vcc_lo
	v_lshlrev_b64_e32 v[45:46], 3, v[10:11]
	v_fma_f32 v7, -v26, v38, v16
	v_add_nc_u32_e32 v10, 2, v29
	v_add_co_u32 v29, vcc_lo, s8, v43
	s_wait_alu 0xfffd
	v_add_co_ci_u32_e64 v30, null, s9, v44, vcc_lo
	v_add_co_u32 v45, vcc_lo, s8, v45
	global_load_b64 v[41:42], v[41:42], off
	s_wait_alu 0xfffd
	v_add_co_ci_u32_e64 v46, null, s9, v46, vcc_lo
	s_wait_loadcnt 0x1
	v_fmac_f32_e32 v7, v27, v39
	v_lshlrev_b64_e32 v[43:44], 3, v[10:11]
	v_add_nc_u32_e32 v10, -6, v8
	global_load_b64 v[45:46], v[45:46], off
	v_fma_f32 v17, -v34, v38, v17
	global_load_b64 v[29:30], v[29:30], off
	v_fma_f32 v7, -v28, v40, v7
	v_add_co_u32 v43, vcc_lo, s10, v43
	s_wait_alu 0xfffd
	v_add_co_ci_u32_e64 v44, null, s11, v44, vcc_lo
	global_load_b64 v[43:44], v[43:44], off
	v_fmac_f32_e32 v12, v26, v37
	s_wait_loadcnt 0x3
	v_fmac_f32_e32 v15, v42, v39
	v_lshlrev_b64_e32 v[47:48], 3, v[10:11]
	v_add_nc_u32_e32 v10, -3, v8
	v_add_nc_u32_e32 v8, 0xc0, v8
	s_delay_alu instid0(VALU_DEP_4)
	v_dual_fmac_f32 v15, v41, v40 :: v_dual_add_nc_u32 v6, 16, v6
	s_wait_loadcnt 0x2
	v_fmac_f32_e32 v17, v45, v39
	v_lshlrev_b64_e32 v[9:10], 3, v[10:11]
	v_add_co_u32 v47, vcc_lo, s8, v47
	s_wait_alu 0xfffd
	v_add_co_ci_u32_e64 v48, null, s9, v48, vcc_lo
	v_fmac_f32_e32 v13, v46, v39
	s_delay_alu instid0(VALU_DEP_4)
	v_add_co_u32 v9, vcc_lo, s8, v9
	s_wait_alu 0xfffd
	v_add_co_ci_u32_e64 v10, null, s9, v10, vcc_lo
	s_clause 0x2
	global_load_b64 v[47:48], v[47:48], off
	global_load_b64 v[9:10], v[9:10], off
	;; [unrolled: 1-line block ×3, first 2 shown]
	v_dual_fmac_f32 v20, v23, v37 :: v_dual_fmac_f32 v13, v45, v40
	v_fmac_f32_e32 v18, v31, v37
	v_fma_f32 v17, -v46, v40, v17
	v_fmac_f32_e32 v14, v32, v37
	s_delay_alu instid0(VALU_DEP_4) | instskip(SKIP_3) | instid1(VALU_DEP_3)
	v_fma_f32 v16, -v24, v38, v20
	s_wait_loadcnt 0x3
	v_fmac_f32_e32 v7, v21, v43
	v_cmp_ge_i32_e32 vcc_lo, v6, v19
	v_fmac_f32_e32 v16, v41, v39
	s_wait_alu 0xfffe
	s_or_b32 s2, vcc_lo, s2
	s_delay_alu instid0(VALU_DEP_1)
	v_fma_f32 v20, -v42, v40, v16
	v_fma_f32 v16, -v22, v44, v7
	s_wait_loadcnt 0x2
	v_dual_fmac_f32 v15, v48, v43 :: v_dual_fmac_f32 v12, v25, v38
	s_wait_loadcnt 0x0
	v_fmac_f32_e32 v17, v35, v43
	v_dual_fmac_f32 v14, v31, v38 :: v_dual_fmac_f32 v13, v36, v43
	v_fma_f32 v18, -v32, v38, v18
	v_dual_fmac_f32 v15, v47, v44 :: v_dual_fmac_f32 v12, v28, v39
	s_delay_alu instid0(VALU_DEP_3) | instskip(NEXT) | instid1(VALU_DEP_3)
	v_dual_fmac_f32 v14, v30, v39 :: v_dual_fmac_f32 v13, v35, v44
	v_fmac_f32_e32 v18, v29, v39
	v_fmac_f32_e32 v20, v47, v43
	s_delay_alu instid0(VALU_DEP_4) | instskip(NEXT) | instid1(VALU_DEP_4)
	v_fmac_f32_e32 v12, v27, v40
	v_fmac_f32_e32 v14, v29, v40
	v_fma_f32 v17, -v36, v44, v17
	v_fma_f32 v18, -v30, v40, v18
	;; [unrolled: 1-line block ×3, first 2 shown]
	v_fmac_f32_e32 v12, v22, v43
	v_fmac_f32_e32 v14, v10, v43
	s_delay_alu instid0(VALU_DEP_4) | instskip(NEXT) | instid1(VALU_DEP_3)
	v_fmac_f32_e32 v18, v9, v43
	v_fmac_f32_e32 v12, v21, v44
	s_delay_alu instid0(VALU_DEP_3) | instskip(NEXT) | instid1(VALU_DEP_3)
	v_fmac_f32_e32 v14, v9, v44
	v_fma_f32 v18, -v10, v44, v18
	s_wait_alu 0xfffe
	s_and_not1_b32 exec_lo, exec_lo, s2
	s_cbranch_execnz .LBB86_13
; %bb.14:
	s_or_b32 exec_lo, exec_lo, s2
.LBB86_15:
	s_wait_alu 0xfffe
	s_or_b32 exec_lo, exec_lo, s3
.LBB86_16:
	v_mbcnt_lo_u32_b32 v6, -1, 0
	s_delay_alu instid0(VALU_DEP_1) | instskip(SKIP_1) | instid1(VALU_DEP_2)
	v_xor_b32_e32 v7, 8, v6
	v_xor_b32_e32 v23, 4, v6
	v_cmp_gt_i32_e32 vcc_lo, 32, v7
	s_wait_alu 0xfffd
	v_cndmask_b32_e32 v7, v6, v7, vcc_lo
	s_delay_alu instid0(VALU_DEP_3) | instskip(NEXT) | instid1(VALU_DEP_2)
	v_cmp_gt_i32_e32 vcc_lo, 32, v23
	v_lshlrev_b32_e32 v7, 2, v7
	ds_bpermute_b32 v10, v7, v20
	s_wait_dscnt 0x0
	v_add_f32_e32 v10, v20, v10
	ds_bpermute_b32 v8, v7, v16
	ds_bpermute_b32 v9, v7, v12
	;; [unrolled: 1-line block ×7, first 2 shown]
	s_wait_dscnt 0x6
	s_wait_alu 0xfffd
	v_dual_add_f32 v8, v16, v8 :: v_dual_cndmask_b32 v23, v6, v23
	s_wait_dscnt 0x4
	v_dual_add_f32 v9, v12, v9 :: v_dual_add_f32 v12, v18, v19
	s_wait_dscnt 0x3
	s_delay_alu instid0(VALU_DEP_2)
	v_dual_add_f32 v14, v14, v21 :: v_dual_lshlrev_b32 v23, 2, v23
	ds_bpermute_b32 v16, v23, v9
	ds_bpermute_b32 v19, v23, v12
	;; [unrolled: 1-line block ×3, first 2 shown]
	s_wait_dscnt 0x2
	v_add_f32_e32 v9, v9, v16
	v_add_f32_e32 v11, v15, v11
	s_wait_dscnt 0x1
	v_dual_add_f32 v15, v17, v22 :: v_dual_add_f32 v12, v12, v19
	ds_bpermute_b32 v17, v23, v10
	ds_bpermute_b32 v18, v23, v11
	v_add_f32_e32 v7, v13, v7
	ds_bpermute_b32 v13, v23, v8
	ds_bpermute_b32 v21, v23, v15
	;; [unrolled: 1-line block ×3, first 2 shown]
	v_xor_b32_e32 v23, 2, v6
	s_delay_alu instid0(VALU_DEP_1) | instskip(SKIP_3) | instid1(VALU_DEP_1)
	v_cmp_gt_i32_e32 vcc_lo, 32, v23
	s_wait_alu 0xfffd
	v_cndmask_b32_e32 v23, v6, v23, vcc_lo
	s_wait_dscnt 0x2
	v_dual_add_f32 v8, v8, v13 :: v_dual_lshlrev_b32 v23, 2, v23
	v_add_f32_e32 v13, v10, v17
	ds_bpermute_b32 v10, v23, v9
	s_wait_dscnt 0x0
	v_add_f32_e32 v10, v9, v10
	v_add_f32_e32 v16, v11, v18
	;; [unrolled: 1-line block ×4, first 2 shown]
	ds_bpermute_b32 v15, v23, v12
	v_add_f32_e32 v17, v14, v20
	ds_bpermute_b32 v7, v23, v8
	ds_bpermute_b32 v11, v23, v13
	;; [unrolled: 1-line block ×6, first 2 shown]
	v_xor_b32_e32 v23, 1, v6
	s_delay_alu instid0(VALU_DEP_1) | instskip(SKIP_4) | instid1(VALU_DEP_2)
	v_cmp_gt_i32_e32 vcc_lo, 32, v23
	s_wait_alu 0xfffd
	v_cndmask_b32_e32 v6, v6, v23, vcc_lo
	v_cmp_eq_u32_e32 vcc_lo, 15, v0
	s_wait_dscnt 0x5
	v_dual_add_f32 v6, v8, v7 :: v_dual_lshlrev_b32 v23, 2, v6
	s_wait_dscnt 0x4
	v_add_f32_e32 v11, v13, v11
	s_wait_dscnt 0x3
	v_add_f32_e32 v13, v16, v14
	s_wait_dscnt 0x1
	v_dual_add_f32 v14, v12, v15 :: v_dual_add_f32 v15, v17, v20
	v_add_f32_e32 v7, v18, v21
	s_wait_dscnt 0x0
	v_add_f32_e32 v9, v19, v22
	ds_bpermute_b32 v8, v23, v6
	ds_bpermute_b32 v12, v23, v10
	;; [unrolled: 1-line block ×8, first 2 shown]
	s_and_b32 exec_lo, exec_lo, vcc_lo
	s_cbranch_execz .LBB86_21
; %bb.17:
	s_load_b64 s[2:3], s[0:1], 0x38
	v_cmp_eq_f32_e32 vcc_lo, 0, v3
	v_cmp_eq_f32_e64 s0, 0, v4
	s_wait_dscnt 0x7
	v_add_f32_e32 v8, v6, v8
	s_wait_dscnt 0x0
	v_dual_add_f32 v12, v10, v12 :: v_dual_add_f32 v9, v9, v17
	v_dual_add_f32 v0, v11, v18 :: v_dual_add_f32 v11, v13, v19
	v_add_f32_e32 v6, v14, v20
	v_add_f32_e32 v10, v15, v21
	;; [unrolled: 1-line block ×3, first 2 shown]
	s_and_b32 s0, vcc_lo, s0
	s_wait_alu 0xfffe
	s_and_saveexec_b32 s1, s0
	s_wait_alu 0xfffe
	s_xor_b32 s0, exec_lo, s1
	s_cbranch_execz .LBB86_19
; %bb.18:
	v_dual_mul_f32 v14, v1, v12 :: v_dual_lshlrev_b32 v3, 2, v5
	v_mul_f32_e64 v13, v12, -v2
	v_mul_f32_e64 v15, v11, -v2
	v_mul_f32_e32 v16, v1, v11
	s_delay_alu instid0(VALU_DEP_4)
	v_ashrrev_i32_e32 v4, 31, v3
	v_mul_f32_e64 v17, v10, -v2
	v_mul_f32_e32 v18, v1, v10
	v_mul_f32_e64 v19, v9, -v2
	v_mul_f32_e32 v20, v1, v9
	v_lshlrev_b64_e32 v[3:4], 3, v[3:4]
	s_delay_alu instid0(VALU_DEP_4) | instskip(SKIP_1) | instid1(VALU_DEP_4)
	v_dual_fmac_f32 v13, v1, v8 :: v_dual_fmac_f32 v18, v2, v6
	v_dual_fmac_f32 v14, v2, v8 :: v_dual_fmac_f32 v17, v1, v6
	;; [unrolled: 1-line block ×3, first 2 shown]
	s_wait_kmcnt 0x0
	s_delay_alu instid0(VALU_DEP_4)
	v_add_co_u32 v3, vcc_lo, s2, v3
	s_wait_alu 0xfffd
	v_add_co_ci_u32_e64 v4, null, s3, v4, vcc_lo
	v_dual_fmac_f32 v16, v2, v0 :: v_dual_fmac_f32 v19, v1, v7
	s_clause 0x1
	global_store_b128 v[3:4], v[13:16], off
	global_store_b128 v[3:4], v[17:20], off offset:16
                                        ; implicit-def: $vgpr5
                                        ; implicit-def: $vgpr8
                                        ; implicit-def: $vgpr12
                                        ; implicit-def: $vgpr0
                                        ; implicit-def: $vgpr11
                                        ; implicit-def: $vgpr6
                                        ; implicit-def: $vgpr10
                                        ; implicit-def: $vgpr7
                                        ; implicit-def: $vgpr9
                                        ; implicit-def: $vgpr1_vgpr2
                                        ; implicit-def: $vgpr3_vgpr4
.LBB86_19:
	s_wait_alu 0xfffe
	s_and_not1_saveexec_b32 s0, s0
	s_cbranch_execz .LBB86_21
; %bb.20:
	v_dual_mul_f32 v22, v1, v12 :: v_dual_lshlrev_b32 v13, 2, v5
	v_mul_f32_e64 v5, v12, -v2
	v_mul_f32_e64 v23, v11, -v2
	;; [unrolled: 1-line block ×3, first 2 shown]
	s_delay_alu instid0(VALU_DEP_4) | instskip(NEXT) | instid1(VALU_DEP_4)
	v_ashrrev_i32_e32 v14, 31, v13
	v_fmac_f32_e32 v5, v1, v8
	s_delay_alu instid0(VALU_DEP_2) | instskip(SKIP_1) | instid1(VALU_DEP_1)
	v_lshlrev_b64_e32 v[13:14], 3, v[13:14]
	s_wait_kmcnt 0x0
	v_add_co_u32 v25, vcc_lo, s2, v13
	s_wait_alu 0xfffd
	s_delay_alu instid0(VALU_DEP_2)
	v_add_co_ci_u32_e64 v26, null, s3, v14, vcc_lo
	s_clause 0x1
	global_load_b128 v[13:16], v[25:26], off
	global_load_b128 v[17:20], v[25:26], off offset:16
	v_mul_f32_e32 v24, v1, v11
	v_mul_f32_e64 v11, v10, -v2
	s_delay_alu instid0(VALU_DEP_1) | instskip(SKIP_1) | instid1(VALU_DEP_1)
	v_dual_fmac_f32 v22, v2, v8 :: v_dual_fmac_f32 v11, v1, v6
	s_wait_loadcnt 0x1
	v_dual_fmac_f32 v27, v1, v7 :: v_dual_fmac_f32 v22, v4, v13
	s_wait_loadcnt 0x0
	s_delay_alu instid0(VALU_DEP_1) | instskip(SKIP_3) | instid1(VALU_DEP_4)
	v_dual_mul_f32 v12, v1, v9 :: v_dual_fmac_f32 v27, v3, v19
	v_fmac_f32_e32 v23, v1, v0
	v_fmac_f32_e32 v11, v3, v17
	v_fmac_f32_e32 v22, v3, v14
	v_fmac_f32_e32 v12, v2, v7
	s_delay_alu instid0(VALU_DEP_4) | instskip(NEXT) | instid1(VALU_DEP_4)
	v_dual_mul_f32 v10, v1, v10 :: v_dual_fmac_f32 v23, v3, v15
	v_fma_f32 v9, -v4, v18, v11
	v_fma_f32 v11, -v4, v20, v27
	s_delay_alu instid0(VALU_DEP_4) | instskip(NEXT) | instid1(VALU_DEP_4)
	v_fmac_f32_e32 v12, v4, v19
	v_dual_fmac_f32 v10, v2, v6 :: v_dual_fmac_f32 v5, v3, v13
	v_fmac_f32_e32 v24, v2, v0
	v_fma_f32 v23, -v4, v16, v23
	s_delay_alu instid0(VALU_DEP_4) | instskip(NEXT) | instid1(VALU_DEP_4)
	v_fmac_f32_e32 v12, v3, v20
	v_fmac_f32_e32 v10, v4, v17
	v_fma_f32 v21, -v4, v14, v5
	v_fmac_f32_e32 v24, v4, v15
	s_delay_alu instid0(VALU_DEP_3) | instskip(NEXT) | instid1(VALU_DEP_2)
	v_fmac_f32_e32 v10, v3, v18
	v_fmac_f32_e32 v24, v3, v16
	s_clause 0x1
	global_store_b128 v[25:26], v[21:24], off
	global_store_b128 v[25:26], v[9:12], off offset:16
.LBB86_21:
	s_endpgm
	.section	.rodata,"a",@progbits
	.p2align	6, 0x0
	.amdhsa_kernel _ZN9rocsparseL19gebsrmvn_4xn_kernelILj128ELj3ELj16E21rocsparse_complex_numIfEEEvi20rocsparse_direction_NS_24const_host_device_scalarIT2_EEPKiS8_PKS5_SA_S6_PS5_21rocsparse_index_base_b
		.amdhsa_group_segment_fixed_size 0
		.amdhsa_private_segment_fixed_size 0
		.amdhsa_kernarg_size 72
		.amdhsa_user_sgpr_count 2
		.amdhsa_user_sgpr_dispatch_ptr 0
		.amdhsa_user_sgpr_queue_ptr 0
		.amdhsa_user_sgpr_kernarg_segment_ptr 1
		.amdhsa_user_sgpr_dispatch_id 0
		.amdhsa_user_sgpr_private_segment_size 0
		.amdhsa_wavefront_size32 1
		.amdhsa_uses_dynamic_stack 0
		.amdhsa_enable_private_segment 0
		.amdhsa_system_sgpr_workgroup_id_x 1
		.amdhsa_system_sgpr_workgroup_id_y 0
		.amdhsa_system_sgpr_workgroup_id_z 0
		.amdhsa_system_sgpr_workgroup_info 0
		.amdhsa_system_vgpr_workitem_id 0
		.amdhsa_next_free_vgpr 51
		.amdhsa_next_free_sgpr 14
		.amdhsa_reserve_vcc 1
		.amdhsa_float_round_mode_32 0
		.amdhsa_float_round_mode_16_64 0
		.amdhsa_float_denorm_mode_32 3
		.amdhsa_float_denorm_mode_16_64 3
		.amdhsa_fp16_overflow 0
		.amdhsa_workgroup_processor_mode 1
		.amdhsa_memory_ordered 1
		.amdhsa_forward_progress 1
		.amdhsa_inst_pref_size 26
		.amdhsa_round_robin_scheduling 0
		.amdhsa_exception_fp_ieee_invalid_op 0
		.amdhsa_exception_fp_denorm_src 0
		.amdhsa_exception_fp_ieee_div_zero 0
		.amdhsa_exception_fp_ieee_overflow 0
		.amdhsa_exception_fp_ieee_underflow 0
		.amdhsa_exception_fp_ieee_inexact 0
		.amdhsa_exception_int_div_zero 0
	.end_amdhsa_kernel
	.section	.text._ZN9rocsparseL19gebsrmvn_4xn_kernelILj128ELj3ELj16E21rocsparse_complex_numIfEEEvi20rocsparse_direction_NS_24const_host_device_scalarIT2_EEPKiS8_PKS5_SA_S6_PS5_21rocsparse_index_base_b,"axG",@progbits,_ZN9rocsparseL19gebsrmvn_4xn_kernelILj128ELj3ELj16E21rocsparse_complex_numIfEEEvi20rocsparse_direction_NS_24const_host_device_scalarIT2_EEPKiS8_PKS5_SA_S6_PS5_21rocsparse_index_base_b,comdat
.Lfunc_end86:
	.size	_ZN9rocsparseL19gebsrmvn_4xn_kernelILj128ELj3ELj16E21rocsparse_complex_numIfEEEvi20rocsparse_direction_NS_24const_host_device_scalarIT2_EEPKiS8_PKS5_SA_S6_PS5_21rocsparse_index_base_b, .Lfunc_end86-_ZN9rocsparseL19gebsrmvn_4xn_kernelILj128ELj3ELj16E21rocsparse_complex_numIfEEEvi20rocsparse_direction_NS_24const_host_device_scalarIT2_EEPKiS8_PKS5_SA_S6_PS5_21rocsparse_index_base_b
                                        ; -- End function
	.set _ZN9rocsparseL19gebsrmvn_4xn_kernelILj128ELj3ELj16E21rocsparse_complex_numIfEEEvi20rocsparse_direction_NS_24const_host_device_scalarIT2_EEPKiS8_PKS5_SA_S6_PS5_21rocsparse_index_base_b.num_vgpr, 51
	.set _ZN9rocsparseL19gebsrmvn_4xn_kernelILj128ELj3ELj16E21rocsparse_complex_numIfEEEvi20rocsparse_direction_NS_24const_host_device_scalarIT2_EEPKiS8_PKS5_SA_S6_PS5_21rocsparse_index_base_b.num_agpr, 0
	.set _ZN9rocsparseL19gebsrmvn_4xn_kernelILj128ELj3ELj16E21rocsparse_complex_numIfEEEvi20rocsparse_direction_NS_24const_host_device_scalarIT2_EEPKiS8_PKS5_SA_S6_PS5_21rocsparse_index_base_b.numbered_sgpr, 14
	.set _ZN9rocsparseL19gebsrmvn_4xn_kernelILj128ELj3ELj16E21rocsparse_complex_numIfEEEvi20rocsparse_direction_NS_24const_host_device_scalarIT2_EEPKiS8_PKS5_SA_S6_PS5_21rocsparse_index_base_b.num_named_barrier, 0
	.set _ZN9rocsparseL19gebsrmvn_4xn_kernelILj128ELj3ELj16E21rocsparse_complex_numIfEEEvi20rocsparse_direction_NS_24const_host_device_scalarIT2_EEPKiS8_PKS5_SA_S6_PS5_21rocsparse_index_base_b.private_seg_size, 0
	.set _ZN9rocsparseL19gebsrmvn_4xn_kernelILj128ELj3ELj16E21rocsparse_complex_numIfEEEvi20rocsparse_direction_NS_24const_host_device_scalarIT2_EEPKiS8_PKS5_SA_S6_PS5_21rocsparse_index_base_b.uses_vcc, 1
	.set _ZN9rocsparseL19gebsrmvn_4xn_kernelILj128ELj3ELj16E21rocsparse_complex_numIfEEEvi20rocsparse_direction_NS_24const_host_device_scalarIT2_EEPKiS8_PKS5_SA_S6_PS5_21rocsparse_index_base_b.uses_flat_scratch, 0
	.set _ZN9rocsparseL19gebsrmvn_4xn_kernelILj128ELj3ELj16E21rocsparse_complex_numIfEEEvi20rocsparse_direction_NS_24const_host_device_scalarIT2_EEPKiS8_PKS5_SA_S6_PS5_21rocsparse_index_base_b.has_dyn_sized_stack, 0
	.set _ZN9rocsparseL19gebsrmvn_4xn_kernelILj128ELj3ELj16E21rocsparse_complex_numIfEEEvi20rocsparse_direction_NS_24const_host_device_scalarIT2_EEPKiS8_PKS5_SA_S6_PS5_21rocsparse_index_base_b.has_recursion, 0
	.set _ZN9rocsparseL19gebsrmvn_4xn_kernelILj128ELj3ELj16E21rocsparse_complex_numIfEEEvi20rocsparse_direction_NS_24const_host_device_scalarIT2_EEPKiS8_PKS5_SA_S6_PS5_21rocsparse_index_base_b.has_indirect_call, 0
	.section	.AMDGPU.csdata,"",@progbits
; Kernel info:
; codeLenInByte = 3244
; TotalNumSgprs: 16
; NumVgprs: 51
; ScratchSize: 0
; MemoryBound: 0
; FloatMode: 240
; IeeeMode: 1
; LDSByteSize: 0 bytes/workgroup (compile time only)
; SGPRBlocks: 0
; VGPRBlocks: 6
; NumSGPRsForWavesPerEU: 16
; NumVGPRsForWavesPerEU: 51
; Occupancy: 16
; WaveLimiterHint : 1
; COMPUTE_PGM_RSRC2:SCRATCH_EN: 0
; COMPUTE_PGM_RSRC2:USER_SGPR: 2
; COMPUTE_PGM_RSRC2:TRAP_HANDLER: 0
; COMPUTE_PGM_RSRC2:TGID_X_EN: 1
; COMPUTE_PGM_RSRC2:TGID_Y_EN: 0
; COMPUTE_PGM_RSRC2:TGID_Z_EN: 0
; COMPUTE_PGM_RSRC2:TIDIG_COMP_CNT: 0
	.section	.text._ZN9rocsparseL19gebsrmvn_4xn_kernelILj128ELj3ELj32E21rocsparse_complex_numIfEEEvi20rocsparse_direction_NS_24const_host_device_scalarIT2_EEPKiS8_PKS5_SA_S6_PS5_21rocsparse_index_base_b,"axG",@progbits,_ZN9rocsparseL19gebsrmvn_4xn_kernelILj128ELj3ELj32E21rocsparse_complex_numIfEEEvi20rocsparse_direction_NS_24const_host_device_scalarIT2_EEPKiS8_PKS5_SA_S6_PS5_21rocsparse_index_base_b,comdat
	.globl	_ZN9rocsparseL19gebsrmvn_4xn_kernelILj128ELj3ELj32E21rocsparse_complex_numIfEEEvi20rocsparse_direction_NS_24const_host_device_scalarIT2_EEPKiS8_PKS5_SA_S6_PS5_21rocsparse_index_base_b ; -- Begin function _ZN9rocsparseL19gebsrmvn_4xn_kernelILj128ELj3ELj32E21rocsparse_complex_numIfEEEvi20rocsparse_direction_NS_24const_host_device_scalarIT2_EEPKiS8_PKS5_SA_S6_PS5_21rocsparse_index_base_b
	.p2align	8
	.type	_ZN9rocsparseL19gebsrmvn_4xn_kernelILj128ELj3ELj32E21rocsparse_complex_numIfEEEvi20rocsparse_direction_NS_24const_host_device_scalarIT2_EEPKiS8_PKS5_SA_S6_PS5_21rocsparse_index_base_b,@function
_ZN9rocsparseL19gebsrmvn_4xn_kernelILj128ELj3ELj32E21rocsparse_complex_numIfEEEvi20rocsparse_direction_NS_24const_host_device_scalarIT2_EEPKiS8_PKS5_SA_S6_PS5_21rocsparse_index_base_b: ; @_ZN9rocsparseL19gebsrmvn_4xn_kernelILj128ELj3ELj32E21rocsparse_complex_numIfEEEvi20rocsparse_direction_NS_24const_host_device_scalarIT2_EEPKiS8_PKS5_SA_S6_PS5_21rocsparse_index_base_b
; %bb.0:
	s_clause 0x2
	s_load_b64 s[12:13], s[0:1], 0x40
	s_load_b64 s[2:3], s[0:1], 0x8
	;; [unrolled: 1-line block ×3, first 2 shown]
	s_add_nc_u64 s[6:7], s[0:1], 8
	s_wait_kmcnt 0x0
	s_bitcmp1_b32 s13, 0
	s_cselect_b32 s2, s6, s2
	s_cselect_b32 s3, s7, s3
	s_delay_alu instid0(SALU_CYCLE_1)
	v_dual_mov_b32 v1, s2 :: v_dual_mov_b32 v2, s3
	s_add_nc_u64 s[2:3], s[0:1], 48
	s_wait_alu 0xfffe
	s_cselect_b32 s2, s2, s4
	s_cselect_b32 s3, s3, s5
	flat_load_b64 v[1:2], v[1:2]
	s_wait_alu 0xfffe
	v_dual_mov_b32 v3, s2 :: v_dual_mov_b32 v4, s3
	flat_load_b64 v[3:4], v[3:4]
	s_wait_loadcnt_dscnt 0x101
	v_cmp_eq_f32_e32 vcc_lo, 0, v1
	v_cmp_eq_f32_e64 s2, 0, v2
	s_and_b32 s4, vcc_lo, s2
	s_mov_b32 s2, -1
	s_and_saveexec_b32 s3, s4
	s_cbranch_execz .LBB87_2
; %bb.1:
	s_wait_loadcnt_dscnt 0x0
	v_cmp_neq_f32_e32 vcc_lo, 1.0, v3
	v_cmp_neq_f32_e64 s2, 0, v4
	s_wait_alu 0xfffe
	s_or_b32 s2, vcc_lo, s2
	s_wait_alu 0xfffe
	s_or_not1_b32 s2, s2, exec_lo
.LBB87_2:
	s_wait_alu 0xfffe
	s_or_b32 exec_lo, exec_lo, s3
	s_and_saveexec_b32 s3, s2
	s_cbranch_execz .LBB87_21
; %bb.3:
	s_load_b64 s[2:3], s[0:1], 0x0
	v_lshrrev_b32_e32 v5, 5, v0
	s_delay_alu instid0(VALU_DEP_1) | instskip(SKIP_1) | instid1(VALU_DEP_1)
	v_lshl_or_b32 v5, ttmp9, 2, v5
	s_wait_kmcnt 0x0
	v_cmp_gt_i32_e32 vcc_lo, s2, v5
	s_and_b32 exec_lo, exec_lo, vcc_lo
	s_cbranch_execz .LBB87_21
; %bb.4:
	s_load_b256 s[4:11], s[0:1], 0x10
	v_ashrrev_i32_e32 v6, 31, v5
	v_and_b32_e32 v0, 31, v0
	s_cmp_lg_u32 s3, 0
	s_delay_alu instid0(VALU_DEP_2) | instskip(SKIP_1) | instid1(VALU_DEP_1)
	v_lshlrev_b64_e32 v[6:7], 2, v[5:6]
	s_wait_kmcnt 0x0
	v_add_co_u32 v6, vcc_lo, s4, v6
	s_delay_alu instid0(VALU_DEP_1) | instskip(SKIP_4) | instid1(VALU_DEP_2)
	v_add_co_ci_u32_e64 v7, null, s5, v7, vcc_lo
	global_load_b64 v[6:7], v[6:7], off
	s_wait_loadcnt 0x0
	v_subrev_nc_u32_e32 v6, s12, v6
	v_subrev_nc_u32_e32 v20, s12, v7
	v_add_nc_u32_e32 v6, v6, v0
	s_delay_alu instid0(VALU_DEP_1)
	v_cmp_lt_i32_e64 s2, v6, v20
	s_cbranch_scc0 .LBB87_10
; %bb.5:
	v_dual_mov_b32 v12, 0 :: v_dual_mov_b32 v17, 0
	v_dual_mov_b32 v16, 0 :: v_dual_mov_b32 v13, 0
	;; [unrolled: 1-line block ×4, first 2 shown]
	s_and_saveexec_b32 s3, s2
	s_cbranch_execz .LBB87_9
; %bb.6:
	v_dual_mov_b32 v8, 0 :: v_dual_mov_b32 v9, v6
	v_mul_lo_u32 v7, v6, 12
	s_mov_b32 s4, 0
	s_delay_alu instid0(VALU_DEP_2)
	v_dual_mov_b32 v12, v8 :: v_dual_mov_b32 v17, v8
	v_dual_mov_b32 v16, v8 :: v_dual_mov_b32 v13, v8
	;; [unrolled: 1-line block ×4, first 2 shown]
.LBB87_7:                               ; =>This Inner Loop Header: Depth=1
	v_ashrrev_i32_e32 v10, 31, v9
	v_dual_mov_b32 v22, v8 :: v_dual_add_nc_u32 v21, 4, v7
	v_dual_mov_b32 v24, v8 :: v_dual_add_nc_u32 v23, 8, v7
	s_delay_alu instid0(VALU_DEP_3) | instskip(SKIP_1) | instid1(VALU_DEP_4)
	v_lshlrev_b64_e32 v[10:11], 2, v[9:10]
	v_mov_b32_e32 v50, v8
	v_lshlrev_b64_e32 v[21:22], 3, v[21:22]
	s_delay_alu instid0(VALU_DEP_4) | instskip(NEXT) | instid1(VALU_DEP_4)
	v_lshlrev_b64_e32 v[23:24], 3, v[23:24]
	v_add_co_u32 v10, vcc_lo, s6, v10
	s_wait_alu 0xfffd
	v_add_co_ci_u32_e64 v11, null, s7, v11, vcc_lo
	global_load_b32 v45, v[10:11], off
	v_lshlrev_b64_e32 v[10:11], 3, v[7:8]
	v_add_nc_u32_e32 v7, 0x180, v7
	s_delay_alu instid0(VALU_DEP_2) | instskip(SKIP_1) | instid1(VALU_DEP_3)
	v_add_co_u32 v10, vcc_lo, s8, v10
	s_wait_alu 0xfffd
	v_add_co_ci_u32_e64 v11, null, s9, v11, vcc_lo
	v_add_co_u32 v33, vcc_lo, s8, v21
	s_wait_alu 0xfffd
	v_add_co_ci_u32_e64 v34, null, s9, v22, vcc_lo
	;; [unrolled: 3-line block ×3, first 2 shown]
	s_clause 0x5
	global_load_b128 v[21:24], v[10:11], off offset:16
	global_load_b128 v[25:28], v[10:11], off
	global_load_b128 v[29:32], v[33:34], off offset:16
	global_load_b128 v[33:36], v[33:34], off
	;; [unrolled: 2-line block ×3, first 2 shown]
	s_wait_loadcnt 0x6
	v_subrev_nc_u32_e32 v10, s12, v45
	s_delay_alu instid0(VALU_DEP_1) | instskip(SKIP_1) | instid1(VALU_DEP_2)
	v_lshl_add_u32 v45, v10, 1, v10
	v_mov_b32_e32 v46, v8
	v_dual_mov_b32 v48, v8 :: v_dual_add_nc_u32 v49, 2, v45
	v_add_nc_u32_e32 v47, 1, v45
	s_delay_alu instid0(VALU_DEP_3) | instskip(NEXT) | instid1(VALU_DEP_2)
	v_lshlrev_b64_e32 v[10:11], 3, v[45:46]
	v_lshlrev_b64_e32 v[45:46], 3, v[47:48]
	s_delay_alu instid0(VALU_DEP_4) | instskip(NEXT) | instid1(VALU_DEP_3)
	v_lshlrev_b64_e32 v[47:48], 3, v[49:50]
	v_add_co_u32 v10, vcc_lo, s10, v10
	s_wait_alu 0xfffd
	s_delay_alu instid0(VALU_DEP_4) | instskip(NEXT) | instid1(VALU_DEP_4)
	v_add_co_ci_u32_e64 v11, null, s11, v11, vcc_lo
	v_add_co_u32 v45, vcc_lo, s10, v45
	s_wait_alu 0xfffd
	v_add_co_ci_u32_e64 v46, null, s11, v46, vcc_lo
	global_load_b64 v[10:11], v[10:11], off
	v_add_co_u32 v47, vcc_lo, s10, v47
	s_wait_alu 0xfffd
	v_add_co_ci_u32_e64 v48, null, s11, v48, vcc_lo
	s_clause 0x1
	global_load_b64 v[45:46], v[45:46], off
	global_load_b64 v[47:48], v[47:48], off
	s_wait_loadcnt 0x2
	v_dual_fmac_f32 v16, v25, v10 :: v_dual_add_nc_u32 v9, 32, v9
	v_fmac_f32_e32 v14, v22, v10
	v_fmac_f32_e32 v15, v28, v10
	;; [unrolled: 1-line block ×3, first 2 shown]
	s_delay_alu instid0(VALU_DEP_4) | instskip(NEXT) | instid1(VALU_DEP_4)
	v_cmp_ge_i32_e32 vcc_lo, v9, v20
	v_fmac_f32_e32 v14, v21, v11
	s_delay_alu instid0(VALU_DEP_4) | instskip(SKIP_3) | instid1(VALU_DEP_2)
	v_dual_fmac_f32 v12, v26, v10 :: v_dual_fmac_f32 v15, v27, v11
	v_fmac_f32_e32 v19, v27, v10
	s_wait_alu 0xfffe
	s_or_b32 s4, vcc_lo, s4
	v_dual_fmac_f32 v12, v25, v11 :: v_dual_fmac_f32 v13, v24, v10
	s_wait_loadcnt 0x1
	v_fmac_f32_e32 v15, v36, v45
	s_delay_alu instid0(VALU_DEP_2) | instskip(NEXT) | instid1(VALU_DEP_3)
	v_fmac_f32_e32 v12, v34, v45
	v_dual_fmac_f32 v18, v21, v10 :: v_dual_fmac_f32 v13, v23, v11
	v_fma_f32 v10, -v26, v11, v16
	v_fma_f32 v16, -v28, v11, v19
	v_fmac_f32_e32 v15, v35, v46
	s_delay_alu instid0(VALU_DEP_4)
	v_fma_f32 v18, -v22, v11, v18
	v_fmac_f32_e32 v13, v32, v45
	v_fmac_f32_e32 v10, v33, v45
	v_fma_f32 v17, -v24, v11, v17
	s_wait_loadcnt 0x0
	v_dual_fmac_f32 v16, v35, v45 :: v_dual_fmac_f32 v15, v44, v47
	v_fmac_f32_e32 v18, v29, v45
	v_dual_fmac_f32 v14, v30, v45 :: v_dual_fmac_f32 v13, v31, v46
	v_dual_fmac_f32 v17, v31, v45 :: v_dual_fmac_f32 v12, v33, v46
	v_fma_f32 v10, -v34, v46, v10
	v_fma_f32 v11, -v36, v46, v16
	;; [unrolled: 1-line block ×3, first 2 shown]
	v_fmac_f32_e32 v14, v29, v46
	v_fma_f32 v17, -v32, v46, v17
	v_fmac_f32_e32 v13, v40, v47
	v_dual_fmac_f32 v10, v41, v47 :: v_dual_fmac_f32 v15, v43, v48
	v_fmac_f32_e32 v12, v42, v47
	v_fmac_f32_e32 v18, v37, v47
	;; [unrolled: 1-line block ×5, first 2 shown]
	v_dual_fmac_f32 v11, v43, v47 :: v_dual_fmac_f32 v12, v41, v48
	v_fma_f32 v16, -v42, v48, v10
	v_fma_f32 v18, -v38, v48, v18
	v_fmac_f32_e32 v14, v37, v48
	s_delay_alu instid0(VALU_DEP_4)
	v_fma_f32 v19, -v44, v48, v11
	v_fma_f32 v17, -v40, v48, v17
	s_wait_alu 0xfffe
	s_and_not1_b32 exec_lo, exec_lo, s4
	s_cbranch_execnz .LBB87_7
; %bb.8:
	s_or_b32 exec_lo, exec_lo, s4
.LBB87_9:
	s_wait_alu 0xfffe
	s_or_b32 exec_lo, exec_lo, s3
	s_cbranch_execz .LBB87_11
	s_branch .LBB87_16
.LBB87_10:
                                        ; implicit-def: $vgpr12
                                        ; implicit-def: $vgpr16
                                        ; implicit-def: $vgpr17
                                        ; implicit-def: $vgpr13
                                        ; implicit-def: $vgpr18
                                        ; implicit-def: $vgpr14
                                        ; implicit-def: $vgpr19
                                        ; implicit-def: $vgpr15
.LBB87_11:
	v_dual_mov_b32 v12, 0 :: v_dual_mov_b32 v17, 0
	v_dual_mov_b32 v16, 0 :: v_dual_mov_b32 v13, 0
	;; [unrolled: 1-line block ×4, first 2 shown]
	s_and_saveexec_b32 s3, s2
	s_cbranch_execz .LBB87_15
; %bb.12:
	v_mad_co_u64_u32 v[8:9], null, v6, 12, 11
	v_dual_mov_b32 v11, 0 :: v_dual_mov_b32 v12, 0
	v_dual_mov_b32 v16, 0 :: v_dual_mov_b32 v17, 0
	;; [unrolled: 1-line block ×4, first 2 shown]
	v_mov_b32_e32 v15, 0
	s_mov_b32 s2, 0
.LBB87_13:                              ; =>This Inner Loop Header: Depth=1
	v_ashrrev_i32_e32 v7, 31, v6
	v_dual_mov_b32 v30, v11 :: v_dual_add_nc_u32 v21, -5, v8
	v_dual_mov_b32 v22, v11 :: v_dual_add_nc_u32 v23, -2, v8
	s_delay_alu instid0(VALU_DEP_3) | instskip(SKIP_1) | instid1(VALU_DEP_3)
	v_lshlrev_b64_e32 v[9:10], 2, v[6:7]
	v_mov_b32_e32 v24, v11
	v_lshlrev_b64_e32 v[21:22], 3, v[21:22]
	s_delay_alu instid0(VALU_DEP_2) | instskip(NEXT) | instid1(VALU_DEP_4)
	v_lshlrev_b64_e32 v[23:24], 3, v[23:24]
	v_add_co_u32 v9, vcc_lo, s6, v9
	s_wait_alu 0xfffd
	v_add_co_ci_u32_e64 v10, null, s7, v10, vcc_lo
	global_load_b32 v7, v[9:10], off
	v_dual_mov_b32 v9, v11 :: v_dual_add_nc_u32 v10, -11, v8
	s_delay_alu instid0(VALU_DEP_1) | instskip(NEXT) | instid1(VALU_DEP_2)
	v_lshlrev_b64_e32 v[25:26], 3, v[10:11]
	v_lshlrev_b64_e32 v[9:10], 3, v[8:9]
	s_delay_alu instid0(VALU_DEP_2) | instskip(SKIP_1) | instid1(VALU_DEP_3)
	v_add_co_u32 v25, vcc_lo, s8, v25
	s_wait_alu 0xfffd
	v_add_co_ci_u32_e64 v26, null, s9, v26, vcc_lo
	v_add_co_u32 v31, vcc_lo, s8, v21
	s_wait_alu 0xfffd
	v_add_co_ci_u32_e64 v32, null, s9, v22, vcc_lo
	;; [unrolled: 3-line block ×4, first 2 shown]
	s_clause 0x3
	global_load_b128 v[21:24], v[25:26], off offset:16
	global_load_b128 v[25:28], v[25:26], off
	global_load_b64 v[31:32], v[31:32], off
	global_load_b64 v[33:34], v[33:34], off
	s_wait_loadcnt 0x4
	v_subrev_nc_u32_e32 v7, s12, v7
	s_delay_alu instid0(VALU_DEP_1) | instskip(NEXT) | instid1(VALU_DEP_1)
	v_lshl_add_u32 v29, v7, 1, v7
	v_lshlrev_b64_e32 v[37:38], 3, v[29:30]
	s_delay_alu instid0(VALU_DEP_1) | instskip(SKIP_1) | instid1(VALU_DEP_2)
	v_add_co_u32 v37, vcc_lo, s10, v37
	s_wait_alu 0xfffd
	v_add_co_ci_u32_e64 v38, null, s11, v38, vcc_lo
	global_load_b64 v[37:38], v[37:38], off
	v_add_nc_u32_e32 v10, 1, v29
	s_delay_alu instid0(VALU_DEP_1) | instskip(NEXT) | instid1(VALU_DEP_1)
	v_lshlrev_b64_e32 v[39:40], 3, v[10:11]
	v_add_co_u32 v39, vcc_lo, s10, v39
	s_wait_alu 0xfffd
	s_delay_alu instid0(VALU_DEP_2) | instskip(SKIP_3) | instid1(VALU_DEP_1)
	v_add_co_ci_u32_e64 v40, null, s11, v40, vcc_lo
	global_load_b64 v[39:40], v[39:40], off
	s_wait_loadcnt 0x1
	v_dual_fmac_f32 v19, v23, v37 :: v_dual_add_nc_u32 v10, -7, v8
	v_lshlrev_b64_e32 v[41:42], 3, v[10:11]
	v_dual_fmac_f32 v15, v24, v37 :: v_dual_add_nc_u32 v10, -4, v8
	v_fmac_f32_e32 v13, v34, v37
	v_fmac_f32_e32 v17, v33, v37
	s_delay_alu instid0(VALU_DEP_3) | instskip(SKIP_4) | instid1(VALU_DEP_3)
	v_lshlrev_b64_e32 v[43:44], 3, v[10:11]
	v_add_nc_u32_e32 v10, -1, v8
	v_add_co_u32 v41, vcc_lo, s8, v41
	s_wait_alu 0xfffd
	v_add_co_ci_u32_e64 v42, null, s9, v42, vcc_lo
	v_lshlrev_b64_e32 v[45:46], 3, v[10:11]
	v_dual_fmac_f32 v13, v33, v38 :: v_dual_add_nc_u32 v10, 2, v29
	v_add_co_u32 v29, vcc_lo, s8, v43
	s_wait_alu 0xfffd
	v_add_co_ci_u32_e64 v30, null, s9, v44, vcc_lo
	s_delay_alu instid0(VALU_DEP_4)
	v_add_co_u32 v45, vcc_lo, s8, v45
	s_wait_alu 0xfffd
	v_add_co_ci_u32_e64 v46, null, s9, v46, vcc_lo
	global_load_b64 v[41:42], v[41:42], off
	v_lshlrev_b64_e32 v[43:44], 3, v[10:11]
	v_fmac_f32_e32 v15, v23, v38
	global_load_b64 v[45:46], v[45:46], off
	v_fmac_f32_e32 v16, v25, v37
	global_load_b64 v[29:30], v[29:30], off
	v_fma_f32 v17, -v34, v38, v17
	v_add_co_u32 v43, vcc_lo, s10, v43
	s_wait_alu 0xfffd
	v_add_co_ci_u32_e64 v44, null, s11, v44, vcc_lo
	global_load_b64 v[43:44], v[43:44], off
	s_wait_loadcnt 0x3
	v_dual_fmac_f32 v15, v42, v39 :: v_dual_add_nc_u32 v6, 32, v6
	s_wait_loadcnt 0x2
	v_fmac_f32_e32 v13, v46, v39
	v_fma_f32 v7, -v26, v38, v16
	v_add_nc_u32_e32 v10, -6, v8
	v_fma_f32 v16, -v24, v38, v19
	s_delay_alu instid0(VALU_DEP_4) | instskip(NEXT) | instid1(VALU_DEP_4)
	v_dual_fmac_f32 v18, v31, v37 :: v_dual_fmac_f32 v13, v45, v40
	v_fmac_f32_e32 v7, v27, v39
	s_delay_alu instid0(VALU_DEP_4) | instskip(SKIP_1) | instid1(VALU_DEP_4)
	v_lshlrev_b64_e32 v[47:48], 3, v[10:11]
	v_add_nc_u32_e32 v10, -3, v8
	v_fma_f32 v18, -v32, v38, v18
	v_fmac_f32_e32 v15, v41, v40
	v_fma_f32 v7, -v28, v40, v7
	v_fmac_f32_e32 v12, v26, v37
	v_lshlrev_b64_e32 v[9:10], 3, v[10:11]
	v_add_co_u32 v47, vcc_lo, s8, v47
	s_wait_alu 0xfffd
	v_add_co_ci_u32_e64 v48, null, s9, v48, vcc_lo
	s_wait_loadcnt 0x0
	v_fmac_f32_e32 v7, v21, v43
	v_add_co_u32 v9, vcc_lo, s8, v9
	s_wait_alu 0xfffd
	v_add_co_ci_u32_e64 v10, null, s9, v10, vcc_lo
	s_clause 0x2
	global_load_b64 v[47:48], v[47:48], off
	global_load_b64 v[9:10], v[9:10], off
	;; [unrolled: 1-line block ×3, first 2 shown]
	v_fmac_f32_e32 v16, v41, v39
	v_fmac_f32_e32 v12, v25, v38
	v_dual_fmac_f32 v17, v45, v39 :: v_dual_add_nc_u32 v8, 0x180, v8
	v_fmac_f32_e32 v18, v29, v39
	s_delay_alu instid0(VALU_DEP_4)
	v_fma_f32 v19, -v42, v40, v16
	v_fmac_f32_e32 v14, v32, v37
	v_cmp_ge_i32_e32 vcc_lo, v6, v20
	v_fma_f32 v17, -v46, v40, v17
	v_fma_f32 v18, -v30, v40, v18
	;; [unrolled: 1-line block ×3, first 2 shown]
	s_wait_alu 0xfffe
	s_or_b32 s2, vcc_lo, s2
	s_wait_loadcnt 0x2
	v_fmac_f32_e32 v19, v47, v43
	s_wait_loadcnt 0x0
	v_dual_fmac_f32 v14, v31, v38 :: v_dual_fmac_f32 v13, v36, v43
	v_fmac_f32_e32 v15, v48, v43
	v_fmac_f32_e32 v12, v28, v39
	;; [unrolled: 1-line block ×3, first 2 shown]
	s_delay_alu instid0(VALU_DEP_4)
	v_fmac_f32_e32 v14, v30, v39
	v_fmac_f32_e32 v17, v35, v43
	;; [unrolled: 1-line block ×4, first 2 shown]
	v_fma_f32 v19, -v48, v44, v19
	v_fmac_f32_e32 v14, v29, v40
	v_fma_f32 v18, -v10, v44, v18
	v_fma_f32 v17, -v36, v44, v17
	v_dual_fmac_f32 v12, v22, v43 :: v_dual_fmac_f32 v13, v35, v44
	s_delay_alu instid0(VALU_DEP_4) | instskip(NEXT) | instid1(VALU_DEP_2)
	v_fmac_f32_e32 v14, v10, v43
	v_fmac_f32_e32 v12, v21, v44
	s_delay_alu instid0(VALU_DEP_2)
	v_fmac_f32_e32 v14, v9, v44
	s_wait_alu 0xfffe
	s_and_not1_b32 exec_lo, exec_lo, s2
	s_cbranch_execnz .LBB87_13
; %bb.14:
	s_or_b32 exec_lo, exec_lo, s2
.LBB87_15:
	s_wait_alu 0xfffe
	s_or_b32 exec_lo, exec_lo, s3
.LBB87_16:
	v_mbcnt_lo_u32_b32 v6, -1, 0
	s_delay_alu instid0(VALU_DEP_1) | instskip(SKIP_1) | instid1(VALU_DEP_2)
	v_xor_b32_e32 v7, 16, v6
	v_xor_b32_e32 v23, 8, v6
	v_cmp_gt_i32_e32 vcc_lo, 32, v7
	s_wait_alu 0xfffd
	v_cndmask_b32_e32 v7, v6, v7, vcc_lo
	s_delay_alu instid0(VALU_DEP_3) | instskip(NEXT) | instid1(VALU_DEP_2)
	v_cmp_gt_i32_e32 vcc_lo, 32, v23
	v_lshlrev_b32_e32 v7, 2, v7
	ds_bpermute_b32 v10, v7, v19
	s_wait_dscnt 0x0
	v_add_f32_e32 v10, v19, v10
	ds_bpermute_b32 v8, v7, v16
	ds_bpermute_b32 v9, v7, v12
	;; [unrolled: 1-line block ×7, first 2 shown]
	s_wait_dscnt 0x6
	s_wait_alu 0xfffd
	v_dual_add_f32 v8, v16, v8 :: v_dual_cndmask_b32 v23, v6, v23
	s_wait_dscnt 0x5
	v_add_f32_e32 v9, v12, v9
	s_wait_dscnt 0x3
	v_dual_add_f32 v11, v15, v11 :: v_dual_add_f32 v12, v18, v20
	s_wait_dscnt 0x2
	v_add_f32_e32 v15, v17, v22
	s_wait_dscnt 0x1
	v_dual_add_f32 v14, v14, v21 :: v_dual_lshlrev_b32 v23, 2, v23
	ds_bpermute_b32 v17, v23, v10
	ds_bpermute_b32 v16, v23, v9
	;; [unrolled: 1-line block ×5, first 2 shown]
	s_wait_dscnt 0x4
	v_add_f32_e32 v10, v10, v17
	ds_bpermute_b32 v21, v23, v15
	v_add_f32_e32 v7, v13, v7
	ds_bpermute_b32 v13, v23, v8
	s_wait_dscnt 0x4
	v_dual_add_f32 v9, v9, v16 :: v_dual_add_f32 v12, v12, v19
	s_wait_dscnt 0x0
	v_dual_add_f32 v8, v8, v13 :: v_dual_add_f32 v13, v14, v20
	v_add_f32_e32 v14, v15, v21
	ds_bpermute_b32 v22, v23, v7
	v_xor_b32_e32 v23, 4, v6
	v_add_f32_e32 v11, v11, v18
	s_delay_alu instid0(VALU_DEP_2) | instskip(SKIP_2) | instid1(VALU_DEP_1)
	v_cmp_gt_i32_e32 vcc_lo, 32, v23
	s_wait_alu 0xfffd
	v_cndmask_b32_e32 v23, v6, v23, vcc_lo
	v_lshlrev_b32_e32 v23, 2, v23
	s_wait_dscnt 0x0
	v_add_f32_e32 v7, v7, v22
	ds_bpermute_b32 v16, v23, v9
	ds_bpermute_b32 v18, v23, v11
	;; [unrolled: 1-line block ×3, first 2 shown]
	s_wait_dscnt 0x1
	v_dual_add_f32 v9, v9, v16 :: v_dual_add_f32 v16, v11, v18
	s_wait_dscnt 0x0
	v_add_f32_e32 v18, v14, v21
	ds_bpermute_b32 v19, v23, v12
	ds_bpermute_b32 v15, v23, v8
	;; [unrolled: 1-line block ×4, first 2 shown]
	s_wait_dscnt 0x3
	v_add_f32_e32 v12, v12, v19
	ds_bpermute_b32 v20, v23, v13
	v_xor_b32_e32 v23, 2, v6
	s_wait_dscnt 0x2
	v_dual_add_f32 v8, v8, v15 :: v_dual_add_f32 v15, v10, v17
	s_wait_dscnt 0x1
	v_add_f32_e32 v19, v7, v22
	v_cmp_gt_i32_e32 vcc_lo, 32, v23
	s_wait_alu 0xfffd
	v_cndmask_b32_e32 v23, v6, v23, vcc_lo
	s_delay_alu instid0(VALU_DEP_1)
	v_lshlrev_b32_e32 v23, 2, v23
	s_wait_dscnt 0x0
	v_add_f32_e32 v17, v13, v20
	ds_bpermute_b32 v7, v23, v8
	ds_bpermute_b32 v10, v23, v9
	;; [unrolled: 1-line block ×8, first 2 shown]
	v_xor_b32_e32 v23, 1, v6
	s_delay_alu instid0(VALU_DEP_1)
	v_cmp_gt_i32_e32 vcc_lo, 32, v23
	s_wait_alu 0xfffd
	v_cndmask_b32_e32 v6, v6, v23, vcc_lo
	v_cmp_eq_u32_e32 vcc_lo, 31, v0
	s_wait_dscnt 0x5
	v_add_f32_e32 v11, v15, v11
	s_delay_alu instid0(VALU_DEP_3)
	v_dual_add_f32 v6, v8, v7 :: v_dual_lshlrev_b32 v23, 2, v6
	s_wait_dscnt 0x4
	v_dual_add_f32 v10, v9, v10 :: v_dual_add_f32 v13, v16, v13
	s_wait_dscnt 0x2
	v_dual_add_f32 v14, v12, v14 :: v_dual_add_f32 v15, v17, v20
	s_wait_dscnt 0x1
	v_add_f32_e32 v7, v18, v21
	s_wait_dscnt 0x0
	v_add_f32_e32 v9, v19, v22
	ds_bpermute_b32 v8, v23, v6
	ds_bpermute_b32 v12, v23, v10
	;; [unrolled: 1-line block ×8, first 2 shown]
	s_and_b32 exec_lo, exec_lo, vcc_lo
	s_cbranch_execz .LBB87_21
; %bb.17:
	s_load_b64 s[2:3], s[0:1], 0x38
	v_cmp_eq_f32_e32 vcc_lo, 0, v3
	v_cmp_eq_f32_e64 s0, 0, v4
	s_wait_dscnt 0x7
	v_add_f32_e32 v8, v6, v8
	s_wait_dscnt 0x0
	v_dual_add_f32 v12, v10, v12 :: v_dual_add_f32 v9, v9, v17
	v_dual_add_f32 v0, v11, v18 :: v_dual_add_f32 v11, v13, v19
	v_add_f32_e32 v6, v14, v20
	v_add_f32_e32 v10, v15, v21
	;; [unrolled: 1-line block ×3, first 2 shown]
	s_and_b32 s0, vcc_lo, s0
	s_wait_alu 0xfffe
	s_and_saveexec_b32 s1, s0
	s_wait_alu 0xfffe
	s_xor_b32 s0, exec_lo, s1
	s_cbranch_execz .LBB87_19
; %bb.18:
	v_dual_mul_f32 v14, v1, v12 :: v_dual_lshlrev_b32 v3, 2, v5
	v_mul_f32_e64 v13, v12, -v2
	v_mul_f32_e64 v15, v11, -v2
	v_mul_f32_e32 v16, v1, v11
	s_delay_alu instid0(VALU_DEP_4)
	v_ashrrev_i32_e32 v4, 31, v3
	v_mul_f32_e64 v17, v10, -v2
	v_mul_f32_e32 v18, v1, v10
	v_mul_f32_e64 v19, v9, -v2
	v_mul_f32_e32 v20, v1, v9
	v_lshlrev_b64_e32 v[3:4], 3, v[3:4]
	s_delay_alu instid0(VALU_DEP_4) | instskip(SKIP_1) | instid1(VALU_DEP_4)
	v_dual_fmac_f32 v13, v1, v8 :: v_dual_fmac_f32 v18, v2, v6
	v_dual_fmac_f32 v14, v2, v8 :: v_dual_fmac_f32 v17, v1, v6
	;; [unrolled: 1-line block ×3, first 2 shown]
	s_wait_kmcnt 0x0
	s_delay_alu instid0(VALU_DEP_4)
	v_add_co_u32 v3, vcc_lo, s2, v3
	s_wait_alu 0xfffd
	v_add_co_ci_u32_e64 v4, null, s3, v4, vcc_lo
	v_dual_fmac_f32 v16, v2, v0 :: v_dual_fmac_f32 v19, v1, v7
	s_clause 0x1
	global_store_b128 v[3:4], v[13:16], off
	global_store_b128 v[3:4], v[17:20], off offset:16
                                        ; implicit-def: $vgpr5
                                        ; implicit-def: $vgpr8
                                        ; implicit-def: $vgpr12
                                        ; implicit-def: $vgpr0
                                        ; implicit-def: $vgpr11
                                        ; implicit-def: $vgpr6
                                        ; implicit-def: $vgpr10
                                        ; implicit-def: $vgpr7
                                        ; implicit-def: $vgpr9
                                        ; implicit-def: $vgpr1_vgpr2
                                        ; implicit-def: $vgpr3_vgpr4
.LBB87_19:
	s_wait_alu 0xfffe
	s_and_not1_saveexec_b32 s0, s0
	s_cbranch_execz .LBB87_21
; %bb.20:
	v_dual_mul_f32 v22, v1, v12 :: v_dual_lshlrev_b32 v13, 2, v5
	v_mul_f32_e64 v5, v12, -v2
	v_mul_f32_e64 v23, v11, -v2
	;; [unrolled: 1-line block ×3, first 2 shown]
	s_delay_alu instid0(VALU_DEP_4) | instskip(NEXT) | instid1(VALU_DEP_4)
	v_ashrrev_i32_e32 v14, 31, v13
	v_fmac_f32_e32 v5, v1, v8
	s_delay_alu instid0(VALU_DEP_2) | instskip(SKIP_1) | instid1(VALU_DEP_1)
	v_lshlrev_b64_e32 v[13:14], 3, v[13:14]
	s_wait_kmcnt 0x0
	v_add_co_u32 v25, vcc_lo, s2, v13
	s_wait_alu 0xfffd
	s_delay_alu instid0(VALU_DEP_2)
	v_add_co_ci_u32_e64 v26, null, s3, v14, vcc_lo
	s_clause 0x1
	global_load_b128 v[13:16], v[25:26], off
	global_load_b128 v[17:20], v[25:26], off offset:16
	v_mul_f32_e32 v24, v1, v11
	v_mul_f32_e64 v11, v10, -v2
	s_delay_alu instid0(VALU_DEP_1) | instskip(SKIP_1) | instid1(VALU_DEP_1)
	v_dual_fmac_f32 v22, v2, v8 :: v_dual_fmac_f32 v11, v1, v6
	s_wait_loadcnt 0x1
	v_dual_fmac_f32 v27, v1, v7 :: v_dual_fmac_f32 v22, v4, v13
	s_wait_loadcnt 0x0
	s_delay_alu instid0(VALU_DEP_1) | instskip(SKIP_3) | instid1(VALU_DEP_4)
	v_dual_mul_f32 v12, v1, v9 :: v_dual_fmac_f32 v27, v3, v19
	v_fmac_f32_e32 v23, v1, v0
	v_fmac_f32_e32 v11, v3, v17
	;; [unrolled: 1-line block ×4, first 2 shown]
	s_delay_alu instid0(VALU_DEP_4) | instskip(NEXT) | instid1(VALU_DEP_4)
	v_dual_mul_f32 v10, v1, v10 :: v_dual_fmac_f32 v23, v3, v15
	v_fma_f32 v9, -v4, v18, v11
	v_fma_f32 v11, -v4, v20, v27
	s_delay_alu instid0(VALU_DEP_4) | instskip(NEXT) | instid1(VALU_DEP_4)
	v_fmac_f32_e32 v12, v4, v19
	v_dual_fmac_f32 v10, v2, v6 :: v_dual_fmac_f32 v5, v3, v13
	v_fmac_f32_e32 v24, v2, v0
	v_fma_f32 v23, -v4, v16, v23
	s_delay_alu instid0(VALU_DEP_4) | instskip(NEXT) | instid1(VALU_DEP_4)
	v_fmac_f32_e32 v12, v3, v20
	v_fmac_f32_e32 v10, v4, v17
	v_fma_f32 v21, -v4, v14, v5
	v_fmac_f32_e32 v24, v4, v15
	s_delay_alu instid0(VALU_DEP_3) | instskip(NEXT) | instid1(VALU_DEP_2)
	v_fmac_f32_e32 v10, v3, v18
	v_fmac_f32_e32 v24, v3, v16
	s_clause 0x1
	global_store_b128 v[25:26], v[21:24], off
	global_store_b128 v[25:26], v[9:12], off offset:16
.LBB87_21:
	s_endpgm
	.section	.rodata,"a",@progbits
	.p2align	6, 0x0
	.amdhsa_kernel _ZN9rocsparseL19gebsrmvn_4xn_kernelILj128ELj3ELj32E21rocsparse_complex_numIfEEEvi20rocsparse_direction_NS_24const_host_device_scalarIT2_EEPKiS8_PKS5_SA_S6_PS5_21rocsparse_index_base_b
		.amdhsa_group_segment_fixed_size 0
		.amdhsa_private_segment_fixed_size 0
		.amdhsa_kernarg_size 72
		.amdhsa_user_sgpr_count 2
		.amdhsa_user_sgpr_dispatch_ptr 0
		.amdhsa_user_sgpr_queue_ptr 0
		.amdhsa_user_sgpr_kernarg_segment_ptr 1
		.amdhsa_user_sgpr_dispatch_id 0
		.amdhsa_user_sgpr_private_segment_size 0
		.amdhsa_wavefront_size32 1
		.amdhsa_uses_dynamic_stack 0
		.amdhsa_enable_private_segment 0
		.amdhsa_system_sgpr_workgroup_id_x 1
		.amdhsa_system_sgpr_workgroup_id_y 0
		.amdhsa_system_sgpr_workgroup_id_z 0
		.amdhsa_system_sgpr_workgroup_info 0
		.amdhsa_system_vgpr_workitem_id 0
		.amdhsa_next_free_vgpr 51
		.amdhsa_next_free_sgpr 14
		.amdhsa_reserve_vcc 1
		.amdhsa_float_round_mode_32 0
		.amdhsa_float_round_mode_16_64 0
		.amdhsa_float_denorm_mode_32 3
		.amdhsa_float_denorm_mode_16_64 3
		.amdhsa_fp16_overflow 0
		.amdhsa_workgroup_processor_mode 1
		.amdhsa_memory_ordered 1
		.amdhsa_forward_progress 1
		.amdhsa_inst_pref_size 27
		.amdhsa_round_robin_scheduling 0
		.amdhsa_exception_fp_ieee_invalid_op 0
		.amdhsa_exception_fp_denorm_src 0
		.amdhsa_exception_fp_ieee_div_zero 0
		.amdhsa_exception_fp_ieee_overflow 0
		.amdhsa_exception_fp_ieee_underflow 0
		.amdhsa_exception_fp_ieee_inexact 0
		.amdhsa_exception_int_div_zero 0
	.end_amdhsa_kernel
	.section	.text._ZN9rocsparseL19gebsrmvn_4xn_kernelILj128ELj3ELj32E21rocsparse_complex_numIfEEEvi20rocsparse_direction_NS_24const_host_device_scalarIT2_EEPKiS8_PKS5_SA_S6_PS5_21rocsparse_index_base_b,"axG",@progbits,_ZN9rocsparseL19gebsrmvn_4xn_kernelILj128ELj3ELj32E21rocsparse_complex_numIfEEEvi20rocsparse_direction_NS_24const_host_device_scalarIT2_EEPKiS8_PKS5_SA_S6_PS5_21rocsparse_index_base_b,comdat
.Lfunc_end87:
	.size	_ZN9rocsparseL19gebsrmvn_4xn_kernelILj128ELj3ELj32E21rocsparse_complex_numIfEEEvi20rocsparse_direction_NS_24const_host_device_scalarIT2_EEPKiS8_PKS5_SA_S6_PS5_21rocsparse_index_base_b, .Lfunc_end87-_ZN9rocsparseL19gebsrmvn_4xn_kernelILj128ELj3ELj32E21rocsparse_complex_numIfEEEvi20rocsparse_direction_NS_24const_host_device_scalarIT2_EEPKiS8_PKS5_SA_S6_PS5_21rocsparse_index_base_b
                                        ; -- End function
	.set _ZN9rocsparseL19gebsrmvn_4xn_kernelILj128ELj3ELj32E21rocsparse_complex_numIfEEEvi20rocsparse_direction_NS_24const_host_device_scalarIT2_EEPKiS8_PKS5_SA_S6_PS5_21rocsparse_index_base_b.num_vgpr, 51
	.set _ZN9rocsparseL19gebsrmvn_4xn_kernelILj128ELj3ELj32E21rocsparse_complex_numIfEEEvi20rocsparse_direction_NS_24const_host_device_scalarIT2_EEPKiS8_PKS5_SA_S6_PS5_21rocsparse_index_base_b.num_agpr, 0
	.set _ZN9rocsparseL19gebsrmvn_4xn_kernelILj128ELj3ELj32E21rocsparse_complex_numIfEEEvi20rocsparse_direction_NS_24const_host_device_scalarIT2_EEPKiS8_PKS5_SA_S6_PS5_21rocsparse_index_base_b.numbered_sgpr, 14
	.set _ZN9rocsparseL19gebsrmvn_4xn_kernelILj128ELj3ELj32E21rocsparse_complex_numIfEEEvi20rocsparse_direction_NS_24const_host_device_scalarIT2_EEPKiS8_PKS5_SA_S6_PS5_21rocsparse_index_base_b.num_named_barrier, 0
	.set _ZN9rocsparseL19gebsrmvn_4xn_kernelILj128ELj3ELj32E21rocsparse_complex_numIfEEEvi20rocsparse_direction_NS_24const_host_device_scalarIT2_EEPKiS8_PKS5_SA_S6_PS5_21rocsparse_index_base_b.private_seg_size, 0
	.set _ZN9rocsparseL19gebsrmvn_4xn_kernelILj128ELj3ELj32E21rocsparse_complex_numIfEEEvi20rocsparse_direction_NS_24const_host_device_scalarIT2_EEPKiS8_PKS5_SA_S6_PS5_21rocsparse_index_base_b.uses_vcc, 1
	.set _ZN9rocsparseL19gebsrmvn_4xn_kernelILj128ELj3ELj32E21rocsparse_complex_numIfEEEvi20rocsparse_direction_NS_24const_host_device_scalarIT2_EEPKiS8_PKS5_SA_S6_PS5_21rocsparse_index_base_b.uses_flat_scratch, 0
	.set _ZN9rocsparseL19gebsrmvn_4xn_kernelILj128ELj3ELj32E21rocsparse_complex_numIfEEEvi20rocsparse_direction_NS_24const_host_device_scalarIT2_EEPKiS8_PKS5_SA_S6_PS5_21rocsparse_index_base_b.has_dyn_sized_stack, 0
	.set _ZN9rocsparseL19gebsrmvn_4xn_kernelILj128ELj3ELj32E21rocsparse_complex_numIfEEEvi20rocsparse_direction_NS_24const_host_device_scalarIT2_EEPKiS8_PKS5_SA_S6_PS5_21rocsparse_index_base_b.has_recursion, 0
	.set _ZN9rocsparseL19gebsrmvn_4xn_kernelILj128ELj3ELj32E21rocsparse_complex_numIfEEEvi20rocsparse_direction_NS_24const_host_device_scalarIT2_EEPKiS8_PKS5_SA_S6_PS5_21rocsparse_index_base_b.has_indirect_call, 0
	.section	.AMDGPU.csdata,"",@progbits
; Kernel info:
; codeLenInByte = 3388
; TotalNumSgprs: 16
; NumVgprs: 51
; ScratchSize: 0
; MemoryBound: 0
; FloatMode: 240
; IeeeMode: 1
; LDSByteSize: 0 bytes/workgroup (compile time only)
; SGPRBlocks: 0
; VGPRBlocks: 6
; NumSGPRsForWavesPerEU: 16
; NumVGPRsForWavesPerEU: 51
; Occupancy: 16
; WaveLimiterHint : 1
; COMPUTE_PGM_RSRC2:SCRATCH_EN: 0
; COMPUTE_PGM_RSRC2:USER_SGPR: 2
; COMPUTE_PGM_RSRC2:TRAP_HANDLER: 0
; COMPUTE_PGM_RSRC2:TGID_X_EN: 1
; COMPUTE_PGM_RSRC2:TGID_Y_EN: 0
; COMPUTE_PGM_RSRC2:TGID_Z_EN: 0
; COMPUTE_PGM_RSRC2:TIDIG_COMP_CNT: 0
	.section	.text._ZN9rocsparseL19gebsrmvn_4xn_kernelILj128ELj3ELj64E21rocsparse_complex_numIfEEEvi20rocsparse_direction_NS_24const_host_device_scalarIT2_EEPKiS8_PKS5_SA_S6_PS5_21rocsparse_index_base_b,"axG",@progbits,_ZN9rocsparseL19gebsrmvn_4xn_kernelILj128ELj3ELj64E21rocsparse_complex_numIfEEEvi20rocsparse_direction_NS_24const_host_device_scalarIT2_EEPKiS8_PKS5_SA_S6_PS5_21rocsparse_index_base_b,comdat
	.globl	_ZN9rocsparseL19gebsrmvn_4xn_kernelILj128ELj3ELj64E21rocsparse_complex_numIfEEEvi20rocsparse_direction_NS_24const_host_device_scalarIT2_EEPKiS8_PKS5_SA_S6_PS5_21rocsparse_index_base_b ; -- Begin function _ZN9rocsparseL19gebsrmvn_4xn_kernelILj128ELj3ELj64E21rocsparse_complex_numIfEEEvi20rocsparse_direction_NS_24const_host_device_scalarIT2_EEPKiS8_PKS5_SA_S6_PS5_21rocsparse_index_base_b
	.p2align	8
	.type	_ZN9rocsparseL19gebsrmvn_4xn_kernelILj128ELj3ELj64E21rocsparse_complex_numIfEEEvi20rocsparse_direction_NS_24const_host_device_scalarIT2_EEPKiS8_PKS5_SA_S6_PS5_21rocsparse_index_base_b,@function
_ZN9rocsparseL19gebsrmvn_4xn_kernelILj128ELj3ELj64E21rocsparse_complex_numIfEEEvi20rocsparse_direction_NS_24const_host_device_scalarIT2_EEPKiS8_PKS5_SA_S6_PS5_21rocsparse_index_base_b: ; @_ZN9rocsparseL19gebsrmvn_4xn_kernelILj128ELj3ELj64E21rocsparse_complex_numIfEEEvi20rocsparse_direction_NS_24const_host_device_scalarIT2_EEPKiS8_PKS5_SA_S6_PS5_21rocsparse_index_base_b
; %bb.0:
	s_clause 0x2
	s_load_b64 s[12:13], s[0:1], 0x40
	s_load_b64 s[2:3], s[0:1], 0x8
	;; [unrolled: 1-line block ×3, first 2 shown]
	s_add_nc_u64 s[6:7], s[0:1], 8
	s_wait_kmcnt 0x0
	s_bitcmp1_b32 s13, 0
	s_cselect_b32 s2, s6, s2
	s_cselect_b32 s3, s7, s3
	s_delay_alu instid0(SALU_CYCLE_1)
	v_dual_mov_b32 v1, s2 :: v_dual_mov_b32 v2, s3
	s_add_nc_u64 s[2:3], s[0:1], 48
	s_wait_alu 0xfffe
	s_cselect_b32 s2, s2, s4
	s_cselect_b32 s3, s3, s5
	flat_load_b64 v[1:2], v[1:2]
	s_wait_alu 0xfffe
	v_dual_mov_b32 v3, s2 :: v_dual_mov_b32 v4, s3
	flat_load_b64 v[3:4], v[3:4]
	s_wait_loadcnt_dscnt 0x101
	v_cmp_eq_f32_e32 vcc_lo, 0, v1
	v_cmp_eq_f32_e64 s2, 0, v2
	s_and_b32 s4, vcc_lo, s2
	s_mov_b32 s2, -1
	s_and_saveexec_b32 s3, s4
	s_cbranch_execz .LBB88_2
; %bb.1:
	s_wait_loadcnt_dscnt 0x0
	v_cmp_neq_f32_e32 vcc_lo, 1.0, v3
	v_cmp_neq_f32_e64 s2, 0, v4
	s_wait_alu 0xfffe
	s_or_b32 s2, vcc_lo, s2
	s_wait_alu 0xfffe
	s_or_not1_b32 s2, s2, exec_lo
.LBB88_2:
	s_wait_alu 0xfffe
	s_or_b32 exec_lo, exec_lo, s3
	s_and_saveexec_b32 s3, s2
	s_cbranch_execz .LBB88_21
; %bb.3:
	s_load_b64 s[2:3], s[0:1], 0x0
	v_lshrrev_b32_e32 v5, 6, v0
	s_delay_alu instid0(VALU_DEP_1) | instskip(SKIP_1) | instid1(VALU_DEP_1)
	v_lshl_or_b32 v5, ttmp9, 1, v5
	s_wait_kmcnt 0x0
	v_cmp_gt_i32_e32 vcc_lo, s2, v5
	s_and_b32 exec_lo, exec_lo, vcc_lo
	s_cbranch_execz .LBB88_21
; %bb.4:
	s_load_b256 s[4:11], s[0:1], 0x10
	v_ashrrev_i32_e32 v6, 31, v5
	v_and_b32_e32 v0, 63, v0
	s_cmp_lg_u32 s3, 0
	s_delay_alu instid0(VALU_DEP_2) | instskip(SKIP_1) | instid1(VALU_DEP_1)
	v_lshlrev_b64_e32 v[6:7], 2, v[5:6]
	s_wait_kmcnt 0x0
	v_add_co_u32 v6, vcc_lo, s4, v6
	s_delay_alu instid0(VALU_DEP_1) | instskip(SKIP_4) | instid1(VALU_DEP_2)
	v_add_co_ci_u32_e64 v7, null, s5, v7, vcc_lo
	global_load_b64 v[6:7], v[6:7], off
	s_wait_loadcnt 0x0
	v_subrev_nc_u32_e32 v6, s12, v6
	v_subrev_nc_u32_e32 v20, s12, v7
	v_add_nc_u32_e32 v6, v6, v0
	s_delay_alu instid0(VALU_DEP_1)
	v_cmp_lt_i32_e64 s2, v6, v20
	s_cbranch_scc0 .LBB88_10
; %bb.5:
	v_dual_mov_b32 v12, 0 :: v_dual_mov_b32 v17, 0
	v_dual_mov_b32 v16, 0 :: v_dual_mov_b32 v13, 0
	;; [unrolled: 1-line block ×4, first 2 shown]
	s_and_saveexec_b32 s3, s2
	s_cbranch_execz .LBB88_9
; %bb.6:
	v_dual_mov_b32 v8, 0 :: v_dual_mov_b32 v9, v6
	v_mul_lo_u32 v7, v6, 12
	s_mov_b32 s4, 0
	s_delay_alu instid0(VALU_DEP_2)
	v_dual_mov_b32 v12, v8 :: v_dual_mov_b32 v17, v8
	v_dual_mov_b32 v16, v8 :: v_dual_mov_b32 v13, v8
	;; [unrolled: 1-line block ×4, first 2 shown]
.LBB88_7:                               ; =>This Inner Loop Header: Depth=1
	v_ashrrev_i32_e32 v10, 31, v9
	v_dual_mov_b32 v22, v8 :: v_dual_add_nc_u32 v21, 4, v7
	v_dual_mov_b32 v24, v8 :: v_dual_add_nc_u32 v23, 8, v7
	s_delay_alu instid0(VALU_DEP_3) | instskip(SKIP_1) | instid1(VALU_DEP_4)
	v_lshlrev_b64_e32 v[10:11], 2, v[9:10]
	v_mov_b32_e32 v50, v8
	v_lshlrev_b64_e32 v[21:22], 3, v[21:22]
	s_delay_alu instid0(VALU_DEP_4) | instskip(NEXT) | instid1(VALU_DEP_4)
	v_lshlrev_b64_e32 v[23:24], 3, v[23:24]
	v_add_co_u32 v10, vcc_lo, s6, v10
	s_wait_alu 0xfffd
	v_add_co_ci_u32_e64 v11, null, s7, v11, vcc_lo
	global_load_b32 v45, v[10:11], off
	v_lshlrev_b64_e32 v[10:11], 3, v[7:8]
	v_add_nc_u32_e32 v7, 0x300, v7
	s_delay_alu instid0(VALU_DEP_2) | instskip(SKIP_1) | instid1(VALU_DEP_3)
	v_add_co_u32 v10, vcc_lo, s8, v10
	s_wait_alu 0xfffd
	v_add_co_ci_u32_e64 v11, null, s9, v11, vcc_lo
	v_add_co_u32 v33, vcc_lo, s8, v21
	s_wait_alu 0xfffd
	v_add_co_ci_u32_e64 v34, null, s9, v22, vcc_lo
	;; [unrolled: 3-line block ×3, first 2 shown]
	s_clause 0x5
	global_load_b128 v[21:24], v[10:11], off offset:16
	global_load_b128 v[25:28], v[10:11], off
	global_load_b128 v[29:32], v[33:34], off offset:16
	global_load_b128 v[33:36], v[33:34], off
	;; [unrolled: 2-line block ×3, first 2 shown]
	s_wait_loadcnt 0x6
	v_subrev_nc_u32_e32 v10, s12, v45
	s_delay_alu instid0(VALU_DEP_1) | instskip(SKIP_1) | instid1(VALU_DEP_2)
	v_lshl_add_u32 v45, v10, 1, v10
	v_mov_b32_e32 v46, v8
	v_dual_mov_b32 v48, v8 :: v_dual_add_nc_u32 v49, 2, v45
	v_add_nc_u32_e32 v47, 1, v45
	s_delay_alu instid0(VALU_DEP_3) | instskip(NEXT) | instid1(VALU_DEP_2)
	v_lshlrev_b64_e32 v[10:11], 3, v[45:46]
	v_lshlrev_b64_e32 v[45:46], 3, v[47:48]
	s_delay_alu instid0(VALU_DEP_4) | instskip(NEXT) | instid1(VALU_DEP_3)
	v_lshlrev_b64_e32 v[47:48], 3, v[49:50]
	v_add_co_u32 v10, vcc_lo, s10, v10
	s_wait_alu 0xfffd
	s_delay_alu instid0(VALU_DEP_4) | instskip(NEXT) | instid1(VALU_DEP_4)
	v_add_co_ci_u32_e64 v11, null, s11, v11, vcc_lo
	v_add_co_u32 v45, vcc_lo, s10, v45
	s_wait_alu 0xfffd
	v_add_co_ci_u32_e64 v46, null, s11, v46, vcc_lo
	global_load_b64 v[10:11], v[10:11], off
	v_add_co_u32 v47, vcc_lo, s10, v47
	s_wait_alu 0xfffd
	v_add_co_ci_u32_e64 v48, null, s11, v48, vcc_lo
	s_clause 0x1
	global_load_b64 v[45:46], v[45:46], off
	global_load_b64 v[47:48], v[47:48], off
	s_wait_loadcnt 0x2
	v_dual_fmac_f32 v16, v25, v10 :: v_dual_add_nc_u32 v9, 64, v9
	v_fmac_f32_e32 v14, v22, v10
	v_fmac_f32_e32 v15, v28, v10
	;; [unrolled: 1-line block ×3, first 2 shown]
	s_delay_alu instid0(VALU_DEP_4) | instskip(NEXT) | instid1(VALU_DEP_4)
	v_cmp_ge_i32_e32 vcc_lo, v9, v20
	v_fmac_f32_e32 v14, v21, v11
	s_delay_alu instid0(VALU_DEP_4) | instskip(SKIP_3) | instid1(VALU_DEP_2)
	v_dual_fmac_f32 v12, v26, v10 :: v_dual_fmac_f32 v15, v27, v11
	v_fmac_f32_e32 v19, v27, v10
	s_wait_alu 0xfffe
	s_or_b32 s4, vcc_lo, s4
	v_dual_fmac_f32 v12, v25, v11 :: v_dual_fmac_f32 v13, v24, v10
	s_wait_loadcnt 0x1
	v_fmac_f32_e32 v15, v36, v45
	s_delay_alu instid0(VALU_DEP_2) | instskip(NEXT) | instid1(VALU_DEP_3)
	v_fmac_f32_e32 v12, v34, v45
	v_dual_fmac_f32 v18, v21, v10 :: v_dual_fmac_f32 v13, v23, v11
	v_fma_f32 v10, -v26, v11, v16
	v_fma_f32 v16, -v28, v11, v19
	v_fmac_f32_e32 v15, v35, v46
	s_delay_alu instid0(VALU_DEP_4)
	v_fma_f32 v18, -v22, v11, v18
	v_fmac_f32_e32 v13, v32, v45
	v_fmac_f32_e32 v10, v33, v45
	v_fma_f32 v17, -v24, v11, v17
	s_wait_loadcnt 0x0
	v_dual_fmac_f32 v16, v35, v45 :: v_dual_fmac_f32 v15, v44, v47
	v_fmac_f32_e32 v18, v29, v45
	v_dual_fmac_f32 v14, v30, v45 :: v_dual_fmac_f32 v13, v31, v46
	v_dual_fmac_f32 v17, v31, v45 :: v_dual_fmac_f32 v12, v33, v46
	v_fma_f32 v10, -v34, v46, v10
	v_fma_f32 v11, -v36, v46, v16
	;; [unrolled: 1-line block ×3, first 2 shown]
	v_fmac_f32_e32 v14, v29, v46
	v_fma_f32 v17, -v32, v46, v17
	v_fmac_f32_e32 v13, v40, v47
	v_dual_fmac_f32 v10, v41, v47 :: v_dual_fmac_f32 v15, v43, v48
	v_fmac_f32_e32 v12, v42, v47
	v_fmac_f32_e32 v18, v37, v47
	;; [unrolled: 1-line block ×5, first 2 shown]
	v_dual_fmac_f32 v11, v43, v47 :: v_dual_fmac_f32 v12, v41, v48
	v_fma_f32 v16, -v42, v48, v10
	v_fma_f32 v18, -v38, v48, v18
	v_fmac_f32_e32 v14, v37, v48
	s_delay_alu instid0(VALU_DEP_4)
	v_fma_f32 v19, -v44, v48, v11
	v_fma_f32 v17, -v40, v48, v17
	s_wait_alu 0xfffe
	s_and_not1_b32 exec_lo, exec_lo, s4
	s_cbranch_execnz .LBB88_7
; %bb.8:
	s_or_b32 exec_lo, exec_lo, s4
.LBB88_9:
	s_wait_alu 0xfffe
	s_or_b32 exec_lo, exec_lo, s3
	s_cbranch_execz .LBB88_11
	s_branch .LBB88_16
.LBB88_10:
                                        ; implicit-def: $vgpr12
                                        ; implicit-def: $vgpr16
                                        ; implicit-def: $vgpr17
                                        ; implicit-def: $vgpr13
                                        ; implicit-def: $vgpr18
                                        ; implicit-def: $vgpr14
                                        ; implicit-def: $vgpr19
                                        ; implicit-def: $vgpr15
.LBB88_11:
	v_dual_mov_b32 v12, 0 :: v_dual_mov_b32 v17, 0
	v_dual_mov_b32 v16, 0 :: v_dual_mov_b32 v13, 0
	v_dual_mov_b32 v18, 0 :: v_dual_mov_b32 v19, 0
	v_dual_mov_b32 v14, 0 :: v_dual_mov_b32 v15, 0
	s_and_saveexec_b32 s3, s2
	s_cbranch_execz .LBB88_15
; %bb.12:
	v_mad_co_u64_u32 v[8:9], null, v6, 12, 11
	v_dual_mov_b32 v11, 0 :: v_dual_mov_b32 v12, 0
	v_dual_mov_b32 v16, 0 :: v_dual_mov_b32 v17, 0
	;; [unrolled: 1-line block ×4, first 2 shown]
	v_mov_b32_e32 v15, 0
	s_mov_b32 s2, 0
.LBB88_13:                              ; =>This Inner Loop Header: Depth=1
	v_ashrrev_i32_e32 v7, 31, v6
	v_dual_mov_b32 v30, v11 :: v_dual_add_nc_u32 v21, -5, v8
	v_dual_mov_b32 v22, v11 :: v_dual_add_nc_u32 v23, -2, v8
	s_delay_alu instid0(VALU_DEP_3) | instskip(SKIP_1) | instid1(VALU_DEP_3)
	v_lshlrev_b64_e32 v[9:10], 2, v[6:7]
	v_mov_b32_e32 v24, v11
	v_lshlrev_b64_e32 v[21:22], 3, v[21:22]
	s_delay_alu instid0(VALU_DEP_2) | instskip(NEXT) | instid1(VALU_DEP_4)
	v_lshlrev_b64_e32 v[23:24], 3, v[23:24]
	v_add_co_u32 v9, vcc_lo, s6, v9
	s_wait_alu 0xfffd
	v_add_co_ci_u32_e64 v10, null, s7, v10, vcc_lo
	global_load_b32 v7, v[9:10], off
	v_dual_mov_b32 v9, v11 :: v_dual_add_nc_u32 v10, -11, v8
	s_delay_alu instid0(VALU_DEP_1) | instskip(NEXT) | instid1(VALU_DEP_2)
	v_lshlrev_b64_e32 v[25:26], 3, v[10:11]
	v_lshlrev_b64_e32 v[9:10], 3, v[8:9]
	s_delay_alu instid0(VALU_DEP_2) | instskip(SKIP_1) | instid1(VALU_DEP_3)
	v_add_co_u32 v25, vcc_lo, s8, v25
	s_wait_alu 0xfffd
	v_add_co_ci_u32_e64 v26, null, s9, v26, vcc_lo
	v_add_co_u32 v31, vcc_lo, s8, v21
	s_wait_alu 0xfffd
	v_add_co_ci_u32_e64 v32, null, s9, v22, vcc_lo
	;; [unrolled: 3-line block ×4, first 2 shown]
	s_clause 0x3
	global_load_b128 v[21:24], v[25:26], off offset:16
	global_load_b128 v[25:28], v[25:26], off
	global_load_b64 v[31:32], v[31:32], off
	global_load_b64 v[33:34], v[33:34], off
	s_wait_loadcnt 0x4
	v_subrev_nc_u32_e32 v7, s12, v7
	s_delay_alu instid0(VALU_DEP_1) | instskip(NEXT) | instid1(VALU_DEP_1)
	v_lshl_add_u32 v29, v7, 1, v7
	v_lshlrev_b64_e32 v[37:38], 3, v[29:30]
	s_delay_alu instid0(VALU_DEP_1) | instskip(SKIP_1) | instid1(VALU_DEP_2)
	v_add_co_u32 v37, vcc_lo, s10, v37
	s_wait_alu 0xfffd
	v_add_co_ci_u32_e64 v38, null, s11, v38, vcc_lo
	global_load_b64 v[37:38], v[37:38], off
	v_add_nc_u32_e32 v10, 1, v29
	s_delay_alu instid0(VALU_DEP_1) | instskip(NEXT) | instid1(VALU_DEP_1)
	v_lshlrev_b64_e32 v[39:40], 3, v[10:11]
	v_add_co_u32 v39, vcc_lo, s10, v39
	s_wait_alu 0xfffd
	s_delay_alu instid0(VALU_DEP_2) | instskip(SKIP_3) | instid1(VALU_DEP_1)
	v_add_co_ci_u32_e64 v40, null, s11, v40, vcc_lo
	global_load_b64 v[39:40], v[39:40], off
	s_wait_loadcnt 0x1
	v_dual_fmac_f32 v19, v23, v37 :: v_dual_add_nc_u32 v10, -7, v8
	v_lshlrev_b64_e32 v[41:42], 3, v[10:11]
	v_dual_fmac_f32 v15, v24, v37 :: v_dual_add_nc_u32 v10, -4, v8
	v_fmac_f32_e32 v13, v34, v37
	v_fmac_f32_e32 v17, v33, v37
	s_delay_alu instid0(VALU_DEP_3) | instskip(SKIP_4) | instid1(VALU_DEP_3)
	v_lshlrev_b64_e32 v[43:44], 3, v[10:11]
	v_add_nc_u32_e32 v10, -1, v8
	v_add_co_u32 v41, vcc_lo, s8, v41
	s_wait_alu 0xfffd
	v_add_co_ci_u32_e64 v42, null, s9, v42, vcc_lo
	v_lshlrev_b64_e32 v[45:46], 3, v[10:11]
	v_dual_fmac_f32 v13, v33, v38 :: v_dual_add_nc_u32 v10, 2, v29
	v_add_co_u32 v29, vcc_lo, s8, v43
	s_wait_alu 0xfffd
	v_add_co_ci_u32_e64 v30, null, s9, v44, vcc_lo
	s_delay_alu instid0(VALU_DEP_4)
	v_add_co_u32 v45, vcc_lo, s8, v45
	s_wait_alu 0xfffd
	v_add_co_ci_u32_e64 v46, null, s9, v46, vcc_lo
	global_load_b64 v[41:42], v[41:42], off
	v_lshlrev_b64_e32 v[43:44], 3, v[10:11]
	v_fmac_f32_e32 v15, v23, v38
	global_load_b64 v[45:46], v[45:46], off
	v_fmac_f32_e32 v16, v25, v37
	global_load_b64 v[29:30], v[29:30], off
	v_fma_f32 v17, -v34, v38, v17
	v_add_co_u32 v43, vcc_lo, s10, v43
	s_wait_alu 0xfffd
	v_add_co_ci_u32_e64 v44, null, s11, v44, vcc_lo
	global_load_b64 v[43:44], v[43:44], off
	s_wait_loadcnt 0x3
	v_dual_fmac_f32 v15, v42, v39 :: v_dual_add_nc_u32 v6, 64, v6
	s_wait_loadcnt 0x2
	v_fmac_f32_e32 v13, v46, v39
	v_fma_f32 v7, -v26, v38, v16
	v_add_nc_u32_e32 v10, -6, v8
	v_fma_f32 v16, -v24, v38, v19
	s_delay_alu instid0(VALU_DEP_4) | instskip(NEXT) | instid1(VALU_DEP_4)
	v_dual_fmac_f32 v18, v31, v37 :: v_dual_fmac_f32 v13, v45, v40
	v_fmac_f32_e32 v7, v27, v39
	s_delay_alu instid0(VALU_DEP_4) | instskip(SKIP_1) | instid1(VALU_DEP_4)
	v_lshlrev_b64_e32 v[47:48], 3, v[10:11]
	v_add_nc_u32_e32 v10, -3, v8
	v_fma_f32 v18, -v32, v38, v18
	v_fmac_f32_e32 v15, v41, v40
	v_fma_f32 v7, -v28, v40, v7
	v_fmac_f32_e32 v12, v26, v37
	v_lshlrev_b64_e32 v[9:10], 3, v[10:11]
	v_add_co_u32 v47, vcc_lo, s8, v47
	s_wait_alu 0xfffd
	v_add_co_ci_u32_e64 v48, null, s9, v48, vcc_lo
	s_wait_loadcnt 0x0
	v_fmac_f32_e32 v7, v21, v43
	v_add_co_u32 v9, vcc_lo, s8, v9
	s_wait_alu 0xfffd
	v_add_co_ci_u32_e64 v10, null, s9, v10, vcc_lo
	s_clause 0x2
	global_load_b64 v[47:48], v[47:48], off
	global_load_b64 v[9:10], v[9:10], off
	;; [unrolled: 1-line block ×3, first 2 shown]
	v_fmac_f32_e32 v16, v41, v39
	v_fmac_f32_e32 v12, v25, v38
	v_dual_fmac_f32 v17, v45, v39 :: v_dual_add_nc_u32 v8, 0x300, v8
	v_fmac_f32_e32 v18, v29, v39
	s_delay_alu instid0(VALU_DEP_4)
	v_fma_f32 v19, -v42, v40, v16
	v_fmac_f32_e32 v14, v32, v37
	v_cmp_ge_i32_e32 vcc_lo, v6, v20
	v_fma_f32 v17, -v46, v40, v17
	v_fma_f32 v18, -v30, v40, v18
	;; [unrolled: 1-line block ×3, first 2 shown]
	s_wait_alu 0xfffe
	s_or_b32 s2, vcc_lo, s2
	s_wait_loadcnt 0x2
	v_fmac_f32_e32 v19, v47, v43
	s_wait_loadcnt 0x0
	v_dual_fmac_f32 v14, v31, v38 :: v_dual_fmac_f32 v13, v36, v43
	v_fmac_f32_e32 v15, v48, v43
	v_fmac_f32_e32 v12, v28, v39
	;; [unrolled: 1-line block ×3, first 2 shown]
	s_delay_alu instid0(VALU_DEP_4)
	v_fmac_f32_e32 v14, v30, v39
	v_fmac_f32_e32 v17, v35, v43
	;; [unrolled: 1-line block ×4, first 2 shown]
	v_fma_f32 v19, -v48, v44, v19
	v_fmac_f32_e32 v14, v29, v40
	v_fma_f32 v18, -v10, v44, v18
	v_fma_f32 v17, -v36, v44, v17
	v_dual_fmac_f32 v12, v22, v43 :: v_dual_fmac_f32 v13, v35, v44
	s_delay_alu instid0(VALU_DEP_4) | instskip(NEXT) | instid1(VALU_DEP_2)
	v_fmac_f32_e32 v14, v10, v43
	v_fmac_f32_e32 v12, v21, v44
	s_delay_alu instid0(VALU_DEP_2)
	v_fmac_f32_e32 v14, v9, v44
	s_wait_alu 0xfffe
	s_and_not1_b32 exec_lo, exec_lo, s2
	s_cbranch_execnz .LBB88_13
; %bb.14:
	s_or_b32 exec_lo, exec_lo, s2
.LBB88_15:
	s_wait_alu 0xfffe
	s_or_b32 exec_lo, exec_lo, s3
.LBB88_16:
	v_mbcnt_lo_u32_b32 v6, -1, 0
	s_delay_alu instid0(VALU_DEP_1) | instskip(SKIP_1) | instid1(VALU_DEP_2)
	v_or_b32_e32 v7, 32, v6
	v_xor_b32_e32 v23, 16, v6
	v_cmp_gt_i32_e32 vcc_lo, 32, v7
	s_wait_alu 0xfffd
	v_cndmask_b32_e32 v7, v6, v7, vcc_lo
	s_delay_alu instid0(VALU_DEP_3) | instskip(NEXT) | instid1(VALU_DEP_2)
	v_cmp_gt_i32_e32 vcc_lo, 32, v23
	v_lshlrev_b32_e32 v7, 2, v7
	ds_bpermute_b32 v10, v7, v19
	s_wait_dscnt 0x0
	v_add_f32_e32 v10, v19, v10
	ds_bpermute_b32 v8, v7, v16
	ds_bpermute_b32 v9, v7, v12
	;; [unrolled: 1-line block ×7, first 2 shown]
	s_wait_dscnt 0x6
	s_wait_alu 0xfffd
	v_dual_add_f32 v8, v16, v8 :: v_dual_cndmask_b32 v23, v6, v23
	s_wait_dscnt 0x5
	v_add_f32_e32 v9, v12, v9
	s_wait_dscnt 0x3
	v_dual_add_f32 v11, v15, v11 :: v_dual_add_f32 v12, v18, v20
	s_wait_dscnt 0x2
	v_add_f32_e32 v15, v17, v22
	s_wait_dscnt 0x1
	v_dual_add_f32 v14, v14, v21 :: v_dual_lshlrev_b32 v23, 2, v23
	ds_bpermute_b32 v17, v23, v10
	ds_bpermute_b32 v16, v23, v9
	;; [unrolled: 1-line block ×5, first 2 shown]
	s_wait_dscnt 0x4
	v_add_f32_e32 v10, v10, v17
	ds_bpermute_b32 v21, v23, v15
	v_add_f32_e32 v7, v13, v7
	ds_bpermute_b32 v13, v23, v8
	s_wait_dscnt 0x4
	v_dual_add_f32 v9, v9, v16 :: v_dual_add_f32 v12, v12, v19
	s_wait_dscnt 0x0
	v_dual_add_f32 v8, v8, v13 :: v_dual_add_f32 v13, v14, v20
	v_add_f32_e32 v14, v15, v21
	ds_bpermute_b32 v22, v23, v7
	v_xor_b32_e32 v23, 8, v6
	s_delay_alu instid0(VALU_DEP_1) | instskip(SKIP_2) | instid1(VALU_DEP_1)
	v_cmp_gt_i32_e32 vcc_lo, 32, v23
	s_wait_alu 0xfffd
	v_cndmask_b32_e32 v23, v6, v23, vcc_lo
	v_lshlrev_b32_e32 v23, 2, v23
	ds_bpermute_b32 v17, v23, v10
	s_wait_dscnt 0x0
	v_add_f32_e32 v10, v10, v17
	ds_bpermute_b32 v15, v23, v8
	ds_bpermute_b32 v19, v23, v12
	;; [unrolled: 1-line block ×3, first 2 shown]
	v_add_f32_e32 v11, v11, v18
	v_add_f32_e32 v7, v7, v22
	ds_bpermute_b32 v16, v23, v9
	s_wait_dscnt 0x3
	v_add_f32_e32 v8, v8, v15
	ds_bpermute_b32 v18, v23, v11
	s_wait_dscnt 0x3
	;; [unrolled: 3-line block ×3, first 2 shown]
	v_add_f32_e32 v14, v14, v21
	ds_bpermute_b32 v22, v23, v7
	v_xor_b32_e32 v23, 4, v6
	s_wait_dscnt 0x3
	v_add_f32_e32 v9, v9, v16
	s_delay_alu instid0(VALU_DEP_2) | instskip(SKIP_2) | instid1(VALU_DEP_1)
	v_cmp_gt_i32_e32 vcc_lo, 32, v23
	s_wait_alu 0xfffd
	v_cndmask_b32_e32 v23, v6, v23, vcc_lo
	v_lshlrev_b32_e32 v23, 2, v23
	s_wait_dscnt 0x2
	v_add_f32_e32 v11, v11, v18
	s_wait_dscnt 0x1
	v_add_f32_e32 v13, v13, v20
	;; [unrolled: 2-line block ×3, first 2 shown]
	ds_bpermute_b32 v16, v23, v9
	ds_bpermute_b32 v18, v23, v11
	;; [unrolled: 1-line block ×3, first 2 shown]
	s_wait_dscnt 0x1
	v_dual_add_f32 v9, v9, v16 :: v_dual_add_f32 v16, v11, v18
	s_wait_dscnt 0x0
	v_add_f32_e32 v18, v14, v21
	ds_bpermute_b32 v15, v23, v8
	ds_bpermute_b32 v17, v23, v10
	;; [unrolled: 1-line block ×5, first 2 shown]
	v_xor_b32_e32 v23, 2, v6
	s_delay_alu instid0(VALU_DEP_1) | instskip(SKIP_2) | instid1(VALU_DEP_1)
	v_cmp_gt_i32_e32 vcc_lo, 32, v23
	s_wait_alu 0xfffd
	v_cndmask_b32_e32 v23, v6, v23, vcc_lo
	v_lshlrev_b32_e32 v23, 2, v23
	s_wait_dscnt 0x3
	v_dual_add_f32 v8, v8, v15 :: v_dual_add_f32 v15, v10, v17
	s_wait_dscnt 0x1
	v_dual_add_f32 v12, v12, v19 :: v_dual_add_f32 v17, v13, v20
	s_wait_dscnt 0x0
	v_add_f32_e32 v19, v7, v22
	ds_bpermute_b32 v7, v23, v8
	ds_bpermute_b32 v10, v23, v9
	;; [unrolled: 1-line block ×8, first 2 shown]
	v_xor_b32_e32 v23, 1, v6
	s_delay_alu instid0(VALU_DEP_1)
	v_cmp_gt_i32_e32 vcc_lo, 32, v23
	s_wait_alu 0xfffd
	v_cndmask_b32_e32 v6, v6, v23, vcc_lo
	v_cmp_eq_u32_e32 vcc_lo, 63, v0
	s_wait_dscnt 0x5
	v_add_f32_e32 v11, v15, v11
	s_delay_alu instid0(VALU_DEP_3)
	v_dual_add_f32 v6, v8, v7 :: v_dual_lshlrev_b32 v23, 2, v6
	s_wait_dscnt 0x4
	v_dual_add_f32 v10, v9, v10 :: v_dual_add_f32 v13, v16, v13
	s_wait_dscnt 0x2
	v_dual_add_f32 v14, v12, v14 :: v_dual_add_f32 v15, v17, v20
	s_wait_dscnt 0x1
	v_add_f32_e32 v7, v18, v21
	s_wait_dscnt 0x0
	v_add_f32_e32 v9, v19, v22
	ds_bpermute_b32 v8, v23, v6
	ds_bpermute_b32 v12, v23, v10
	ds_bpermute_b32 v18, v23, v11
	ds_bpermute_b32 v19, v23, v13
	ds_bpermute_b32 v20, v23, v14
	ds_bpermute_b32 v21, v23, v15
	ds_bpermute_b32 v16, v23, v7
	ds_bpermute_b32 v17, v23, v9
	s_and_b32 exec_lo, exec_lo, vcc_lo
	s_cbranch_execz .LBB88_21
; %bb.17:
	s_load_b64 s[2:3], s[0:1], 0x38
	v_cmp_eq_f32_e32 vcc_lo, 0, v3
	v_cmp_eq_f32_e64 s0, 0, v4
	s_wait_dscnt 0x7
	v_add_f32_e32 v8, v6, v8
	s_wait_dscnt 0x0
	v_dual_add_f32 v12, v10, v12 :: v_dual_add_f32 v9, v9, v17
	v_dual_add_f32 v0, v11, v18 :: v_dual_add_f32 v11, v13, v19
	v_add_f32_e32 v6, v14, v20
	v_add_f32_e32 v10, v15, v21
	v_add_f32_e32 v7, v7, v16
	s_and_b32 s0, vcc_lo, s0
	s_wait_alu 0xfffe
	s_and_saveexec_b32 s1, s0
	s_wait_alu 0xfffe
	s_xor_b32 s0, exec_lo, s1
	s_cbranch_execz .LBB88_19
; %bb.18:
	v_dual_mul_f32 v14, v1, v12 :: v_dual_lshlrev_b32 v3, 2, v5
	v_mul_f32_e64 v13, v12, -v2
	v_mul_f32_e64 v15, v11, -v2
	v_mul_f32_e32 v16, v1, v11
	s_delay_alu instid0(VALU_DEP_4)
	v_ashrrev_i32_e32 v4, 31, v3
	v_mul_f32_e64 v17, v10, -v2
	v_mul_f32_e32 v18, v1, v10
	v_mul_f32_e64 v19, v9, -v2
	v_mul_f32_e32 v20, v1, v9
	v_lshlrev_b64_e32 v[3:4], 3, v[3:4]
	s_delay_alu instid0(VALU_DEP_4) | instskip(SKIP_1) | instid1(VALU_DEP_4)
	v_dual_fmac_f32 v13, v1, v8 :: v_dual_fmac_f32 v18, v2, v6
	v_dual_fmac_f32 v14, v2, v8 :: v_dual_fmac_f32 v17, v1, v6
	;; [unrolled: 1-line block ×3, first 2 shown]
	s_wait_kmcnt 0x0
	s_delay_alu instid0(VALU_DEP_4)
	v_add_co_u32 v3, vcc_lo, s2, v3
	s_wait_alu 0xfffd
	v_add_co_ci_u32_e64 v4, null, s3, v4, vcc_lo
	v_dual_fmac_f32 v16, v2, v0 :: v_dual_fmac_f32 v19, v1, v7
	s_clause 0x1
	global_store_b128 v[3:4], v[13:16], off
	global_store_b128 v[3:4], v[17:20], off offset:16
                                        ; implicit-def: $vgpr5
                                        ; implicit-def: $vgpr8
                                        ; implicit-def: $vgpr12
                                        ; implicit-def: $vgpr0
                                        ; implicit-def: $vgpr11
                                        ; implicit-def: $vgpr6
                                        ; implicit-def: $vgpr10
                                        ; implicit-def: $vgpr7
                                        ; implicit-def: $vgpr9
                                        ; implicit-def: $vgpr1_vgpr2
                                        ; implicit-def: $vgpr3_vgpr4
.LBB88_19:
	s_wait_alu 0xfffe
	s_and_not1_saveexec_b32 s0, s0
	s_cbranch_execz .LBB88_21
; %bb.20:
	v_dual_mul_f32 v22, v1, v12 :: v_dual_lshlrev_b32 v13, 2, v5
	v_mul_f32_e64 v5, v12, -v2
	v_mul_f32_e64 v23, v11, -v2
	;; [unrolled: 1-line block ×3, first 2 shown]
	s_delay_alu instid0(VALU_DEP_4) | instskip(NEXT) | instid1(VALU_DEP_4)
	v_ashrrev_i32_e32 v14, 31, v13
	v_fmac_f32_e32 v5, v1, v8
	s_delay_alu instid0(VALU_DEP_2) | instskip(SKIP_1) | instid1(VALU_DEP_1)
	v_lshlrev_b64_e32 v[13:14], 3, v[13:14]
	s_wait_kmcnt 0x0
	v_add_co_u32 v25, vcc_lo, s2, v13
	s_wait_alu 0xfffd
	s_delay_alu instid0(VALU_DEP_2)
	v_add_co_ci_u32_e64 v26, null, s3, v14, vcc_lo
	s_clause 0x1
	global_load_b128 v[13:16], v[25:26], off
	global_load_b128 v[17:20], v[25:26], off offset:16
	v_mul_f32_e32 v24, v1, v11
	v_mul_f32_e64 v11, v10, -v2
	s_delay_alu instid0(VALU_DEP_1) | instskip(SKIP_1) | instid1(VALU_DEP_1)
	v_dual_fmac_f32 v22, v2, v8 :: v_dual_fmac_f32 v11, v1, v6
	s_wait_loadcnt 0x1
	v_dual_fmac_f32 v27, v1, v7 :: v_dual_fmac_f32 v22, v4, v13
	s_wait_loadcnt 0x0
	s_delay_alu instid0(VALU_DEP_1) | instskip(SKIP_3) | instid1(VALU_DEP_4)
	v_dual_mul_f32 v12, v1, v9 :: v_dual_fmac_f32 v27, v3, v19
	v_fmac_f32_e32 v23, v1, v0
	v_fmac_f32_e32 v11, v3, v17
	;; [unrolled: 1-line block ×4, first 2 shown]
	s_delay_alu instid0(VALU_DEP_4) | instskip(NEXT) | instid1(VALU_DEP_4)
	v_dual_mul_f32 v10, v1, v10 :: v_dual_fmac_f32 v23, v3, v15
	v_fma_f32 v9, -v4, v18, v11
	v_fma_f32 v11, -v4, v20, v27
	s_delay_alu instid0(VALU_DEP_4) | instskip(NEXT) | instid1(VALU_DEP_4)
	v_fmac_f32_e32 v12, v4, v19
	v_dual_fmac_f32 v10, v2, v6 :: v_dual_fmac_f32 v5, v3, v13
	v_fmac_f32_e32 v24, v2, v0
	v_fma_f32 v23, -v4, v16, v23
	s_delay_alu instid0(VALU_DEP_4) | instskip(NEXT) | instid1(VALU_DEP_4)
	v_fmac_f32_e32 v12, v3, v20
	v_fmac_f32_e32 v10, v4, v17
	v_fma_f32 v21, -v4, v14, v5
	v_fmac_f32_e32 v24, v4, v15
	s_delay_alu instid0(VALU_DEP_3) | instskip(NEXT) | instid1(VALU_DEP_2)
	v_fmac_f32_e32 v10, v3, v18
	v_fmac_f32_e32 v24, v3, v16
	s_clause 0x1
	global_store_b128 v[25:26], v[21:24], off
	global_store_b128 v[25:26], v[9:12], off offset:16
.LBB88_21:
	s_endpgm
	.section	.rodata,"a",@progbits
	.p2align	6, 0x0
	.amdhsa_kernel _ZN9rocsparseL19gebsrmvn_4xn_kernelILj128ELj3ELj64E21rocsparse_complex_numIfEEEvi20rocsparse_direction_NS_24const_host_device_scalarIT2_EEPKiS8_PKS5_SA_S6_PS5_21rocsparse_index_base_b
		.amdhsa_group_segment_fixed_size 0
		.amdhsa_private_segment_fixed_size 0
		.amdhsa_kernarg_size 72
		.amdhsa_user_sgpr_count 2
		.amdhsa_user_sgpr_dispatch_ptr 0
		.amdhsa_user_sgpr_queue_ptr 0
		.amdhsa_user_sgpr_kernarg_segment_ptr 1
		.amdhsa_user_sgpr_dispatch_id 0
		.amdhsa_user_sgpr_private_segment_size 0
		.amdhsa_wavefront_size32 1
		.amdhsa_uses_dynamic_stack 0
		.amdhsa_enable_private_segment 0
		.amdhsa_system_sgpr_workgroup_id_x 1
		.amdhsa_system_sgpr_workgroup_id_y 0
		.amdhsa_system_sgpr_workgroup_id_z 0
		.amdhsa_system_sgpr_workgroup_info 0
		.amdhsa_system_vgpr_workitem_id 0
		.amdhsa_next_free_vgpr 51
		.amdhsa_next_free_sgpr 14
		.amdhsa_reserve_vcc 1
		.amdhsa_float_round_mode_32 0
		.amdhsa_float_round_mode_16_64 0
		.amdhsa_float_denorm_mode_32 3
		.amdhsa_float_denorm_mode_16_64 3
		.amdhsa_fp16_overflow 0
		.amdhsa_workgroup_processor_mode 1
		.amdhsa_memory_ordered 1
		.amdhsa_forward_progress 1
		.amdhsa_inst_pref_size 28
		.amdhsa_round_robin_scheduling 0
		.amdhsa_exception_fp_ieee_invalid_op 0
		.amdhsa_exception_fp_denorm_src 0
		.amdhsa_exception_fp_ieee_div_zero 0
		.amdhsa_exception_fp_ieee_overflow 0
		.amdhsa_exception_fp_ieee_underflow 0
		.amdhsa_exception_fp_ieee_inexact 0
		.amdhsa_exception_int_div_zero 0
	.end_amdhsa_kernel
	.section	.text._ZN9rocsparseL19gebsrmvn_4xn_kernelILj128ELj3ELj64E21rocsparse_complex_numIfEEEvi20rocsparse_direction_NS_24const_host_device_scalarIT2_EEPKiS8_PKS5_SA_S6_PS5_21rocsparse_index_base_b,"axG",@progbits,_ZN9rocsparseL19gebsrmvn_4xn_kernelILj128ELj3ELj64E21rocsparse_complex_numIfEEEvi20rocsparse_direction_NS_24const_host_device_scalarIT2_EEPKiS8_PKS5_SA_S6_PS5_21rocsparse_index_base_b,comdat
.Lfunc_end88:
	.size	_ZN9rocsparseL19gebsrmvn_4xn_kernelILj128ELj3ELj64E21rocsparse_complex_numIfEEEvi20rocsparse_direction_NS_24const_host_device_scalarIT2_EEPKiS8_PKS5_SA_S6_PS5_21rocsparse_index_base_b, .Lfunc_end88-_ZN9rocsparseL19gebsrmvn_4xn_kernelILj128ELj3ELj64E21rocsparse_complex_numIfEEEvi20rocsparse_direction_NS_24const_host_device_scalarIT2_EEPKiS8_PKS5_SA_S6_PS5_21rocsparse_index_base_b
                                        ; -- End function
	.set _ZN9rocsparseL19gebsrmvn_4xn_kernelILj128ELj3ELj64E21rocsparse_complex_numIfEEEvi20rocsparse_direction_NS_24const_host_device_scalarIT2_EEPKiS8_PKS5_SA_S6_PS5_21rocsparse_index_base_b.num_vgpr, 51
	.set _ZN9rocsparseL19gebsrmvn_4xn_kernelILj128ELj3ELj64E21rocsparse_complex_numIfEEEvi20rocsparse_direction_NS_24const_host_device_scalarIT2_EEPKiS8_PKS5_SA_S6_PS5_21rocsparse_index_base_b.num_agpr, 0
	.set _ZN9rocsparseL19gebsrmvn_4xn_kernelILj128ELj3ELj64E21rocsparse_complex_numIfEEEvi20rocsparse_direction_NS_24const_host_device_scalarIT2_EEPKiS8_PKS5_SA_S6_PS5_21rocsparse_index_base_b.numbered_sgpr, 14
	.set _ZN9rocsparseL19gebsrmvn_4xn_kernelILj128ELj3ELj64E21rocsparse_complex_numIfEEEvi20rocsparse_direction_NS_24const_host_device_scalarIT2_EEPKiS8_PKS5_SA_S6_PS5_21rocsparse_index_base_b.num_named_barrier, 0
	.set _ZN9rocsparseL19gebsrmvn_4xn_kernelILj128ELj3ELj64E21rocsparse_complex_numIfEEEvi20rocsparse_direction_NS_24const_host_device_scalarIT2_EEPKiS8_PKS5_SA_S6_PS5_21rocsparse_index_base_b.private_seg_size, 0
	.set _ZN9rocsparseL19gebsrmvn_4xn_kernelILj128ELj3ELj64E21rocsparse_complex_numIfEEEvi20rocsparse_direction_NS_24const_host_device_scalarIT2_EEPKiS8_PKS5_SA_S6_PS5_21rocsparse_index_base_b.uses_vcc, 1
	.set _ZN9rocsparseL19gebsrmvn_4xn_kernelILj128ELj3ELj64E21rocsparse_complex_numIfEEEvi20rocsparse_direction_NS_24const_host_device_scalarIT2_EEPKiS8_PKS5_SA_S6_PS5_21rocsparse_index_base_b.uses_flat_scratch, 0
	.set _ZN9rocsparseL19gebsrmvn_4xn_kernelILj128ELj3ELj64E21rocsparse_complex_numIfEEEvi20rocsparse_direction_NS_24const_host_device_scalarIT2_EEPKiS8_PKS5_SA_S6_PS5_21rocsparse_index_base_b.has_dyn_sized_stack, 0
	.set _ZN9rocsparseL19gebsrmvn_4xn_kernelILj128ELj3ELj64E21rocsparse_complex_numIfEEEvi20rocsparse_direction_NS_24const_host_device_scalarIT2_EEPKiS8_PKS5_SA_S6_PS5_21rocsparse_index_base_b.has_recursion, 0
	.set _ZN9rocsparseL19gebsrmvn_4xn_kernelILj128ELj3ELj64E21rocsparse_complex_numIfEEEvi20rocsparse_direction_NS_24const_host_device_scalarIT2_EEPKiS8_PKS5_SA_S6_PS5_21rocsparse_index_base_b.has_indirect_call, 0
	.section	.AMDGPU.csdata,"",@progbits
; Kernel info:
; codeLenInByte = 3532
; TotalNumSgprs: 16
; NumVgprs: 51
; ScratchSize: 0
; MemoryBound: 0
; FloatMode: 240
; IeeeMode: 1
; LDSByteSize: 0 bytes/workgroup (compile time only)
; SGPRBlocks: 0
; VGPRBlocks: 6
; NumSGPRsForWavesPerEU: 16
; NumVGPRsForWavesPerEU: 51
; Occupancy: 16
; WaveLimiterHint : 1
; COMPUTE_PGM_RSRC2:SCRATCH_EN: 0
; COMPUTE_PGM_RSRC2:USER_SGPR: 2
; COMPUTE_PGM_RSRC2:TRAP_HANDLER: 0
; COMPUTE_PGM_RSRC2:TGID_X_EN: 1
; COMPUTE_PGM_RSRC2:TGID_Y_EN: 0
; COMPUTE_PGM_RSRC2:TGID_Z_EN: 0
; COMPUTE_PGM_RSRC2:TIDIG_COMP_CNT: 0
	.section	.text._ZN9rocsparseL19gebsrmvn_4xn_kernelILj128ELj5ELj4E21rocsparse_complex_numIfEEEvi20rocsparse_direction_NS_24const_host_device_scalarIT2_EEPKiS8_PKS5_SA_S6_PS5_21rocsparse_index_base_b,"axG",@progbits,_ZN9rocsparseL19gebsrmvn_4xn_kernelILj128ELj5ELj4E21rocsparse_complex_numIfEEEvi20rocsparse_direction_NS_24const_host_device_scalarIT2_EEPKiS8_PKS5_SA_S6_PS5_21rocsparse_index_base_b,comdat
	.globl	_ZN9rocsparseL19gebsrmvn_4xn_kernelILj128ELj5ELj4E21rocsparse_complex_numIfEEEvi20rocsparse_direction_NS_24const_host_device_scalarIT2_EEPKiS8_PKS5_SA_S6_PS5_21rocsparse_index_base_b ; -- Begin function _ZN9rocsparseL19gebsrmvn_4xn_kernelILj128ELj5ELj4E21rocsparse_complex_numIfEEEvi20rocsparse_direction_NS_24const_host_device_scalarIT2_EEPKiS8_PKS5_SA_S6_PS5_21rocsparse_index_base_b
	.p2align	8
	.type	_ZN9rocsparseL19gebsrmvn_4xn_kernelILj128ELj5ELj4E21rocsparse_complex_numIfEEEvi20rocsparse_direction_NS_24const_host_device_scalarIT2_EEPKiS8_PKS5_SA_S6_PS5_21rocsparse_index_base_b,@function
_ZN9rocsparseL19gebsrmvn_4xn_kernelILj128ELj5ELj4E21rocsparse_complex_numIfEEEvi20rocsparse_direction_NS_24const_host_device_scalarIT2_EEPKiS8_PKS5_SA_S6_PS5_21rocsparse_index_base_b: ; @_ZN9rocsparseL19gebsrmvn_4xn_kernelILj128ELj5ELj4E21rocsparse_complex_numIfEEEvi20rocsparse_direction_NS_24const_host_device_scalarIT2_EEPKiS8_PKS5_SA_S6_PS5_21rocsparse_index_base_b
; %bb.0:
	s_clause 0x2
	s_load_b64 s[12:13], s[0:1], 0x40
	s_load_b64 s[2:3], s[0:1], 0x8
	;; [unrolled: 1-line block ×3, first 2 shown]
	s_add_nc_u64 s[6:7], s[0:1], 8
	s_wait_kmcnt 0x0
	s_bitcmp1_b32 s13, 0
	s_cselect_b32 s2, s6, s2
	s_cselect_b32 s3, s7, s3
	s_delay_alu instid0(SALU_CYCLE_1)
	v_dual_mov_b32 v1, s2 :: v_dual_mov_b32 v2, s3
	s_add_nc_u64 s[2:3], s[0:1], 48
	s_wait_alu 0xfffe
	s_cselect_b32 s2, s2, s4
	s_cselect_b32 s3, s3, s5
	flat_load_b64 v[1:2], v[1:2]
	s_wait_alu 0xfffe
	v_dual_mov_b32 v3, s2 :: v_dual_mov_b32 v4, s3
	flat_load_b64 v[3:4], v[3:4]
	s_wait_loadcnt_dscnt 0x101
	v_cmp_eq_f32_e32 vcc_lo, 0, v1
	v_cmp_eq_f32_e64 s2, 0, v2
	s_and_b32 s4, vcc_lo, s2
	s_mov_b32 s2, -1
	s_and_saveexec_b32 s3, s4
	s_cbranch_execz .LBB89_2
; %bb.1:
	s_wait_loadcnt_dscnt 0x0
	v_cmp_neq_f32_e32 vcc_lo, 1.0, v3
	v_cmp_neq_f32_e64 s2, 0, v4
	s_wait_alu 0xfffe
	s_or_b32 s2, vcc_lo, s2
	s_wait_alu 0xfffe
	s_or_not1_b32 s2, s2, exec_lo
.LBB89_2:
	s_wait_alu 0xfffe
	s_or_b32 exec_lo, exec_lo, s3
	s_and_saveexec_b32 s3, s2
	s_cbranch_execz .LBB89_21
; %bb.3:
	s_load_b64 s[2:3], s[0:1], 0x0
	v_lshrrev_b32_e32 v5, 2, v0
	s_delay_alu instid0(VALU_DEP_1) | instskip(SKIP_1) | instid1(VALU_DEP_1)
	v_lshl_or_b32 v5, ttmp9, 5, v5
	s_wait_kmcnt 0x0
	v_cmp_gt_i32_e32 vcc_lo, s2, v5
	s_and_b32 exec_lo, exec_lo, vcc_lo
	s_cbranch_execz .LBB89_21
; %bb.4:
	s_load_b256 s[4:11], s[0:1], 0x10
	v_ashrrev_i32_e32 v6, 31, v5
	v_and_b32_e32 v0, 3, v0
	s_cmp_lg_u32 s3, 0
	s_delay_alu instid0(VALU_DEP_2) | instskip(SKIP_1) | instid1(VALU_DEP_1)
	v_lshlrev_b64_e32 v[6:7], 2, v[5:6]
	s_wait_kmcnt 0x0
	v_add_co_u32 v6, vcc_lo, s4, v6
	s_delay_alu instid0(VALU_DEP_1) | instskip(SKIP_4) | instid1(VALU_DEP_2)
	v_add_co_ci_u32_e64 v7, null, s5, v7, vcc_lo
	global_load_b64 v[6:7], v[6:7], off
	s_wait_loadcnt 0x0
	v_subrev_nc_u32_e32 v6, s12, v6
	v_subrev_nc_u32_e32 v17, s12, v7
	v_add_nc_u32_e32 v6, v6, v0
	s_delay_alu instid0(VALU_DEP_1)
	v_cmp_lt_i32_e64 s2, v6, v17
	s_cbranch_scc0 .LBB89_10
; %bb.5:
	v_dual_mov_b32 v13, 0 :: v_dual_mov_b32 v18, 0
	v_dual_mov_b32 v19, 0 :: v_dual_mov_b32 v14, 0
	;; [unrolled: 1-line block ×4, first 2 shown]
	s_and_saveexec_b32 s3, s2
	s_cbranch_execz .LBB89_9
; %bb.6:
	v_mad_co_u64_u32 v[7:8], null, v6, 20, 16
	v_dual_mov_b32 v10, 0 :: v_dual_mov_b32 v11, v6
	v_dual_mov_b32 v13, 0 :: v_dual_mov_b32 v18, 0
	;; [unrolled: 1-line block ×5, first 2 shown]
	s_mov_b32 s4, 0
.LBB89_7:                               ; =>This Inner Loop Header: Depth=1
	v_ashrrev_i32_e32 v12, 31, v11
	s_delay_alu instid0(VALU_DEP_1) | instskip(NEXT) | instid1(VALU_DEP_1)
	v_lshlrev_b64_e32 v[8:9], 2, v[11:12]
	v_add_co_u32 v8, vcc_lo, s6, v8
	s_wait_alu 0xfffd
	s_delay_alu instid0(VALU_DEP_2) | instskip(SKIP_2) | instid1(VALU_DEP_1)
	v_add_co_ci_u32_e64 v9, null, s7, v9, vcc_lo
	global_load_b32 v12, v[8:9], off
	v_dual_mov_b32 v8, v10 :: v_dual_add_nc_u32 v9, -16, v7
	v_lshlrev_b64_e32 v[22:23], 3, v[9:10]
	v_add_nc_u32_e32 v9, -12, v7
	s_delay_alu instid0(VALU_DEP_3) | instskip(NEXT) | instid1(VALU_DEP_2)
	v_lshlrev_b64_e32 v[24:25], 3, v[7:8]
	v_lshlrev_b64_e32 v[8:9], 3, v[9:10]
	s_delay_alu instid0(VALU_DEP_4) | instskip(SKIP_2) | instid1(VALU_DEP_4)
	v_add_co_u32 v26, vcc_lo, s8, v22
	s_wait_alu 0xfffd
	v_add_co_ci_u32_e64 v27, null, s9, v23, vcc_lo
	v_add_co_u32 v34, vcc_lo, s8, v24
	s_wait_alu 0xfffd
	v_add_co_ci_u32_e64 v35, null, s9, v25, vcc_lo
	;; [unrolled: 3-line block ×3, first 2 shown]
	s_clause 0x5
	global_load_b128 v[22:25], v[26:27], off offset:16
	global_load_b128 v[26:29], v[26:27], off
	global_load_b128 v[30:33], v[34:35], off offset:16
	global_load_b128 v[34:37], v[34:35], off
	;; [unrolled: 2-line block ×3, first 2 shown]
	v_mov_b32_e32 v55, v10
	s_wait_loadcnt 0x6
	v_subrev_nc_u32_e32 v8, s12, v12
	s_delay_alu instid0(VALU_DEP_1) | instskip(NEXT) | instid1(VALU_DEP_1)
	v_lshl_add_u32 v54, v8, 2, v8
	v_lshlrev_b64_e32 v[46:47], 3, v[54:55]
	s_delay_alu instid0(VALU_DEP_1) | instskip(SKIP_1) | instid1(VALU_DEP_2)
	v_add_co_u32 v46, vcc_lo, s10, v46
	s_wait_alu 0xfffd
	v_add_co_ci_u32_e64 v47, null, s11, v47, vcc_lo
	global_load_b64 v[62:63], v[46:47], off
	s_wait_loadcnt 0x0
	v_dual_fmac_f32 v14, v25, v62 :: v_dual_add_nc_u32 v11, 4, v11
	v_fmac_f32_e32 v16, v29, v62
	v_add_nc_u32_e32 v9, 1, v54
	v_fmac_f32_e32 v18, v26, v62
	v_fmac_f32_e32 v20, v22, v62
	;; [unrolled: 1-line block ×4, first 2 shown]
	v_lshlrev_b64_e32 v[48:49], 3, v[9:10]
	v_add_nc_u32_e32 v9, -8, v7
	v_fma_f32 v12, -v27, v63, v18
	v_fma_f32 v20, -v23, v63, v20
	s_delay_alu instid0(VALU_DEP_3) | instskip(SKIP_4) | instid1(VALU_DEP_3)
	v_lshlrev_b64_e32 v[50:51], 3, v[9:10]
	v_add_nc_u32_e32 v9, 2, v54
	v_add_co_u32 v46, vcc_lo, s10, v48
	s_wait_alu 0xfffd
	v_add_co_ci_u32_e64 v47, null, s11, v49, vcc_lo
	v_lshlrev_b64_e32 v[48:49], 3, v[9:10]
	v_add_co_u32 v50, vcc_lo, s8, v50
	global_load_b64 v[64:65], v[46:47], off
	s_wait_alu 0xfffd
	v_add_co_ci_u32_e64 v51, null, s9, v51, vcc_lo
	v_add_co_u32 v57, vcc_lo, s10, v48
	s_wait_alu 0xfffd
	v_add_co_ci_u32_e64 v58, null, s11, v49, vcc_lo
	s_clause 0x1
	global_load_b128 v[46:49], v[50:51], off offset:16
	global_load_b128 v[50:53], v[50:51], off
	v_add_nc_u32_e32 v9, -4, v7
	v_fmac_f32_e32 v13, v27, v62
	global_load_b64 v[66:67], v[57:58], off
	s_wait_loadcnt 0x3
	v_dual_fmac_f32 v20, v38, v64 :: v_dual_add_nc_u32 v7, 0x50, v7
	v_fmac_f32_e32 v12, v42, v64
	v_dual_fmac_f32 v14, v41, v64 :: v_dual_fmac_f32 v13, v26, v63
	v_lshlrev_b64_e32 v[55:56], 3, v[9:10]
	s_delay_alu instid0(VALU_DEP_4) | instskip(NEXT) | instid1(VALU_DEP_4)
	v_fma_f32 v20, -v39, v65, v20
	v_fma_f32 v12, -v43, v65, v12
	s_delay_alu instid0(VALU_DEP_4)
	v_dual_fmac_f32 v14, v40, v65 :: v_dual_fmac_f32 v13, v43, v64
	v_fmac_f32_e32 v16, v45, v64
	v_add_co_u32 v68, vcc_lo, s8, v55
	s_wait_loadcnt 0x0
	v_fmac_f32_e32 v12, v50, v66
	s_wait_alu 0xfffd
	v_add_co_ci_u32_e64 v69, null, s9, v56, vcc_lo
	v_dual_fmac_f32 v15, v23, v62 :: v_dual_fmac_f32 v16, v44, v65
	s_delay_alu instid0(VALU_DEP_3) | instskip(SKIP_2) | instid1(VALU_DEP_4)
	v_fma_f32 v12, -v51, v67, v12
	v_fmac_f32_e32 v21, v28, v62
	v_dual_fmac_f32 v13, v42, v65 :: v_dual_fmac_f32 v14, v49, v66
	v_fmac_f32_e32 v16, v53, v66
	v_fmac_f32_e32 v20, v46, v66
	s_delay_alu instid0(VALU_DEP_4) | instskip(SKIP_3) | instid1(VALU_DEP_4)
	v_fma_f32 v18, -v29, v63, v21
	v_add_nc_u32_e32 v9, 3, v54
	v_dual_fmac_f32 v13, v51, v66 :: v_dual_fmac_f32 v14, v48, v67
	v_fmac_f32_e32 v16, v52, v67
	v_fmac_f32_e32 v18, v44, v64
	s_delay_alu instid0(VALU_DEP_4) | instskip(SKIP_2) | instid1(VALU_DEP_4)
	v_lshlrev_b64_e32 v[59:60], 3, v[9:10]
	v_add_nc_u32_e32 v9, 4, v54
	v_fma_f32 v20, -v47, v67, v20
	v_fma_f32 v18, -v45, v65, v18
	v_fmac_f32_e32 v15, v22, v63
	v_add_co_u32 v70, vcc_lo, s10, v59
	s_wait_alu 0xfffd
	v_add_co_ci_u32_e64 v71, null, s11, v60, vcc_lo
	s_clause 0x1
	global_load_b128 v[54:57], v[68:69], off offset:16
	global_load_b128 v[58:61], v[68:69], off
	global_load_b64 v[68:69], v[70:71], off
	v_lshlrev_b64_e32 v[8:9], 3, v[9:10]
	v_dual_fmac_f32 v18, v52, v66 :: v_dual_fmac_f32 v15, v39, v64
	v_fmac_f32_e32 v19, v24, v62
	v_fmac_f32_e32 v13, v50, v67
	s_delay_alu instid0(VALU_DEP_4)
	v_add_co_u32 v8, vcc_lo, s10, v8
	s_wait_alu 0xfffd
	v_add_co_ci_u32_e64 v9, null, s11, v9, vcc_lo
	v_fmac_f32_e32 v15, v38, v65
	v_fma_f32 v18, -v53, v67, v18
	v_cmp_ge_i32_e32 vcc_lo, v11, v17
	global_load_b64 v[8:9], v[8:9], off
	v_fmac_f32_e32 v15, v47, v66
	s_wait_alu 0xfffe
	s_or_b32 s4, vcc_lo, s4
	s_wait_loadcnt 0x1
	v_fmac_f32_e32 v16, v61, v68
	v_fma_f32 v19, -v25, v63, v19
	v_dual_fmac_f32 v18, v60, v68 :: v_dual_fmac_f32 v15, v46, v67
	v_fmac_f32_e32 v14, v57, v68
	v_fmac_f32_e32 v13, v59, v68
	s_delay_alu instid0(VALU_DEP_4)
	v_fmac_f32_e32 v19, v40, v64
	v_fmac_f32_e32 v20, v54, v68
	;; [unrolled: 1-line block ×5, first 2 shown]
	v_fma_f32 v19, -v41, v65, v19
	v_fmac_f32_e32 v13, v58, v69
	v_fma_f32 v21, -v61, v69, v18
	s_wait_loadcnt 0x0
	v_fmac_f32_e32 v16, v37, v8
	v_fmac_f32_e32 v15, v55, v68
	v_fmac_f32_e32 v19, v48, v66
	v_fma_f32 v12, -v59, v69, v12
	v_fma_f32 v20, -v55, v69, v20
	v_fmac_f32_e32 v16, v36, v9
	v_dual_fmac_f32 v15, v54, v69 :: v_dual_fmac_f32 v14, v33, v8
	v_fma_f32 v19, -v49, v67, v19
	v_fmac_f32_e32 v12, v34, v8
	v_fmac_f32_e32 v13, v35, v8
	;; [unrolled: 1-line block ×6, first 2 shown]
	v_fma_f32 v18, -v35, v9, v12
	v_fma_f32 v21, -v37, v9, v21
	;; [unrolled: 1-line block ×4, first 2 shown]
	v_fmac_f32_e32 v15, v30, v9
	v_fmac_f32_e32 v14, v32, v9
	;; [unrolled: 1-line block ×3, first 2 shown]
	s_delay_alu instid0(VALU_DEP_4) | instskip(NEXT) | instid1(VALU_DEP_1)
	v_fmac_f32_e32 v19, v32, v8
	v_fma_f32 v19, -v33, v9, v19
	s_wait_alu 0xfffe
	s_and_not1_b32 exec_lo, exec_lo, s4
	s_cbranch_execnz .LBB89_7
; %bb.8:
	s_or_b32 exec_lo, exec_lo, s4
.LBB89_9:
	s_wait_alu 0xfffe
	s_or_b32 exec_lo, exec_lo, s3
	s_cbranch_execz .LBB89_11
	s_branch .LBB89_16
.LBB89_10:
                                        ; implicit-def: $vgpr13
                                        ; implicit-def: $vgpr18
                                        ; implicit-def: $vgpr19
                                        ; implicit-def: $vgpr14
                                        ; implicit-def: $vgpr20
                                        ; implicit-def: $vgpr15
                                        ; implicit-def: $vgpr21
                                        ; implicit-def: $vgpr16
.LBB89_11:
	v_dual_mov_b32 v13, 0 :: v_dual_mov_b32 v18, 0
	v_dual_mov_b32 v19, 0 :: v_dual_mov_b32 v14, 0
	;; [unrolled: 1-line block ×4, first 2 shown]
	s_and_saveexec_b32 s3, s2
	s_cbranch_execz .LBB89_15
; %bb.12:
	v_mad_co_u64_u32 v[8:9], null, v6, 20, 19
	v_dual_mov_b32 v11, 0 :: v_dual_mov_b32 v18, 0
	v_dual_mov_b32 v13, 0 :: v_dual_mov_b32 v14, 0
	;; [unrolled: 1-line block ×4, first 2 shown]
	v_mov_b32_e32 v21, 0
	s_mov_b32 s2, 0
.LBB89_13:                              ; =>This Inner Loop Header: Depth=1
	v_ashrrev_i32_e32 v7, 31, v6
	v_dual_mov_b32 v31, v11 :: v_dual_add_nc_u32 v22, -14, v8
	v_dual_mov_b32 v23, v11 :: v_dual_add_nc_u32 v24, -9, v8
	s_delay_alu instid0(VALU_DEP_3) | instskip(SKIP_1) | instid1(VALU_DEP_3)
	v_lshlrev_b64_e32 v[9:10], 2, v[6:7]
	v_dual_mov_b32 v25, v11 :: v_dual_add_nc_u32 v26, -4, v8
	v_lshlrev_b64_e32 v[22:23], 3, v[22:23]
	s_delay_alu instid0(VALU_DEP_3) | instskip(SKIP_1) | instid1(VALU_DEP_4)
	v_add_co_u32 v9, vcc_lo, s6, v9
	s_wait_alu 0xfffd
	v_add_co_ci_u32_e64 v10, null, s7, v10, vcc_lo
	v_lshlrev_b64_e32 v[24:25], 3, v[24:25]
	global_load_b32 v7, v[9:10], off
	v_subrev_nc_u32_e32 v10, 19, v8
	v_mov_b32_e32 v9, v11
	s_delay_alu instid0(VALU_DEP_2) | instskip(NEXT) | instid1(VALU_DEP_2)
	v_lshlrev_b64_e32 v[28:29], 3, v[10:11]
	v_lshlrev_b64_e32 v[9:10], 3, v[8:9]
	s_delay_alu instid0(VALU_DEP_2) | instskip(SKIP_1) | instid1(VALU_DEP_3)
	v_add_co_u32 v28, vcc_lo, s8, v28
	s_wait_alu 0xfffd
	v_add_co_ci_u32_e64 v29, null, s9, v29, vcc_lo
	v_add_co_u32 v32, vcc_lo, s8, v22
	s_wait_alu 0xfffd
	v_add_co_ci_u32_e64 v33, null, s9, v23, vcc_lo
	;; [unrolled: 3-line block ×3, first 2 shown]
	s_wait_loadcnt 0x0
	v_subrev_nc_u32_e32 v7, s12, v7
	s_delay_alu instid0(VALU_DEP_1) | instskip(SKIP_1) | instid1(VALU_DEP_2)
	v_lshl_add_u32 v30, v7, 2, v7
	v_mov_b32_e32 v27, v11
	v_lshlrev_b64_e32 v[40:41], 3, v[30:31]
	s_delay_alu instid0(VALU_DEP_2) | instskip(NEXT) | instid1(VALU_DEP_1)
	v_lshlrev_b64_e32 v[26:27], 3, v[26:27]
	v_add_co_u32 v36, vcc_lo, s8, v26
	s_wait_alu 0xfffd
	s_delay_alu instid0(VALU_DEP_2)
	v_add_co_ci_u32_e64 v37, null, s9, v27, vcc_lo
	v_add_co_u32 v38, vcc_lo, s8, v9
	s_wait_alu 0xfffd
	v_add_co_ci_u32_e64 v39, null, s9, v10, vcc_lo
	v_add_co_u32 v40, vcc_lo, s10, v40
	s_wait_alu 0xfffd
	v_add_co_ci_u32_e64 v41, null, s11, v41, vcc_lo
	s_clause 0x4
	global_load_b128 v[22:25], v[28:29], off offset:16
	global_load_b128 v[26:29], v[28:29], off
	global_load_b64 v[32:33], v[32:33], off
	global_load_b64 v[34:35], v[34:35], off
	;; [unrolled: 1-line block ×3, first 2 shown]
	v_add_nc_u32_e32 v10, 1, v30
	global_load_b64 v[40:41], v[40:41], off
	v_lshlrev_b64_e32 v[42:43], 3, v[10:11]
	v_add_nc_u32_e32 v10, -13, v8
	s_delay_alu instid0(VALU_DEP_2) | instskip(SKIP_1) | instid1(VALU_DEP_3)
	v_add_co_u32 v42, vcc_lo, s10, v42
	s_wait_alu 0xfffd
	v_add_co_ci_u32_e64 v43, null, s11, v43, vcc_lo
	s_delay_alu instid0(VALU_DEP_3)
	v_lshlrev_b64_e32 v[44:45], 3, v[10:11]
	global_load_b64 v[42:43], v[42:43], off
	v_add_nc_u32_e32 v6, 4, v6
	v_add_co_u32 v44, vcc_lo, s8, v44
	s_wait_alu 0xfffd
	v_add_co_ci_u32_e64 v45, null, s9, v45, vcc_lo
	global_load_b64 v[44:45], v[44:45], off
	s_wait_loadcnt 0x2
	v_fmac_f32_e32 v13, v27, v40
	v_add_nc_u32_e32 v10, -8, v8
	v_fmac_f32_e32 v15, v35, v40
	v_fmac_f32_e32 v21, v32, v40
	;; [unrolled: 1-line block ×4, first 2 shown]
	v_lshlrev_b64_e32 v[46:47], 3, v[10:11]
	v_dual_fmac_f32 v15, v34, v41 :: v_dual_add_nc_u32 v10, -3, v8
	v_fma_f32 v12, -v33, v41, v21
	v_fma_f32 v19, -v37, v41, v19
	s_delay_alu instid0(VALU_DEP_3) | instskip(SKIP_4) | instid1(VALU_DEP_3)
	v_lshlrev_b64_e32 v[48:49], 3, v[10:11]
	v_add_nc_u32_e32 v10, 2, v30
	v_add_co_u32 v46, vcc_lo, s8, v46
	s_wait_alu 0xfffd
	v_add_co_ci_u32_e64 v47, null, s9, v47, vcc_lo
	v_lshlrev_b64_e32 v[50:51], 3, v[10:11]
	v_add_co_u32 v48, vcc_lo, s8, v48
	s_wait_alu 0xfffd
	v_add_co_ci_u32_e64 v49, null, s9, v49, vcc_lo
	global_load_b64 v[46:47], v[46:47], off
	v_add_co_u32 v50, vcc_lo, s10, v50
	s_wait_alu 0xfffd
	v_add_co_ci_u32_e64 v51, null, s11, v51, vcc_lo
	global_load_b64 v[48:49], v[48:49], off
	s_wait_loadcnt 0x3
	v_fmac_f32_e32 v13, v29, v42
	global_load_b64 v[50:51], v[50:51], off
	v_dual_fmac_f32 v18, v26, v40 :: v_dual_fmac_f32 v13, v28, v43
	s_delay_alu instid0(VALU_DEP_1) | instskip(NEXT) | instid1(VALU_DEP_1)
	v_fma_f32 v7, -v27, v41, v18
	v_dual_fmac_f32 v7, v28, v42 :: v_dual_add_nc_u32 v10, -12, v8
	s_delay_alu instid0(VALU_DEP_1) | instskip(SKIP_1) | instid1(VALU_DEP_3)
	v_lshlrev_b64_e32 v[52:53], 3, v[10:11]
	v_add_nc_u32_e32 v10, -7, v8
	v_fma_f32 v7, -v29, v43, v7
	s_delay_alu instid0(VALU_DEP_2) | instskip(SKIP_4) | instid1(VALU_DEP_3)
	v_lshlrev_b64_e32 v[54:55], 3, v[10:11]
	v_add_nc_u32_e32 v10, -2, v8
	v_add_co_u32 v52, vcc_lo, s8, v52
	s_wait_alu 0xfffd
	v_add_co_ci_u32_e64 v53, null, s9, v53, vcc_lo
	v_lshlrev_b64_e32 v[56:57], 3, v[10:11]
	v_add_co_u32 v54, vcc_lo, s8, v54
	s_wait_alu 0xfffd
	v_add_co_ci_u32_e64 v55, null, s9, v55, vcc_lo
	global_load_b64 v[52:53], v[52:53], off
	v_add_co_u32 v56, vcc_lo, s8, v56
	s_wait_alu 0xfffd
	v_add_co_ci_u32_e64 v57, null, s9, v57, vcc_lo
	global_load_b64 v[54:55], v[54:55], off
	v_add_nc_u32_e32 v10, 3, v30
	global_load_b64 v[56:57], v[56:57], off
	v_lshlrev_b64_e32 v[58:59], 3, v[10:11]
	v_add_nc_u32_e32 v10, -11, v8
	s_delay_alu instid0(VALU_DEP_2) | instskip(SKIP_1) | instid1(VALU_DEP_3)
	v_add_co_u32 v58, vcc_lo, s10, v58
	s_wait_alu 0xfffd
	v_add_co_ci_u32_e64 v59, null, s11, v59, vcc_lo
	global_load_b64 v[58:59], v[58:59], off
	s_wait_loadcnt 0x6
	v_fmac_f32_e32 v15, v47, v42
	v_lshlrev_b64_e32 v[60:61], 3, v[10:11]
	s_wait_loadcnt 0x5
	v_dual_fmac_f32 v19, v48, v42 :: v_dual_add_nc_u32 v10, -6, v8
	s_delay_alu instid0(VALU_DEP_3) | instskip(NEXT) | instid1(VALU_DEP_2)
	v_fmac_f32_e32 v15, v46, v43
	v_lshlrev_b64_e32 v[62:63], 3, v[10:11]
	v_add_nc_u32_e32 v10, -1, v8
	v_add_co_u32 v60, vcc_lo, s8, v60
	s_wait_loadcnt 0x4
	v_fmac_f32_e32 v7, v22, v50
	v_fmac_f32_e32 v13, v23, v50
	v_lshlrev_b64_e32 v[64:65], 3, v[10:11]
	v_add_nc_u32_e32 v10, -15, v8
	s_wait_alu 0xfffd
	v_add_co_ci_u32_e64 v61, null, s9, v61, vcc_lo
	v_add_co_u32 v62, vcc_lo, s8, v62
	s_delay_alu instid0(VALU_DEP_3)
	v_lshlrev_b64_e32 v[66:67], 3, v[10:11]
	v_dual_fmac_f32 v13, v22, v51 :: v_dual_add_nc_u32 v10, 4, v30
	s_wait_alu 0xfffd
	v_add_co_ci_u32_e64 v63, null, s9, v63, vcc_lo
	v_add_co_u32 v30, vcc_lo, s8, v64
	s_wait_alu 0xfffd
	v_add_co_ci_u32_e64 v31, null, s9, v65, vcc_lo
	v_lshlrev_b64_e32 v[64:65], 3, v[10:11]
	v_add_nc_u32_e32 v10, -10, v8
	v_add_co_u32 v66, vcc_lo, s8, v66
	s_wait_alu 0xfffd
	v_add_co_ci_u32_e64 v67, null, s9, v67, vcc_lo
	s_delay_alu instid0(VALU_DEP_4)
	v_add_co_u32 v64, vcc_lo, s10, v64
	v_fma_f32 v19, -v49, v43, v19
	s_wait_alu 0xfffd
	v_add_co_ci_u32_e64 v65, null, s11, v65, vcc_lo
	s_clause 0x2
	global_load_b64 v[60:61], v[60:61], off
	global_load_b64 v[62:63], v[62:63], off
	;; [unrolled: 1-line block ×3, first 2 shown]
	s_wait_loadcnt 0x5
	v_fmac_f32_e32 v15, v55, v50
	v_lshlrev_b64_e32 v[68:69], 3, v[10:11]
	s_wait_loadcnt 0x4
	v_dual_fmac_f32 v19, v56, v50 :: v_dual_add_nc_u32 v10, -5, v8
	global_load_b64 v[64:65], v[64:65], off
	global_load_b64 v[30:31], v[30:31], off
	v_fmac_f32_e32 v20, v34, v40
	v_lshlrev_b64_e32 v[9:10], 3, v[10:11]
	v_add_co_u32 v68, vcc_lo, s8, v68
	s_wait_alu 0xfffd
	v_add_co_ci_u32_e64 v69, null, s9, v69, vcc_lo
	v_fma_f32 v7, -v23, v51, v7
	s_delay_alu instid0(VALU_DEP_4)
	v_add_co_u32 v9, vcc_lo, s8, v9
	s_wait_alu 0xfffd
	v_add_co_ci_u32_e64 v10, null, s9, v10, vcc_lo
	s_clause 0x2
	global_load_b64 v[68:69], v[68:69], off
	global_load_b64 v[9:10], v[9:10], off
	;; [unrolled: 1-line block ×3, first 2 shown]
	s_wait_loadcnt 0x8
	v_dual_fmac_f32 v16, v33, v40 :: v_dual_fmac_f32 v7, v24, v58
	v_fmac_f32_e32 v13, v25, v58
	v_fmac_f32_e32 v14, v37, v40
	v_dual_fmac_f32 v15, v54, v51 :: v_dual_add_nc_u32 v8, 0x50, v8
	s_delay_alu instid0(VALU_DEP_4)
	v_fmac_f32_e32 v16, v32, v41
	v_fma_f32 v18, -v35, v41, v20
	v_fmac_f32_e32 v13, v24, v59
	v_fmac_f32_e32 v14, v36, v41
	v_fma_f32 v19, -v57, v51, v19
	v_fma_f32 v7, -v25, v59, v7
	v_fmac_f32_e32 v16, v45, v42
	v_fmac_f32_e32 v18, v46, v42
	v_cmp_ge_i32_e32 vcc_lo, v6, v17
	s_wait_alu 0xfffe
	s_or_b32 s2, vcc_lo, s2
	s_wait_loadcnt 0x6
	v_fmac_f32_e32 v15, v63, v58
	s_delay_alu instid0(VALU_DEP_1) | instskip(SKIP_2) | instid1(VALU_DEP_2)
	v_dual_fmac_f32 v12, v44, v42 :: v_dual_fmac_f32 v15, v62, v59
	s_wait_loadcnt 0x4
	v_dual_fmac_f32 v13, v67, v64 :: v_dual_fmac_f32 v14, v49, v42
	v_fma_f32 v12, -v45, v43, v12
	v_fma_f32 v18, -v47, v43, v18
	s_wait_loadcnt 0x3
	v_fmac_f32_e32 v19, v30, v58
	v_dual_fmac_f32 v7, v66, v64 :: v_dual_fmac_f32 v16, v44, v43
	v_dual_fmac_f32 v13, v66, v65 :: v_dual_fmac_f32 v14, v48, v43
	v_fmac_f32_e32 v18, v54, v50
	s_delay_alu instid0(VALU_DEP_4)
	v_fma_f32 v19, -v31, v59, v19
	v_fmac_f32_e32 v12, v52, v50
	s_wait_loadcnt 0x1
	v_dual_fmac_f32 v16, v53, v50 :: v_dual_fmac_f32 v15, v10, v64
	v_fmac_f32_e32 v14, v57, v50
	v_fma_f32 v18, -v55, v51, v18
	s_wait_loadcnt 0x0
	s_delay_alu instid0(VALU_DEP_3) | instskip(SKIP_3) | instid1(VALU_DEP_4)
	v_dual_fmac_f32 v16, v52, v51 :: v_dual_fmac_f32 v19, v38, v64
	v_fma_f32 v12, -v53, v51, v12
	v_fmac_f32_e32 v14, v56, v51
	v_dual_fmac_f32 v18, v62, v58 :: v_dual_fmac_f32 v15, v9, v65
	v_fmac_f32_e32 v16, v61, v58
	s_delay_alu instid0(VALU_DEP_4) | instskip(NEXT) | instid1(VALU_DEP_4)
	v_fmac_f32_e32 v12, v60, v58
	v_fmac_f32_e32 v14, v31, v58
	s_delay_alu instid0(VALU_DEP_4)
	v_fma_f32 v20, -v63, v59, v18
	v_fma_f32 v18, -v67, v65, v7
	v_fmac_f32_e32 v16, v60, v59
	v_fma_f32 v12, -v61, v59, v12
	v_fmac_f32_e32 v14, v30, v59
	v_fmac_f32_e32 v20, v9, v64
	v_fma_f32 v19, -v39, v65, v19
	v_fmac_f32_e32 v16, v69, v64
	v_fmac_f32_e32 v12, v68, v64
	;; [unrolled: 1-line block ×3, first 2 shown]
	v_fma_f32 v20, -v10, v65, v20
	s_delay_alu instid0(VALU_DEP_4) | instskip(NEXT) | instid1(VALU_DEP_4)
	v_fmac_f32_e32 v16, v68, v65
	v_fma_f32 v21, -v69, v65, v12
	s_delay_alu instid0(VALU_DEP_4)
	v_fmac_f32_e32 v14, v38, v65
	s_wait_alu 0xfffe
	s_and_not1_b32 exec_lo, exec_lo, s2
	s_cbranch_execnz .LBB89_13
; %bb.14:
	s_or_b32 exec_lo, exec_lo, s2
.LBB89_15:
	s_wait_alu 0xfffe
	s_or_b32 exec_lo, exec_lo, s3
.LBB89_16:
	v_mbcnt_lo_u32_b32 v6, -1, 0
	s_delay_alu instid0(VALU_DEP_1) | instskip(NEXT) | instid1(VALU_DEP_1)
	v_xor_b32_e32 v7, 2, v6
	v_cmp_gt_i32_e32 vcc_lo, 32, v7
	s_wait_alu 0xfffd
	v_cndmask_b32_e32 v7, v6, v7, vcc_lo
	s_delay_alu instid0(VALU_DEP_1)
	v_lshlrev_b32_e32 v7, 2, v7
	ds_bpermute_b32 v8, v7, v18
	ds_bpermute_b32 v9, v7, v13
	;; [unrolled: 1-line block ×8, first 2 shown]
	v_xor_b32_e32 v7, 1, v6
	s_delay_alu instid0(VALU_DEP_1)
	v_cmp_gt_i32_e32 vcc_lo, 32, v7
	s_wait_alu 0xfffd
	v_cndmask_b32_e32 v6, v6, v7, vcc_lo
	v_cmp_eq_u32_e32 vcc_lo, 3, v0
	s_wait_dscnt 0x6
	v_add_f32_e32 v10, v13, v9
	s_wait_dscnt 0x5
	v_add_f32_e32 v11, v21, v11
	;; [unrolled: 2-line block ×3, first 2 shown]
	s_wait_dscnt 0x3
	v_dual_add_f32 v16, v20, v17 :: v_dual_lshlrev_b32 v25, 2, v6
	s_wait_dscnt 0x2
	v_dual_add_f32 v6, v18, v8 :: v_dual_add_f32 v15, v15, v22
	s_wait_dscnt 0x1
	v_add_f32_e32 v7, v19, v23
	s_wait_dscnt 0x0
	v_add_f32_e32 v9, v14, v24
	ds_bpermute_b32 v12, v25, v10
	ds_bpermute_b32 v8, v25, v6
	;; [unrolled: 1-line block ×8, first 2 shown]
	s_and_b32 exec_lo, exec_lo, vcc_lo
	s_cbranch_execz .LBB89_21
; %bb.17:
	s_load_b64 s[2:3], s[0:1], 0x38
	v_cmp_eq_f32_e32 vcc_lo, 0, v3
	v_cmp_eq_f32_e64 s0, 0, v4
	s_wait_dscnt 0x6
	v_add_f32_e32 v8, v6, v8
	s_wait_dscnt 0x1
	v_dual_add_f32 v12, v10, v12 :: v_dual_add_f32 v7, v7, v14
	s_wait_dscnt 0x0
	v_dual_add_f32 v0, v11, v18 :: v_dual_add_f32 v9, v9, v17
	v_dual_add_f32 v11, v13, v19 :: v_dual_add_f32 v6, v16, v20
	v_add_f32_e32 v10, v15, v21
	s_and_b32 s0, vcc_lo, s0
	s_wait_alu 0xfffe
	s_and_saveexec_b32 s1, s0
	s_wait_alu 0xfffe
	s_xor_b32 s0, exec_lo, s1
	s_cbranch_execz .LBB89_19
; %bb.18:
	v_dual_mul_f32 v14, v1, v12 :: v_dual_lshlrev_b32 v3, 2, v5
	v_mul_f32_e64 v13, v12, -v2
	v_mul_f32_e64 v15, v11, -v2
	v_mul_f32_e32 v16, v1, v11
	s_delay_alu instid0(VALU_DEP_4)
	v_ashrrev_i32_e32 v4, 31, v3
	v_mul_f32_e64 v17, v10, -v2
	v_mul_f32_e32 v18, v1, v10
	v_mul_f32_e64 v19, v9, -v2
	v_mul_f32_e32 v20, v1, v9
	v_lshlrev_b64_e32 v[3:4], 3, v[3:4]
	s_delay_alu instid0(VALU_DEP_4) | instskip(SKIP_1) | instid1(VALU_DEP_4)
	v_dual_fmac_f32 v13, v1, v8 :: v_dual_fmac_f32 v18, v2, v6
	v_dual_fmac_f32 v14, v2, v8 :: v_dual_fmac_f32 v17, v1, v6
	;; [unrolled: 1-line block ×3, first 2 shown]
	s_wait_kmcnt 0x0
	s_delay_alu instid0(VALU_DEP_4)
	v_add_co_u32 v3, vcc_lo, s2, v3
	s_wait_alu 0xfffd
	v_add_co_ci_u32_e64 v4, null, s3, v4, vcc_lo
	v_dual_fmac_f32 v16, v2, v0 :: v_dual_fmac_f32 v19, v1, v7
	s_clause 0x1
	global_store_b128 v[3:4], v[13:16], off
	global_store_b128 v[3:4], v[17:20], off offset:16
                                        ; implicit-def: $vgpr5
                                        ; implicit-def: $vgpr8
                                        ; implicit-def: $vgpr12
                                        ; implicit-def: $vgpr0
                                        ; implicit-def: $vgpr11
                                        ; implicit-def: $vgpr6
                                        ; implicit-def: $vgpr10
                                        ; implicit-def: $vgpr7
                                        ; implicit-def: $vgpr9
                                        ; implicit-def: $vgpr1_vgpr2
                                        ; implicit-def: $vgpr3_vgpr4
.LBB89_19:
	s_wait_alu 0xfffe
	s_and_not1_saveexec_b32 s0, s0
	s_cbranch_execz .LBB89_21
; %bb.20:
	v_dual_mul_f32 v22, v1, v12 :: v_dual_lshlrev_b32 v13, 2, v5
	v_mul_f32_e64 v5, v12, -v2
	v_mul_f32_e64 v23, v11, -v2
	;; [unrolled: 1-line block ×3, first 2 shown]
	s_delay_alu instid0(VALU_DEP_4) | instskip(NEXT) | instid1(VALU_DEP_4)
	v_ashrrev_i32_e32 v14, 31, v13
	v_fmac_f32_e32 v5, v1, v8
	s_delay_alu instid0(VALU_DEP_2) | instskip(SKIP_1) | instid1(VALU_DEP_1)
	v_lshlrev_b64_e32 v[13:14], 3, v[13:14]
	s_wait_kmcnt 0x0
	v_add_co_u32 v25, vcc_lo, s2, v13
	s_wait_alu 0xfffd
	s_delay_alu instid0(VALU_DEP_2)
	v_add_co_ci_u32_e64 v26, null, s3, v14, vcc_lo
	s_clause 0x1
	global_load_b128 v[13:16], v[25:26], off
	global_load_b128 v[17:20], v[25:26], off offset:16
	v_mul_f32_e32 v24, v1, v11
	v_mul_f32_e64 v11, v10, -v2
	s_delay_alu instid0(VALU_DEP_1) | instskip(SKIP_1) | instid1(VALU_DEP_1)
	v_dual_fmac_f32 v22, v2, v8 :: v_dual_fmac_f32 v11, v1, v6
	s_wait_loadcnt 0x1
	v_dual_fmac_f32 v27, v1, v7 :: v_dual_fmac_f32 v22, v4, v13
	s_wait_loadcnt 0x0
	s_delay_alu instid0(VALU_DEP_1) | instskip(SKIP_3) | instid1(VALU_DEP_4)
	v_dual_mul_f32 v12, v1, v9 :: v_dual_fmac_f32 v27, v3, v19
	v_fmac_f32_e32 v23, v1, v0
	v_fmac_f32_e32 v11, v3, v17
	;; [unrolled: 1-line block ×4, first 2 shown]
	s_delay_alu instid0(VALU_DEP_4) | instskip(NEXT) | instid1(VALU_DEP_4)
	v_dual_mul_f32 v10, v1, v10 :: v_dual_fmac_f32 v23, v3, v15
	v_fma_f32 v9, -v4, v18, v11
	v_fma_f32 v11, -v4, v20, v27
	s_delay_alu instid0(VALU_DEP_4) | instskip(NEXT) | instid1(VALU_DEP_4)
	v_fmac_f32_e32 v12, v4, v19
	v_dual_fmac_f32 v10, v2, v6 :: v_dual_fmac_f32 v5, v3, v13
	v_fmac_f32_e32 v24, v2, v0
	v_fma_f32 v23, -v4, v16, v23
	s_delay_alu instid0(VALU_DEP_4) | instskip(NEXT) | instid1(VALU_DEP_4)
	v_fmac_f32_e32 v12, v3, v20
	v_fmac_f32_e32 v10, v4, v17
	v_fma_f32 v21, -v4, v14, v5
	v_fmac_f32_e32 v24, v4, v15
	s_delay_alu instid0(VALU_DEP_3) | instskip(NEXT) | instid1(VALU_DEP_2)
	v_fmac_f32_e32 v10, v3, v18
	v_fmac_f32_e32 v24, v3, v16
	s_clause 0x1
	global_store_b128 v[25:26], v[21:24], off
	global_store_b128 v[25:26], v[9:12], off offset:16
.LBB89_21:
	s_endpgm
	.section	.rodata,"a",@progbits
	.p2align	6, 0x0
	.amdhsa_kernel _ZN9rocsparseL19gebsrmvn_4xn_kernelILj128ELj5ELj4E21rocsparse_complex_numIfEEEvi20rocsparse_direction_NS_24const_host_device_scalarIT2_EEPKiS8_PKS5_SA_S6_PS5_21rocsparse_index_base_b
		.amdhsa_group_segment_fixed_size 0
		.amdhsa_private_segment_fixed_size 0
		.amdhsa_kernarg_size 72
		.amdhsa_user_sgpr_count 2
		.amdhsa_user_sgpr_dispatch_ptr 0
		.amdhsa_user_sgpr_queue_ptr 0
		.amdhsa_user_sgpr_kernarg_segment_ptr 1
		.amdhsa_user_sgpr_dispatch_id 0
		.amdhsa_user_sgpr_private_segment_size 0
		.amdhsa_wavefront_size32 1
		.amdhsa_uses_dynamic_stack 0
		.amdhsa_enable_private_segment 0
		.amdhsa_system_sgpr_workgroup_id_x 1
		.amdhsa_system_sgpr_workgroup_id_y 0
		.amdhsa_system_sgpr_workgroup_id_z 0
		.amdhsa_system_sgpr_workgroup_info 0
		.amdhsa_system_vgpr_workitem_id 0
		.amdhsa_next_free_vgpr 72
		.amdhsa_next_free_sgpr 14
		.amdhsa_reserve_vcc 1
		.amdhsa_float_round_mode_32 0
		.amdhsa_float_round_mode_16_64 0
		.amdhsa_float_denorm_mode_32 3
		.amdhsa_float_denorm_mode_16_64 3
		.amdhsa_fp16_overflow 0
		.amdhsa_workgroup_processor_mode 1
		.amdhsa_memory_ordered 1
		.amdhsa_forward_progress 1
		.amdhsa_inst_pref_size 31
		.amdhsa_round_robin_scheduling 0
		.amdhsa_exception_fp_ieee_invalid_op 0
		.amdhsa_exception_fp_denorm_src 0
		.amdhsa_exception_fp_ieee_div_zero 0
		.amdhsa_exception_fp_ieee_overflow 0
		.amdhsa_exception_fp_ieee_underflow 0
		.amdhsa_exception_fp_ieee_inexact 0
		.amdhsa_exception_int_div_zero 0
	.end_amdhsa_kernel
	.section	.text._ZN9rocsparseL19gebsrmvn_4xn_kernelILj128ELj5ELj4E21rocsparse_complex_numIfEEEvi20rocsparse_direction_NS_24const_host_device_scalarIT2_EEPKiS8_PKS5_SA_S6_PS5_21rocsparse_index_base_b,"axG",@progbits,_ZN9rocsparseL19gebsrmvn_4xn_kernelILj128ELj5ELj4E21rocsparse_complex_numIfEEEvi20rocsparse_direction_NS_24const_host_device_scalarIT2_EEPKiS8_PKS5_SA_S6_PS5_21rocsparse_index_base_b,comdat
.Lfunc_end89:
	.size	_ZN9rocsparseL19gebsrmvn_4xn_kernelILj128ELj5ELj4E21rocsparse_complex_numIfEEEvi20rocsparse_direction_NS_24const_host_device_scalarIT2_EEPKiS8_PKS5_SA_S6_PS5_21rocsparse_index_base_b, .Lfunc_end89-_ZN9rocsparseL19gebsrmvn_4xn_kernelILj128ELj5ELj4E21rocsparse_complex_numIfEEEvi20rocsparse_direction_NS_24const_host_device_scalarIT2_EEPKiS8_PKS5_SA_S6_PS5_21rocsparse_index_base_b
                                        ; -- End function
	.set _ZN9rocsparseL19gebsrmvn_4xn_kernelILj128ELj5ELj4E21rocsparse_complex_numIfEEEvi20rocsparse_direction_NS_24const_host_device_scalarIT2_EEPKiS8_PKS5_SA_S6_PS5_21rocsparse_index_base_b.num_vgpr, 72
	.set _ZN9rocsparseL19gebsrmvn_4xn_kernelILj128ELj5ELj4E21rocsparse_complex_numIfEEEvi20rocsparse_direction_NS_24const_host_device_scalarIT2_EEPKiS8_PKS5_SA_S6_PS5_21rocsparse_index_base_b.num_agpr, 0
	.set _ZN9rocsparseL19gebsrmvn_4xn_kernelILj128ELj5ELj4E21rocsparse_complex_numIfEEEvi20rocsparse_direction_NS_24const_host_device_scalarIT2_EEPKiS8_PKS5_SA_S6_PS5_21rocsparse_index_base_b.numbered_sgpr, 14
	.set _ZN9rocsparseL19gebsrmvn_4xn_kernelILj128ELj5ELj4E21rocsparse_complex_numIfEEEvi20rocsparse_direction_NS_24const_host_device_scalarIT2_EEPKiS8_PKS5_SA_S6_PS5_21rocsparse_index_base_b.num_named_barrier, 0
	.set _ZN9rocsparseL19gebsrmvn_4xn_kernelILj128ELj5ELj4E21rocsparse_complex_numIfEEEvi20rocsparse_direction_NS_24const_host_device_scalarIT2_EEPKiS8_PKS5_SA_S6_PS5_21rocsparse_index_base_b.private_seg_size, 0
	.set _ZN9rocsparseL19gebsrmvn_4xn_kernelILj128ELj5ELj4E21rocsparse_complex_numIfEEEvi20rocsparse_direction_NS_24const_host_device_scalarIT2_EEPKiS8_PKS5_SA_S6_PS5_21rocsparse_index_base_b.uses_vcc, 1
	.set _ZN9rocsparseL19gebsrmvn_4xn_kernelILj128ELj5ELj4E21rocsparse_complex_numIfEEEvi20rocsparse_direction_NS_24const_host_device_scalarIT2_EEPKiS8_PKS5_SA_S6_PS5_21rocsparse_index_base_b.uses_flat_scratch, 0
	.set _ZN9rocsparseL19gebsrmvn_4xn_kernelILj128ELj5ELj4E21rocsparse_complex_numIfEEEvi20rocsparse_direction_NS_24const_host_device_scalarIT2_EEPKiS8_PKS5_SA_S6_PS5_21rocsparse_index_base_b.has_dyn_sized_stack, 0
	.set _ZN9rocsparseL19gebsrmvn_4xn_kernelILj128ELj5ELj4E21rocsparse_complex_numIfEEEvi20rocsparse_direction_NS_24const_host_device_scalarIT2_EEPKiS8_PKS5_SA_S6_PS5_21rocsparse_index_base_b.has_recursion, 0
	.set _ZN9rocsparseL19gebsrmvn_4xn_kernelILj128ELj5ELj4E21rocsparse_complex_numIfEEEvi20rocsparse_direction_NS_24const_host_device_scalarIT2_EEPKiS8_PKS5_SA_S6_PS5_21rocsparse_index_base_b.has_indirect_call, 0
	.section	.AMDGPU.csdata,"",@progbits
; Kernel info:
; codeLenInByte = 3964
; TotalNumSgprs: 16
; NumVgprs: 72
; ScratchSize: 0
; MemoryBound: 0
; FloatMode: 240
; IeeeMode: 1
; LDSByteSize: 0 bytes/workgroup (compile time only)
; SGPRBlocks: 0
; VGPRBlocks: 8
; NumSGPRsForWavesPerEU: 16
; NumVGPRsForWavesPerEU: 72
; Occupancy: 16
; WaveLimiterHint : 1
; COMPUTE_PGM_RSRC2:SCRATCH_EN: 0
; COMPUTE_PGM_RSRC2:USER_SGPR: 2
; COMPUTE_PGM_RSRC2:TRAP_HANDLER: 0
; COMPUTE_PGM_RSRC2:TGID_X_EN: 1
; COMPUTE_PGM_RSRC2:TGID_Y_EN: 0
; COMPUTE_PGM_RSRC2:TGID_Z_EN: 0
; COMPUTE_PGM_RSRC2:TIDIG_COMP_CNT: 0
	.section	.text._ZN9rocsparseL19gebsrmvn_4xn_kernelILj128ELj5ELj8E21rocsparse_complex_numIfEEEvi20rocsparse_direction_NS_24const_host_device_scalarIT2_EEPKiS8_PKS5_SA_S6_PS5_21rocsparse_index_base_b,"axG",@progbits,_ZN9rocsparseL19gebsrmvn_4xn_kernelILj128ELj5ELj8E21rocsparse_complex_numIfEEEvi20rocsparse_direction_NS_24const_host_device_scalarIT2_EEPKiS8_PKS5_SA_S6_PS5_21rocsparse_index_base_b,comdat
	.globl	_ZN9rocsparseL19gebsrmvn_4xn_kernelILj128ELj5ELj8E21rocsparse_complex_numIfEEEvi20rocsparse_direction_NS_24const_host_device_scalarIT2_EEPKiS8_PKS5_SA_S6_PS5_21rocsparse_index_base_b ; -- Begin function _ZN9rocsparseL19gebsrmvn_4xn_kernelILj128ELj5ELj8E21rocsparse_complex_numIfEEEvi20rocsparse_direction_NS_24const_host_device_scalarIT2_EEPKiS8_PKS5_SA_S6_PS5_21rocsparse_index_base_b
	.p2align	8
	.type	_ZN9rocsparseL19gebsrmvn_4xn_kernelILj128ELj5ELj8E21rocsparse_complex_numIfEEEvi20rocsparse_direction_NS_24const_host_device_scalarIT2_EEPKiS8_PKS5_SA_S6_PS5_21rocsparse_index_base_b,@function
_ZN9rocsparseL19gebsrmvn_4xn_kernelILj128ELj5ELj8E21rocsparse_complex_numIfEEEvi20rocsparse_direction_NS_24const_host_device_scalarIT2_EEPKiS8_PKS5_SA_S6_PS5_21rocsparse_index_base_b: ; @_ZN9rocsparseL19gebsrmvn_4xn_kernelILj128ELj5ELj8E21rocsparse_complex_numIfEEEvi20rocsparse_direction_NS_24const_host_device_scalarIT2_EEPKiS8_PKS5_SA_S6_PS5_21rocsparse_index_base_b
; %bb.0:
	s_clause 0x2
	s_load_b64 s[12:13], s[0:1], 0x40
	s_load_b64 s[2:3], s[0:1], 0x8
	;; [unrolled: 1-line block ×3, first 2 shown]
	s_add_nc_u64 s[6:7], s[0:1], 8
	s_wait_kmcnt 0x0
	s_bitcmp1_b32 s13, 0
	s_cselect_b32 s2, s6, s2
	s_cselect_b32 s3, s7, s3
	s_delay_alu instid0(SALU_CYCLE_1)
	v_dual_mov_b32 v1, s2 :: v_dual_mov_b32 v2, s3
	s_add_nc_u64 s[2:3], s[0:1], 48
	s_wait_alu 0xfffe
	s_cselect_b32 s2, s2, s4
	s_cselect_b32 s3, s3, s5
	flat_load_b64 v[1:2], v[1:2]
	s_wait_alu 0xfffe
	v_dual_mov_b32 v3, s2 :: v_dual_mov_b32 v4, s3
	flat_load_b64 v[3:4], v[3:4]
	s_wait_loadcnt_dscnt 0x101
	v_cmp_eq_f32_e32 vcc_lo, 0, v1
	v_cmp_eq_f32_e64 s2, 0, v2
	s_and_b32 s4, vcc_lo, s2
	s_mov_b32 s2, -1
	s_and_saveexec_b32 s3, s4
	s_cbranch_execz .LBB90_2
; %bb.1:
	s_wait_loadcnt_dscnt 0x0
	v_cmp_neq_f32_e32 vcc_lo, 1.0, v3
	v_cmp_neq_f32_e64 s2, 0, v4
	s_wait_alu 0xfffe
	s_or_b32 s2, vcc_lo, s2
	s_wait_alu 0xfffe
	s_or_not1_b32 s2, s2, exec_lo
.LBB90_2:
	s_wait_alu 0xfffe
	s_or_b32 exec_lo, exec_lo, s3
	s_and_saveexec_b32 s3, s2
	s_cbranch_execz .LBB90_21
; %bb.3:
	s_load_b64 s[2:3], s[0:1], 0x0
	v_lshrrev_b32_e32 v5, 3, v0
	s_delay_alu instid0(VALU_DEP_1) | instskip(SKIP_1) | instid1(VALU_DEP_1)
	v_lshl_or_b32 v5, ttmp9, 4, v5
	s_wait_kmcnt 0x0
	v_cmp_gt_i32_e32 vcc_lo, s2, v5
	s_and_b32 exec_lo, exec_lo, vcc_lo
	s_cbranch_execz .LBB90_21
; %bb.4:
	s_load_b256 s[4:11], s[0:1], 0x10
	v_ashrrev_i32_e32 v6, 31, v5
	v_and_b32_e32 v0, 7, v0
	s_cmp_lg_u32 s3, 0
	s_delay_alu instid0(VALU_DEP_2) | instskip(SKIP_1) | instid1(VALU_DEP_1)
	v_lshlrev_b64_e32 v[6:7], 2, v[5:6]
	s_wait_kmcnt 0x0
	v_add_co_u32 v6, vcc_lo, s4, v6
	s_delay_alu instid0(VALU_DEP_1) | instskip(SKIP_4) | instid1(VALU_DEP_2)
	v_add_co_ci_u32_e64 v7, null, s5, v7, vcc_lo
	global_load_b64 v[6:7], v[6:7], off
	s_wait_loadcnt 0x0
	v_subrev_nc_u32_e32 v6, s12, v6
	v_subrev_nc_u32_e32 v17, s12, v7
	v_add_nc_u32_e32 v6, v6, v0
	s_delay_alu instid0(VALU_DEP_1)
	v_cmp_lt_i32_e64 s2, v6, v17
	s_cbranch_scc0 .LBB90_10
; %bb.5:
	v_dual_mov_b32 v13, 0 :: v_dual_mov_b32 v18, 0
	v_dual_mov_b32 v19, 0 :: v_dual_mov_b32 v14, 0
	;; [unrolled: 1-line block ×4, first 2 shown]
	s_and_saveexec_b32 s3, s2
	s_cbranch_execz .LBB90_9
; %bb.6:
	v_mad_co_u64_u32 v[7:8], null, v6, 20, 16
	v_dual_mov_b32 v10, 0 :: v_dual_mov_b32 v11, v6
	v_dual_mov_b32 v13, 0 :: v_dual_mov_b32 v18, 0
	;; [unrolled: 1-line block ×5, first 2 shown]
	s_mov_b32 s4, 0
.LBB90_7:                               ; =>This Inner Loop Header: Depth=1
	v_ashrrev_i32_e32 v12, 31, v11
	s_delay_alu instid0(VALU_DEP_1) | instskip(NEXT) | instid1(VALU_DEP_1)
	v_lshlrev_b64_e32 v[8:9], 2, v[11:12]
	v_add_co_u32 v8, vcc_lo, s6, v8
	s_wait_alu 0xfffd
	s_delay_alu instid0(VALU_DEP_2) | instskip(SKIP_2) | instid1(VALU_DEP_1)
	v_add_co_ci_u32_e64 v9, null, s7, v9, vcc_lo
	global_load_b32 v12, v[8:9], off
	v_dual_mov_b32 v8, v10 :: v_dual_add_nc_u32 v9, -16, v7
	v_lshlrev_b64_e32 v[22:23], 3, v[9:10]
	v_add_nc_u32_e32 v9, -12, v7
	s_delay_alu instid0(VALU_DEP_3) | instskip(NEXT) | instid1(VALU_DEP_2)
	v_lshlrev_b64_e32 v[24:25], 3, v[7:8]
	v_lshlrev_b64_e32 v[8:9], 3, v[9:10]
	s_delay_alu instid0(VALU_DEP_4) | instskip(SKIP_2) | instid1(VALU_DEP_4)
	v_add_co_u32 v26, vcc_lo, s8, v22
	s_wait_alu 0xfffd
	v_add_co_ci_u32_e64 v27, null, s9, v23, vcc_lo
	v_add_co_u32 v34, vcc_lo, s8, v24
	s_wait_alu 0xfffd
	v_add_co_ci_u32_e64 v35, null, s9, v25, vcc_lo
	;; [unrolled: 3-line block ×3, first 2 shown]
	s_clause 0x5
	global_load_b128 v[22:25], v[26:27], off offset:16
	global_load_b128 v[26:29], v[26:27], off
	global_load_b128 v[30:33], v[34:35], off offset:16
	global_load_b128 v[34:37], v[34:35], off
	;; [unrolled: 2-line block ×3, first 2 shown]
	v_mov_b32_e32 v55, v10
	s_wait_loadcnt 0x6
	v_subrev_nc_u32_e32 v8, s12, v12
	s_delay_alu instid0(VALU_DEP_1) | instskip(NEXT) | instid1(VALU_DEP_1)
	v_lshl_add_u32 v54, v8, 2, v8
	v_lshlrev_b64_e32 v[46:47], 3, v[54:55]
	s_delay_alu instid0(VALU_DEP_1) | instskip(SKIP_1) | instid1(VALU_DEP_2)
	v_add_co_u32 v46, vcc_lo, s10, v46
	s_wait_alu 0xfffd
	v_add_co_ci_u32_e64 v47, null, s11, v47, vcc_lo
	global_load_b64 v[62:63], v[46:47], off
	s_wait_loadcnt 0x0
	v_dual_fmac_f32 v14, v25, v62 :: v_dual_add_nc_u32 v11, 8, v11
	v_fmac_f32_e32 v16, v29, v62
	v_add_nc_u32_e32 v9, 1, v54
	v_fmac_f32_e32 v18, v26, v62
	v_fmac_f32_e32 v20, v22, v62
	;; [unrolled: 1-line block ×4, first 2 shown]
	v_lshlrev_b64_e32 v[48:49], 3, v[9:10]
	v_add_nc_u32_e32 v9, -8, v7
	v_fma_f32 v12, -v27, v63, v18
	v_fma_f32 v20, -v23, v63, v20
	s_delay_alu instid0(VALU_DEP_3) | instskip(SKIP_4) | instid1(VALU_DEP_3)
	v_lshlrev_b64_e32 v[50:51], 3, v[9:10]
	v_add_nc_u32_e32 v9, 2, v54
	v_add_co_u32 v46, vcc_lo, s10, v48
	s_wait_alu 0xfffd
	v_add_co_ci_u32_e64 v47, null, s11, v49, vcc_lo
	v_lshlrev_b64_e32 v[48:49], 3, v[9:10]
	v_add_co_u32 v50, vcc_lo, s8, v50
	global_load_b64 v[64:65], v[46:47], off
	s_wait_alu 0xfffd
	v_add_co_ci_u32_e64 v51, null, s9, v51, vcc_lo
	v_add_co_u32 v57, vcc_lo, s10, v48
	s_wait_alu 0xfffd
	v_add_co_ci_u32_e64 v58, null, s11, v49, vcc_lo
	s_clause 0x1
	global_load_b128 v[46:49], v[50:51], off offset:16
	global_load_b128 v[50:53], v[50:51], off
	v_add_nc_u32_e32 v9, -4, v7
	v_fmac_f32_e32 v13, v27, v62
	global_load_b64 v[66:67], v[57:58], off
	s_wait_loadcnt 0x3
	v_dual_fmac_f32 v20, v38, v64 :: v_dual_add_nc_u32 v7, 0xa0, v7
	v_fmac_f32_e32 v12, v42, v64
	v_dual_fmac_f32 v14, v41, v64 :: v_dual_fmac_f32 v13, v26, v63
	v_lshlrev_b64_e32 v[55:56], 3, v[9:10]
	s_delay_alu instid0(VALU_DEP_4) | instskip(NEXT) | instid1(VALU_DEP_4)
	v_fma_f32 v20, -v39, v65, v20
	v_fma_f32 v12, -v43, v65, v12
	s_delay_alu instid0(VALU_DEP_4)
	v_dual_fmac_f32 v14, v40, v65 :: v_dual_fmac_f32 v13, v43, v64
	v_fmac_f32_e32 v16, v45, v64
	v_add_co_u32 v68, vcc_lo, s8, v55
	s_wait_loadcnt 0x0
	v_fmac_f32_e32 v12, v50, v66
	s_wait_alu 0xfffd
	v_add_co_ci_u32_e64 v69, null, s9, v56, vcc_lo
	v_dual_fmac_f32 v15, v23, v62 :: v_dual_fmac_f32 v16, v44, v65
	s_delay_alu instid0(VALU_DEP_3) | instskip(SKIP_2) | instid1(VALU_DEP_4)
	v_fma_f32 v12, -v51, v67, v12
	v_fmac_f32_e32 v21, v28, v62
	v_dual_fmac_f32 v13, v42, v65 :: v_dual_fmac_f32 v14, v49, v66
	v_fmac_f32_e32 v16, v53, v66
	v_fmac_f32_e32 v20, v46, v66
	s_delay_alu instid0(VALU_DEP_4) | instskip(SKIP_3) | instid1(VALU_DEP_4)
	v_fma_f32 v18, -v29, v63, v21
	v_add_nc_u32_e32 v9, 3, v54
	v_dual_fmac_f32 v13, v51, v66 :: v_dual_fmac_f32 v14, v48, v67
	v_fmac_f32_e32 v16, v52, v67
	v_fmac_f32_e32 v18, v44, v64
	s_delay_alu instid0(VALU_DEP_4) | instskip(SKIP_2) | instid1(VALU_DEP_4)
	v_lshlrev_b64_e32 v[59:60], 3, v[9:10]
	v_add_nc_u32_e32 v9, 4, v54
	v_fma_f32 v20, -v47, v67, v20
	v_fma_f32 v18, -v45, v65, v18
	v_fmac_f32_e32 v15, v22, v63
	v_add_co_u32 v70, vcc_lo, s10, v59
	s_wait_alu 0xfffd
	v_add_co_ci_u32_e64 v71, null, s11, v60, vcc_lo
	s_clause 0x1
	global_load_b128 v[54:57], v[68:69], off offset:16
	global_load_b128 v[58:61], v[68:69], off
	global_load_b64 v[68:69], v[70:71], off
	v_lshlrev_b64_e32 v[8:9], 3, v[9:10]
	v_dual_fmac_f32 v18, v52, v66 :: v_dual_fmac_f32 v15, v39, v64
	v_fmac_f32_e32 v19, v24, v62
	v_fmac_f32_e32 v13, v50, v67
	s_delay_alu instid0(VALU_DEP_4)
	v_add_co_u32 v8, vcc_lo, s10, v8
	s_wait_alu 0xfffd
	v_add_co_ci_u32_e64 v9, null, s11, v9, vcc_lo
	v_fmac_f32_e32 v15, v38, v65
	v_fma_f32 v18, -v53, v67, v18
	v_cmp_ge_i32_e32 vcc_lo, v11, v17
	global_load_b64 v[8:9], v[8:9], off
	v_fmac_f32_e32 v15, v47, v66
	s_wait_alu 0xfffe
	s_or_b32 s4, vcc_lo, s4
	s_wait_loadcnt 0x1
	v_fmac_f32_e32 v16, v61, v68
	v_fma_f32 v19, -v25, v63, v19
	v_dual_fmac_f32 v18, v60, v68 :: v_dual_fmac_f32 v15, v46, v67
	v_fmac_f32_e32 v14, v57, v68
	v_fmac_f32_e32 v13, v59, v68
	s_delay_alu instid0(VALU_DEP_4)
	v_fmac_f32_e32 v19, v40, v64
	v_fmac_f32_e32 v20, v54, v68
	;; [unrolled: 1-line block ×5, first 2 shown]
	v_fma_f32 v19, -v41, v65, v19
	v_fmac_f32_e32 v13, v58, v69
	v_fma_f32 v21, -v61, v69, v18
	s_wait_loadcnt 0x0
	v_fmac_f32_e32 v16, v37, v8
	v_fmac_f32_e32 v15, v55, v68
	;; [unrolled: 1-line block ×3, first 2 shown]
	v_fma_f32 v12, -v59, v69, v12
	v_fma_f32 v20, -v55, v69, v20
	v_fmac_f32_e32 v16, v36, v9
	v_dual_fmac_f32 v15, v54, v69 :: v_dual_fmac_f32 v14, v33, v8
	v_fma_f32 v19, -v49, v67, v19
	v_fmac_f32_e32 v12, v34, v8
	v_fmac_f32_e32 v13, v35, v8
	v_fmac_f32_e32 v21, v36, v8
	v_fmac_f32_e32 v20, v30, v8
	v_fmac_f32_e32 v19, v56, v68
	v_fmac_f32_e32 v15, v31, v8
	v_fma_f32 v18, -v35, v9, v12
	v_fma_f32 v21, -v37, v9, v21
	;; [unrolled: 1-line block ×4, first 2 shown]
	v_fmac_f32_e32 v15, v30, v9
	v_fmac_f32_e32 v14, v32, v9
	;; [unrolled: 1-line block ×3, first 2 shown]
	s_delay_alu instid0(VALU_DEP_4) | instskip(NEXT) | instid1(VALU_DEP_1)
	v_fmac_f32_e32 v19, v32, v8
	v_fma_f32 v19, -v33, v9, v19
	s_wait_alu 0xfffe
	s_and_not1_b32 exec_lo, exec_lo, s4
	s_cbranch_execnz .LBB90_7
; %bb.8:
	s_or_b32 exec_lo, exec_lo, s4
.LBB90_9:
	s_wait_alu 0xfffe
	s_or_b32 exec_lo, exec_lo, s3
	s_cbranch_execz .LBB90_11
	s_branch .LBB90_16
.LBB90_10:
                                        ; implicit-def: $vgpr13
                                        ; implicit-def: $vgpr18
                                        ; implicit-def: $vgpr19
                                        ; implicit-def: $vgpr14
                                        ; implicit-def: $vgpr20
                                        ; implicit-def: $vgpr15
                                        ; implicit-def: $vgpr21
                                        ; implicit-def: $vgpr16
.LBB90_11:
	v_dual_mov_b32 v13, 0 :: v_dual_mov_b32 v18, 0
	v_dual_mov_b32 v19, 0 :: v_dual_mov_b32 v14, 0
	;; [unrolled: 1-line block ×4, first 2 shown]
	s_and_saveexec_b32 s3, s2
	s_cbranch_execz .LBB90_15
; %bb.12:
	v_mad_co_u64_u32 v[8:9], null, v6, 20, 19
	v_dual_mov_b32 v11, 0 :: v_dual_mov_b32 v18, 0
	v_dual_mov_b32 v13, 0 :: v_dual_mov_b32 v14, 0
	;; [unrolled: 1-line block ×4, first 2 shown]
	v_mov_b32_e32 v21, 0
	s_mov_b32 s2, 0
.LBB90_13:                              ; =>This Inner Loop Header: Depth=1
	v_ashrrev_i32_e32 v7, 31, v6
	v_dual_mov_b32 v31, v11 :: v_dual_add_nc_u32 v22, -14, v8
	v_dual_mov_b32 v23, v11 :: v_dual_add_nc_u32 v24, -9, v8
	s_delay_alu instid0(VALU_DEP_3) | instskip(SKIP_1) | instid1(VALU_DEP_3)
	v_lshlrev_b64_e32 v[9:10], 2, v[6:7]
	v_dual_mov_b32 v25, v11 :: v_dual_add_nc_u32 v26, -4, v8
	v_lshlrev_b64_e32 v[22:23], 3, v[22:23]
	s_delay_alu instid0(VALU_DEP_3) | instskip(SKIP_1) | instid1(VALU_DEP_4)
	v_add_co_u32 v9, vcc_lo, s6, v9
	s_wait_alu 0xfffd
	v_add_co_ci_u32_e64 v10, null, s7, v10, vcc_lo
	v_lshlrev_b64_e32 v[24:25], 3, v[24:25]
	global_load_b32 v7, v[9:10], off
	v_subrev_nc_u32_e32 v10, 19, v8
	v_mov_b32_e32 v9, v11
	s_delay_alu instid0(VALU_DEP_2) | instskip(NEXT) | instid1(VALU_DEP_2)
	v_lshlrev_b64_e32 v[28:29], 3, v[10:11]
	v_lshlrev_b64_e32 v[9:10], 3, v[8:9]
	s_delay_alu instid0(VALU_DEP_2) | instskip(SKIP_1) | instid1(VALU_DEP_3)
	v_add_co_u32 v28, vcc_lo, s8, v28
	s_wait_alu 0xfffd
	v_add_co_ci_u32_e64 v29, null, s9, v29, vcc_lo
	v_add_co_u32 v32, vcc_lo, s8, v22
	s_wait_alu 0xfffd
	v_add_co_ci_u32_e64 v33, null, s9, v23, vcc_lo
	;; [unrolled: 3-line block ×3, first 2 shown]
	s_wait_loadcnt 0x0
	v_subrev_nc_u32_e32 v7, s12, v7
	s_delay_alu instid0(VALU_DEP_1) | instskip(SKIP_1) | instid1(VALU_DEP_2)
	v_lshl_add_u32 v30, v7, 2, v7
	v_mov_b32_e32 v27, v11
	v_lshlrev_b64_e32 v[40:41], 3, v[30:31]
	s_delay_alu instid0(VALU_DEP_2) | instskip(NEXT) | instid1(VALU_DEP_1)
	v_lshlrev_b64_e32 v[26:27], 3, v[26:27]
	v_add_co_u32 v36, vcc_lo, s8, v26
	s_wait_alu 0xfffd
	s_delay_alu instid0(VALU_DEP_2)
	v_add_co_ci_u32_e64 v37, null, s9, v27, vcc_lo
	v_add_co_u32 v38, vcc_lo, s8, v9
	s_wait_alu 0xfffd
	v_add_co_ci_u32_e64 v39, null, s9, v10, vcc_lo
	v_add_co_u32 v40, vcc_lo, s10, v40
	s_wait_alu 0xfffd
	v_add_co_ci_u32_e64 v41, null, s11, v41, vcc_lo
	s_clause 0x4
	global_load_b128 v[22:25], v[28:29], off offset:16
	global_load_b128 v[26:29], v[28:29], off
	global_load_b64 v[32:33], v[32:33], off
	global_load_b64 v[34:35], v[34:35], off
	global_load_b64 v[36:37], v[36:37], off
	v_add_nc_u32_e32 v10, 1, v30
	global_load_b64 v[40:41], v[40:41], off
	v_lshlrev_b64_e32 v[42:43], 3, v[10:11]
	v_add_nc_u32_e32 v10, -13, v8
	s_delay_alu instid0(VALU_DEP_2) | instskip(SKIP_1) | instid1(VALU_DEP_3)
	v_add_co_u32 v42, vcc_lo, s10, v42
	s_wait_alu 0xfffd
	v_add_co_ci_u32_e64 v43, null, s11, v43, vcc_lo
	s_delay_alu instid0(VALU_DEP_3)
	v_lshlrev_b64_e32 v[44:45], 3, v[10:11]
	global_load_b64 v[42:43], v[42:43], off
	v_add_nc_u32_e32 v6, 8, v6
	v_add_co_u32 v44, vcc_lo, s8, v44
	s_wait_alu 0xfffd
	v_add_co_ci_u32_e64 v45, null, s9, v45, vcc_lo
	global_load_b64 v[44:45], v[44:45], off
	s_wait_loadcnt 0x2
	v_fmac_f32_e32 v13, v27, v40
	v_add_nc_u32_e32 v10, -8, v8
	v_fmac_f32_e32 v15, v35, v40
	v_fmac_f32_e32 v21, v32, v40
	;; [unrolled: 1-line block ×4, first 2 shown]
	v_lshlrev_b64_e32 v[46:47], 3, v[10:11]
	v_dual_fmac_f32 v15, v34, v41 :: v_dual_add_nc_u32 v10, -3, v8
	v_fma_f32 v12, -v33, v41, v21
	v_fma_f32 v19, -v37, v41, v19
	s_delay_alu instid0(VALU_DEP_3) | instskip(SKIP_4) | instid1(VALU_DEP_3)
	v_lshlrev_b64_e32 v[48:49], 3, v[10:11]
	v_add_nc_u32_e32 v10, 2, v30
	v_add_co_u32 v46, vcc_lo, s8, v46
	s_wait_alu 0xfffd
	v_add_co_ci_u32_e64 v47, null, s9, v47, vcc_lo
	v_lshlrev_b64_e32 v[50:51], 3, v[10:11]
	v_add_co_u32 v48, vcc_lo, s8, v48
	s_wait_alu 0xfffd
	v_add_co_ci_u32_e64 v49, null, s9, v49, vcc_lo
	global_load_b64 v[46:47], v[46:47], off
	v_add_co_u32 v50, vcc_lo, s10, v50
	s_wait_alu 0xfffd
	v_add_co_ci_u32_e64 v51, null, s11, v51, vcc_lo
	global_load_b64 v[48:49], v[48:49], off
	s_wait_loadcnt 0x3
	v_fmac_f32_e32 v13, v29, v42
	global_load_b64 v[50:51], v[50:51], off
	v_dual_fmac_f32 v18, v26, v40 :: v_dual_fmac_f32 v13, v28, v43
	s_delay_alu instid0(VALU_DEP_1) | instskip(NEXT) | instid1(VALU_DEP_1)
	v_fma_f32 v7, -v27, v41, v18
	v_dual_fmac_f32 v7, v28, v42 :: v_dual_add_nc_u32 v10, -12, v8
	s_delay_alu instid0(VALU_DEP_1) | instskip(SKIP_1) | instid1(VALU_DEP_3)
	v_lshlrev_b64_e32 v[52:53], 3, v[10:11]
	v_add_nc_u32_e32 v10, -7, v8
	v_fma_f32 v7, -v29, v43, v7
	s_delay_alu instid0(VALU_DEP_2) | instskip(SKIP_4) | instid1(VALU_DEP_3)
	v_lshlrev_b64_e32 v[54:55], 3, v[10:11]
	v_add_nc_u32_e32 v10, -2, v8
	v_add_co_u32 v52, vcc_lo, s8, v52
	s_wait_alu 0xfffd
	v_add_co_ci_u32_e64 v53, null, s9, v53, vcc_lo
	v_lshlrev_b64_e32 v[56:57], 3, v[10:11]
	v_add_co_u32 v54, vcc_lo, s8, v54
	s_wait_alu 0xfffd
	v_add_co_ci_u32_e64 v55, null, s9, v55, vcc_lo
	global_load_b64 v[52:53], v[52:53], off
	v_add_co_u32 v56, vcc_lo, s8, v56
	s_wait_alu 0xfffd
	v_add_co_ci_u32_e64 v57, null, s9, v57, vcc_lo
	global_load_b64 v[54:55], v[54:55], off
	v_add_nc_u32_e32 v10, 3, v30
	global_load_b64 v[56:57], v[56:57], off
	v_lshlrev_b64_e32 v[58:59], 3, v[10:11]
	v_add_nc_u32_e32 v10, -11, v8
	s_delay_alu instid0(VALU_DEP_2) | instskip(SKIP_1) | instid1(VALU_DEP_3)
	v_add_co_u32 v58, vcc_lo, s10, v58
	s_wait_alu 0xfffd
	v_add_co_ci_u32_e64 v59, null, s11, v59, vcc_lo
	global_load_b64 v[58:59], v[58:59], off
	s_wait_loadcnt 0x6
	v_fmac_f32_e32 v15, v47, v42
	v_lshlrev_b64_e32 v[60:61], 3, v[10:11]
	s_wait_loadcnt 0x5
	v_dual_fmac_f32 v19, v48, v42 :: v_dual_add_nc_u32 v10, -6, v8
	s_delay_alu instid0(VALU_DEP_3) | instskip(NEXT) | instid1(VALU_DEP_2)
	v_fmac_f32_e32 v15, v46, v43
	v_lshlrev_b64_e32 v[62:63], 3, v[10:11]
	v_add_nc_u32_e32 v10, -1, v8
	v_add_co_u32 v60, vcc_lo, s8, v60
	s_wait_loadcnt 0x4
	v_fmac_f32_e32 v7, v22, v50
	v_fmac_f32_e32 v13, v23, v50
	v_lshlrev_b64_e32 v[64:65], 3, v[10:11]
	v_add_nc_u32_e32 v10, -15, v8
	s_wait_alu 0xfffd
	v_add_co_ci_u32_e64 v61, null, s9, v61, vcc_lo
	v_add_co_u32 v62, vcc_lo, s8, v62
	s_delay_alu instid0(VALU_DEP_3)
	v_lshlrev_b64_e32 v[66:67], 3, v[10:11]
	v_dual_fmac_f32 v13, v22, v51 :: v_dual_add_nc_u32 v10, 4, v30
	s_wait_alu 0xfffd
	v_add_co_ci_u32_e64 v63, null, s9, v63, vcc_lo
	v_add_co_u32 v30, vcc_lo, s8, v64
	s_wait_alu 0xfffd
	v_add_co_ci_u32_e64 v31, null, s9, v65, vcc_lo
	v_lshlrev_b64_e32 v[64:65], 3, v[10:11]
	v_add_nc_u32_e32 v10, -10, v8
	v_add_co_u32 v66, vcc_lo, s8, v66
	s_wait_alu 0xfffd
	v_add_co_ci_u32_e64 v67, null, s9, v67, vcc_lo
	s_delay_alu instid0(VALU_DEP_4)
	v_add_co_u32 v64, vcc_lo, s10, v64
	v_fma_f32 v19, -v49, v43, v19
	s_wait_alu 0xfffd
	v_add_co_ci_u32_e64 v65, null, s11, v65, vcc_lo
	s_clause 0x2
	global_load_b64 v[60:61], v[60:61], off
	global_load_b64 v[62:63], v[62:63], off
	;; [unrolled: 1-line block ×3, first 2 shown]
	s_wait_loadcnt 0x5
	v_fmac_f32_e32 v15, v55, v50
	v_lshlrev_b64_e32 v[68:69], 3, v[10:11]
	s_wait_loadcnt 0x4
	v_dual_fmac_f32 v19, v56, v50 :: v_dual_add_nc_u32 v10, -5, v8
	global_load_b64 v[64:65], v[64:65], off
	global_load_b64 v[30:31], v[30:31], off
	v_fmac_f32_e32 v20, v34, v40
	v_lshlrev_b64_e32 v[9:10], 3, v[10:11]
	v_add_co_u32 v68, vcc_lo, s8, v68
	s_wait_alu 0xfffd
	v_add_co_ci_u32_e64 v69, null, s9, v69, vcc_lo
	v_fma_f32 v7, -v23, v51, v7
	s_delay_alu instid0(VALU_DEP_4)
	v_add_co_u32 v9, vcc_lo, s8, v9
	s_wait_alu 0xfffd
	v_add_co_ci_u32_e64 v10, null, s9, v10, vcc_lo
	s_clause 0x2
	global_load_b64 v[68:69], v[68:69], off
	global_load_b64 v[9:10], v[9:10], off
	;; [unrolled: 1-line block ×3, first 2 shown]
	s_wait_loadcnt 0x8
	v_dual_fmac_f32 v16, v33, v40 :: v_dual_fmac_f32 v7, v24, v58
	v_fmac_f32_e32 v13, v25, v58
	v_fmac_f32_e32 v14, v37, v40
	v_dual_fmac_f32 v15, v54, v51 :: v_dual_add_nc_u32 v8, 0xa0, v8
	s_delay_alu instid0(VALU_DEP_4)
	v_fmac_f32_e32 v16, v32, v41
	v_fma_f32 v18, -v35, v41, v20
	v_fmac_f32_e32 v13, v24, v59
	v_fmac_f32_e32 v14, v36, v41
	v_fma_f32 v19, -v57, v51, v19
	v_fma_f32 v7, -v25, v59, v7
	v_fmac_f32_e32 v16, v45, v42
	v_fmac_f32_e32 v18, v46, v42
	v_cmp_ge_i32_e32 vcc_lo, v6, v17
	s_wait_alu 0xfffe
	s_or_b32 s2, vcc_lo, s2
	s_wait_loadcnt 0x6
	v_fmac_f32_e32 v15, v63, v58
	s_delay_alu instid0(VALU_DEP_1) | instskip(SKIP_2) | instid1(VALU_DEP_2)
	v_dual_fmac_f32 v12, v44, v42 :: v_dual_fmac_f32 v15, v62, v59
	s_wait_loadcnt 0x4
	v_dual_fmac_f32 v13, v67, v64 :: v_dual_fmac_f32 v14, v49, v42
	v_fma_f32 v12, -v45, v43, v12
	v_fma_f32 v18, -v47, v43, v18
	s_wait_loadcnt 0x3
	v_fmac_f32_e32 v19, v30, v58
	v_dual_fmac_f32 v7, v66, v64 :: v_dual_fmac_f32 v16, v44, v43
	v_dual_fmac_f32 v13, v66, v65 :: v_dual_fmac_f32 v14, v48, v43
	v_fmac_f32_e32 v18, v54, v50
	s_delay_alu instid0(VALU_DEP_4)
	v_fma_f32 v19, -v31, v59, v19
	v_fmac_f32_e32 v12, v52, v50
	s_wait_loadcnt 0x1
	v_dual_fmac_f32 v16, v53, v50 :: v_dual_fmac_f32 v15, v10, v64
	v_fmac_f32_e32 v14, v57, v50
	v_fma_f32 v18, -v55, v51, v18
	s_wait_loadcnt 0x0
	s_delay_alu instid0(VALU_DEP_3) | instskip(SKIP_3) | instid1(VALU_DEP_4)
	v_dual_fmac_f32 v16, v52, v51 :: v_dual_fmac_f32 v19, v38, v64
	v_fma_f32 v12, -v53, v51, v12
	v_fmac_f32_e32 v14, v56, v51
	v_dual_fmac_f32 v18, v62, v58 :: v_dual_fmac_f32 v15, v9, v65
	v_fmac_f32_e32 v16, v61, v58
	s_delay_alu instid0(VALU_DEP_4) | instskip(NEXT) | instid1(VALU_DEP_4)
	v_fmac_f32_e32 v12, v60, v58
	v_fmac_f32_e32 v14, v31, v58
	s_delay_alu instid0(VALU_DEP_4)
	v_fma_f32 v20, -v63, v59, v18
	v_fma_f32 v18, -v67, v65, v7
	v_fmac_f32_e32 v16, v60, v59
	v_fma_f32 v12, -v61, v59, v12
	v_fmac_f32_e32 v14, v30, v59
	v_fmac_f32_e32 v20, v9, v64
	v_fma_f32 v19, -v39, v65, v19
	v_fmac_f32_e32 v16, v69, v64
	v_fmac_f32_e32 v12, v68, v64
	;; [unrolled: 1-line block ×3, first 2 shown]
	v_fma_f32 v20, -v10, v65, v20
	s_delay_alu instid0(VALU_DEP_4) | instskip(NEXT) | instid1(VALU_DEP_4)
	v_fmac_f32_e32 v16, v68, v65
	v_fma_f32 v21, -v69, v65, v12
	s_delay_alu instid0(VALU_DEP_4)
	v_fmac_f32_e32 v14, v38, v65
	s_wait_alu 0xfffe
	s_and_not1_b32 exec_lo, exec_lo, s2
	s_cbranch_execnz .LBB90_13
; %bb.14:
	s_or_b32 exec_lo, exec_lo, s2
.LBB90_15:
	s_wait_alu 0xfffe
	s_or_b32 exec_lo, exec_lo, s3
.LBB90_16:
	v_mbcnt_lo_u32_b32 v6, -1, 0
	s_delay_alu instid0(VALU_DEP_1) | instskip(SKIP_1) | instid1(VALU_DEP_2)
	v_xor_b32_e32 v7, 4, v6
	v_xor_b32_e32 v23, 2, v6
	v_cmp_gt_i32_e32 vcc_lo, 32, v7
	s_wait_alu 0xfffd
	v_cndmask_b32_e32 v7, v6, v7, vcc_lo
	s_delay_alu instid0(VALU_DEP_3) | instskip(NEXT) | instid1(VALU_DEP_2)
	v_cmp_gt_i32_e32 vcc_lo, 32, v23
	v_lshlrev_b32_e32 v7, 2, v7
	ds_bpermute_b32 v8, v7, v18
	s_wait_dscnt 0x0
	v_add_f32_e32 v8, v18, v8
	ds_bpermute_b32 v9, v7, v13
	ds_bpermute_b32 v11, v7, v16
	;; [unrolled: 1-line block ×7, first 2 shown]
	s_wait_dscnt 0x5
	v_dual_add_f32 v9, v13, v9 :: v_dual_add_f32 v16, v16, v11
	s_wait_alu 0xfffd
	v_cndmask_b32_e32 v23, v6, v23, vcc_lo
	s_wait_dscnt 0x3
	v_dual_add_f32 v13, v21, v10 :: v_dual_add_f32 v12, v20, v12
	s_wait_dscnt 0x0
	v_dual_add_f32 v15, v15, v17 :: v_dual_add_f32 v18, v14, v7
	v_lshlrev_b32_e32 v23, 2, v23
	ds_bpermute_b32 v7, v23, v8
	v_add_f32_e32 v17, v19, v22
	ds_bpermute_b32 v10, v23, v9
	ds_bpermute_b32 v11, v23, v13
	;; [unrolled: 1-line block ×7, first 2 shown]
	v_xor_b32_e32 v23, 1, v6
	s_delay_alu instid0(VALU_DEP_1)
	v_cmp_gt_i32_e32 vcc_lo, 32, v23
	s_wait_alu 0xfffd
	v_cndmask_b32_e32 v6, v6, v23, vcc_lo
	v_cmp_eq_u32_e32 vcc_lo, 7, v0
	s_wait_dscnt 0x6
	v_add_f32_e32 v10, v9, v10
	s_wait_dscnt 0x5
	v_add_f32_e32 v11, v13, v11
	v_dual_add_f32 v6, v8, v7 :: v_dual_lshlrev_b32 v23, 2, v6
	s_wait_dscnt 0x4
	v_add_f32_e32 v13, v16, v14
	s_wait_dscnt 0x2
	v_dual_add_f32 v14, v12, v19 :: v_dual_add_f32 v15, v15, v20
	s_wait_dscnt 0x1
	v_add_f32_e32 v7, v17, v21
	s_wait_dscnt 0x0
	v_add_f32_e32 v9, v18, v22
	ds_bpermute_b32 v8, v23, v6
	ds_bpermute_b32 v12, v23, v10
	;; [unrolled: 1-line block ×8, first 2 shown]
	s_and_b32 exec_lo, exec_lo, vcc_lo
	s_cbranch_execz .LBB90_21
; %bb.17:
	s_load_b64 s[2:3], s[0:1], 0x38
	v_cmp_eq_f32_e32 vcc_lo, 0, v3
	v_cmp_eq_f32_e64 s0, 0, v4
	s_wait_dscnt 0x7
	v_add_f32_e32 v8, v6, v8
	s_wait_dscnt 0x0
	v_dual_add_f32 v12, v10, v12 :: v_dual_add_f32 v9, v9, v17
	v_dual_add_f32 v0, v11, v18 :: v_dual_add_f32 v11, v13, v19
	v_add_f32_e32 v6, v14, v20
	v_add_f32_e32 v10, v15, v21
	;; [unrolled: 1-line block ×3, first 2 shown]
	s_and_b32 s0, vcc_lo, s0
	s_wait_alu 0xfffe
	s_and_saveexec_b32 s1, s0
	s_wait_alu 0xfffe
	s_xor_b32 s0, exec_lo, s1
	s_cbranch_execz .LBB90_19
; %bb.18:
	v_dual_mul_f32 v14, v1, v12 :: v_dual_lshlrev_b32 v3, 2, v5
	v_mul_f32_e64 v13, v12, -v2
	v_mul_f32_e64 v15, v11, -v2
	v_mul_f32_e32 v16, v1, v11
	s_delay_alu instid0(VALU_DEP_4)
	v_ashrrev_i32_e32 v4, 31, v3
	v_mul_f32_e64 v17, v10, -v2
	v_mul_f32_e32 v18, v1, v10
	v_mul_f32_e64 v19, v9, -v2
	v_mul_f32_e32 v20, v1, v9
	v_lshlrev_b64_e32 v[3:4], 3, v[3:4]
	s_delay_alu instid0(VALU_DEP_4) | instskip(SKIP_1) | instid1(VALU_DEP_4)
	v_dual_fmac_f32 v13, v1, v8 :: v_dual_fmac_f32 v18, v2, v6
	v_dual_fmac_f32 v14, v2, v8 :: v_dual_fmac_f32 v17, v1, v6
	;; [unrolled: 1-line block ×3, first 2 shown]
	s_wait_kmcnt 0x0
	s_delay_alu instid0(VALU_DEP_4)
	v_add_co_u32 v3, vcc_lo, s2, v3
	s_wait_alu 0xfffd
	v_add_co_ci_u32_e64 v4, null, s3, v4, vcc_lo
	v_dual_fmac_f32 v16, v2, v0 :: v_dual_fmac_f32 v19, v1, v7
	s_clause 0x1
	global_store_b128 v[3:4], v[13:16], off
	global_store_b128 v[3:4], v[17:20], off offset:16
                                        ; implicit-def: $vgpr5
                                        ; implicit-def: $vgpr8
                                        ; implicit-def: $vgpr12
                                        ; implicit-def: $vgpr0
                                        ; implicit-def: $vgpr11
                                        ; implicit-def: $vgpr6
                                        ; implicit-def: $vgpr10
                                        ; implicit-def: $vgpr7
                                        ; implicit-def: $vgpr9
                                        ; implicit-def: $vgpr1_vgpr2
                                        ; implicit-def: $vgpr3_vgpr4
.LBB90_19:
	s_wait_alu 0xfffe
	s_and_not1_saveexec_b32 s0, s0
	s_cbranch_execz .LBB90_21
; %bb.20:
	v_dual_mul_f32 v22, v1, v12 :: v_dual_lshlrev_b32 v13, 2, v5
	v_mul_f32_e64 v5, v12, -v2
	v_mul_f32_e64 v23, v11, -v2
	;; [unrolled: 1-line block ×3, first 2 shown]
	s_delay_alu instid0(VALU_DEP_4) | instskip(NEXT) | instid1(VALU_DEP_4)
	v_ashrrev_i32_e32 v14, 31, v13
	v_fmac_f32_e32 v5, v1, v8
	s_delay_alu instid0(VALU_DEP_2) | instskip(SKIP_1) | instid1(VALU_DEP_1)
	v_lshlrev_b64_e32 v[13:14], 3, v[13:14]
	s_wait_kmcnt 0x0
	v_add_co_u32 v25, vcc_lo, s2, v13
	s_wait_alu 0xfffd
	s_delay_alu instid0(VALU_DEP_2)
	v_add_co_ci_u32_e64 v26, null, s3, v14, vcc_lo
	s_clause 0x1
	global_load_b128 v[13:16], v[25:26], off
	global_load_b128 v[17:20], v[25:26], off offset:16
	v_mul_f32_e32 v24, v1, v11
	v_mul_f32_e64 v11, v10, -v2
	s_delay_alu instid0(VALU_DEP_1) | instskip(SKIP_1) | instid1(VALU_DEP_1)
	v_dual_fmac_f32 v22, v2, v8 :: v_dual_fmac_f32 v11, v1, v6
	s_wait_loadcnt 0x1
	v_dual_fmac_f32 v27, v1, v7 :: v_dual_fmac_f32 v22, v4, v13
	s_wait_loadcnt 0x0
	s_delay_alu instid0(VALU_DEP_1) | instskip(SKIP_3) | instid1(VALU_DEP_4)
	v_dual_mul_f32 v12, v1, v9 :: v_dual_fmac_f32 v27, v3, v19
	v_fmac_f32_e32 v23, v1, v0
	v_fmac_f32_e32 v11, v3, v17
	;; [unrolled: 1-line block ×4, first 2 shown]
	s_delay_alu instid0(VALU_DEP_4) | instskip(NEXT) | instid1(VALU_DEP_4)
	v_dual_mul_f32 v10, v1, v10 :: v_dual_fmac_f32 v23, v3, v15
	v_fma_f32 v9, -v4, v18, v11
	v_fma_f32 v11, -v4, v20, v27
	s_delay_alu instid0(VALU_DEP_4) | instskip(NEXT) | instid1(VALU_DEP_4)
	v_fmac_f32_e32 v12, v4, v19
	v_dual_fmac_f32 v10, v2, v6 :: v_dual_fmac_f32 v5, v3, v13
	v_fmac_f32_e32 v24, v2, v0
	v_fma_f32 v23, -v4, v16, v23
	s_delay_alu instid0(VALU_DEP_4) | instskip(NEXT) | instid1(VALU_DEP_4)
	v_fmac_f32_e32 v12, v3, v20
	v_fmac_f32_e32 v10, v4, v17
	v_fma_f32 v21, -v4, v14, v5
	v_fmac_f32_e32 v24, v4, v15
	s_delay_alu instid0(VALU_DEP_3) | instskip(NEXT) | instid1(VALU_DEP_2)
	v_fmac_f32_e32 v10, v3, v18
	v_fmac_f32_e32 v24, v3, v16
	s_clause 0x1
	global_store_b128 v[25:26], v[21:24], off
	global_store_b128 v[25:26], v[9:12], off offset:16
.LBB90_21:
	s_endpgm
	.section	.rodata,"a",@progbits
	.p2align	6, 0x0
	.amdhsa_kernel _ZN9rocsparseL19gebsrmvn_4xn_kernelILj128ELj5ELj8E21rocsparse_complex_numIfEEEvi20rocsparse_direction_NS_24const_host_device_scalarIT2_EEPKiS8_PKS5_SA_S6_PS5_21rocsparse_index_base_b
		.amdhsa_group_segment_fixed_size 0
		.amdhsa_private_segment_fixed_size 0
		.amdhsa_kernarg_size 72
		.amdhsa_user_sgpr_count 2
		.amdhsa_user_sgpr_dispatch_ptr 0
		.amdhsa_user_sgpr_queue_ptr 0
		.amdhsa_user_sgpr_kernarg_segment_ptr 1
		.amdhsa_user_sgpr_dispatch_id 0
		.amdhsa_user_sgpr_private_segment_size 0
		.amdhsa_wavefront_size32 1
		.amdhsa_uses_dynamic_stack 0
		.amdhsa_enable_private_segment 0
		.amdhsa_system_sgpr_workgroup_id_x 1
		.amdhsa_system_sgpr_workgroup_id_y 0
		.amdhsa_system_sgpr_workgroup_id_z 0
		.amdhsa_system_sgpr_workgroup_info 0
		.amdhsa_system_vgpr_workitem_id 0
		.amdhsa_next_free_vgpr 72
		.amdhsa_next_free_sgpr 14
		.amdhsa_reserve_vcc 1
		.amdhsa_float_round_mode_32 0
		.amdhsa_float_round_mode_16_64 0
		.amdhsa_float_denorm_mode_32 3
		.amdhsa_float_denorm_mode_16_64 3
		.amdhsa_fp16_overflow 0
		.amdhsa_workgroup_processor_mode 1
		.amdhsa_memory_ordered 1
		.amdhsa_forward_progress 1
		.amdhsa_inst_pref_size 32
		.amdhsa_round_robin_scheduling 0
		.amdhsa_exception_fp_ieee_invalid_op 0
		.amdhsa_exception_fp_denorm_src 0
		.amdhsa_exception_fp_ieee_div_zero 0
		.amdhsa_exception_fp_ieee_overflow 0
		.amdhsa_exception_fp_ieee_underflow 0
		.amdhsa_exception_fp_ieee_inexact 0
		.amdhsa_exception_int_div_zero 0
	.end_amdhsa_kernel
	.section	.text._ZN9rocsparseL19gebsrmvn_4xn_kernelILj128ELj5ELj8E21rocsparse_complex_numIfEEEvi20rocsparse_direction_NS_24const_host_device_scalarIT2_EEPKiS8_PKS5_SA_S6_PS5_21rocsparse_index_base_b,"axG",@progbits,_ZN9rocsparseL19gebsrmvn_4xn_kernelILj128ELj5ELj8E21rocsparse_complex_numIfEEEvi20rocsparse_direction_NS_24const_host_device_scalarIT2_EEPKiS8_PKS5_SA_S6_PS5_21rocsparse_index_base_b,comdat
.Lfunc_end90:
	.size	_ZN9rocsparseL19gebsrmvn_4xn_kernelILj128ELj5ELj8E21rocsparse_complex_numIfEEEvi20rocsparse_direction_NS_24const_host_device_scalarIT2_EEPKiS8_PKS5_SA_S6_PS5_21rocsparse_index_base_b, .Lfunc_end90-_ZN9rocsparseL19gebsrmvn_4xn_kernelILj128ELj5ELj8E21rocsparse_complex_numIfEEEvi20rocsparse_direction_NS_24const_host_device_scalarIT2_EEPKiS8_PKS5_SA_S6_PS5_21rocsparse_index_base_b
                                        ; -- End function
	.set _ZN9rocsparseL19gebsrmvn_4xn_kernelILj128ELj5ELj8E21rocsparse_complex_numIfEEEvi20rocsparse_direction_NS_24const_host_device_scalarIT2_EEPKiS8_PKS5_SA_S6_PS5_21rocsparse_index_base_b.num_vgpr, 72
	.set _ZN9rocsparseL19gebsrmvn_4xn_kernelILj128ELj5ELj8E21rocsparse_complex_numIfEEEvi20rocsparse_direction_NS_24const_host_device_scalarIT2_EEPKiS8_PKS5_SA_S6_PS5_21rocsparse_index_base_b.num_agpr, 0
	.set _ZN9rocsparseL19gebsrmvn_4xn_kernelILj128ELj5ELj8E21rocsparse_complex_numIfEEEvi20rocsparse_direction_NS_24const_host_device_scalarIT2_EEPKiS8_PKS5_SA_S6_PS5_21rocsparse_index_base_b.numbered_sgpr, 14
	.set _ZN9rocsparseL19gebsrmvn_4xn_kernelILj128ELj5ELj8E21rocsparse_complex_numIfEEEvi20rocsparse_direction_NS_24const_host_device_scalarIT2_EEPKiS8_PKS5_SA_S6_PS5_21rocsparse_index_base_b.num_named_barrier, 0
	.set _ZN9rocsparseL19gebsrmvn_4xn_kernelILj128ELj5ELj8E21rocsparse_complex_numIfEEEvi20rocsparse_direction_NS_24const_host_device_scalarIT2_EEPKiS8_PKS5_SA_S6_PS5_21rocsparse_index_base_b.private_seg_size, 0
	.set _ZN9rocsparseL19gebsrmvn_4xn_kernelILj128ELj5ELj8E21rocsparse_complex_numIfEEEvi20rocsparse_direction_NS_24const_host_device_scalarIT2_EEPKiS8_PKS5_SA_S6_PS5_21rocsparse_index_base_b.uses_vcc, 1
	.set _ZN9rocsparseL19gebsrmvn_4xn_kernelILj128ELj5ELj8E21rocsparse_complex_numIfEEEvi20rocsparse_direction_NS_24const_host_device_scalarIT2_EEPKiS8_PKS5_SA_S6_PS5_21rocsparse_index_base_b.uses_flat_scratch, 0
	.set _ZN9rocsparseL19gebsrmvn_4xn_kernelILj128ELj5ELj8E21rocsparse_complex_numIfEEEvi20rocsparse_direction_NS_24const_host_device_scalarIT2_EEPKiS8_PKS5_SA_S6_PS5_21rocsparse_index_base_b.has_dyn_sized_stack, 0
	.set _ZN9rocsparseL19gebsrmvn_4xn_kernelILj128ELj5ELj8E21rocsparse_complex_numIfEEEvi20rocsparse_direction_NS_24const_host_device_scalarIT2_EEPKiS8_PKS5_SA_S6_PS5_21rocsparse_index_base_b.has_recursion, 0
	.set _ZN9rocsparseL19gebsrmvn_4xn_kernelILj128ELj5ELj8E21rocsparse_complex_numIfEEEvi20rocsparse_direction_NS_24const_host_device_scalarIT2_EEPKiS8_PKS5_SA_S6_PS5_21rocsparse_index_base_b.has_indirect_call, 0
	.section	.AMDGPU.csdata,"",@progbits
; Kernel info:
; codeLenInByte = 4088
; TotalNumSgprs: 16
; NumVgprs: 72
; ScratchSize: 0
; MemoryBound: 0
; FloatMode: 240
; IeeeMode: 1
; LDSByteSize: 0 bytes/workgroup (compile time only)
; SGPRBlocks: 0
; VGPRBlocks: 8
; NumSGPRsForWavesPerEU: 16
; NumVGPRsForWavesPerEU: 72
; Occupancy: 16
; WaveLimiterHint : 1
; COMPUTE_PGM_RSRC2:SCRATCH_EN: 0
; COMPUTE_PGM_RSRC2:USER_SGPR: 2
; COMPUTE_PGM_RSRC2:TRAP_HANDLER: 0
; COMPUTE_PGM_RSRC2:TGID_X_EN: 1
; COMPUTE_PGM_RSRC2:TGID_Y_EN: 0
; COMPUTE_PGM_RSRC2:TGID_Z_EN: 0
; COMPUTE_PGM_RSRC2:TIDIG_COMP_CNT: 0
	.section	.text._ZN9rocsparseL19gebsrmvn_4xn_kernelILj128ELj5ELj16E21rocsparse_complex_numIfEEEvi20rocsparse_direction_NS_24const_host_device_scalarIT2_EEPKiS8_PKS5_SA_S6_PS5_21rocsparse_index_base_b,"axG",@progbits,_ZN9rocsparseL19gebsrmvn_4xn_kernelILj128ELj5ELj16E21rocsparse_complex_numIfEEEvi20rocsparse_direction_NS_24const_host_device_scalarIT2_EEPKiS8_PKS5_SA_S6_PS5_21rocsparse_index_base_b,comdat
	.globl	_ZN9rocsparseL19gebsrmvn_4xn_kernelILj128ELj5ELj16E21rocsparse_complex_numIfEEEvi20rocsparse_direction_NS_24const_host_device_scalarIT2_EEPKiS8_PKS5_SA_S6_PS5_21rocsparse_index_base_b ; -- Begin function _ZN9rocsparseL19gebsrmvn_4xn_kernelILj128ELj5ELj16E21rocsparse_complex_numIfEEEvi20rocsparse_direction_NS_24const_host_device_scalarIT2_EEPKiS8_PKS5_SA_S6_PS5_21rocsparse_index_base_b
	.p2align	8
	.type	_ZN9rocsparseL19gebsrmvn_4xn_kernelILj128ELj5ELj16E21rocsparse_complex_numIfEEEvi20rocsparse_direction_NS_24const_host_device_scalarIT2_EEPKiS8_PKS5_SA_S6_PS5_21rocsparse_index_base_b,@function
_ZN9rocsparseL19gebsrmvn_4xn_kernelILj128ELj5ELj16E21rocsparse_complex_numIfEEEvi20rocsparse_direction_NS_24const_host_device_scalarIT2_EEPKiS8_PKS5_SA_S6_PS5_21rocsparse_index_base_b: ; @_ZN9rocsparseL19gebsrmvn_4xn_kernelILj128ELj5ELj16E21rocsparse_complex_numIfEEEvi20rocsparse_direction_NS_24const_host_device_scalarIT2_EEPKiS8_PKS5_SA_S6_PS5_21rocsparse_index_base_b
; %bb.0:
	s_clause 0x2
	s_load_b64 s[12:13], s[0:1], 0x40
	s_load_b64 s[2:3], s[0:1], 0x8
	;; [unrolled: 1-line block ×3, first 2 shown]
	s_add_nc_u64 s[6:7], s[0:1], 8
	s_wait_kmcnt 0x0
	s_bitcmp1_b32 s13, 0
	s_cselect_b32 s2, s6, s2
	s_cselect_b32 s3, s7, s3
	s_delay_alu instid0(SALU_CYCLE_1)
	v_dual_mov_b32 v1, s2 :: v_dual_mov_b32 v2, s3
	s_add_nc_u64 s[2:3], s[0:1], 48
	s_wait_alu 0xfffe
	s_cselect_b32 s2, s2, s4
	s_cselect_b32 s3, s3, s5
	flat_load_b64 v[1:2], v[1:2]
	s_wait_alu 0xfffe
	v_dual_mov_b32 v3, s2 :: v_dual_mov_b32 v4, s3
	flat_load_b64 v[3:4], v[3:4]
	s_wait_loadcnt_dscnt 0x101
	v_cmp_eq_f32_e32 vcc_lo, 0, v1
	v_cmp_eq_f32_e64 s2, 0, v2
	s_and_b32 s4, vcc_lo, s2
	s_mov_b32 s2, -1
	s_and_saveexec_b32 s3, s4
	s_cbranch_execz .LBB91_2
; %bb.1:
	s_wait_loadcnt_dscnt 0x0
	v_cmp_neq_f32_e32 vcc_lo, 1.0, v3
	v_cmp_neq_f32_e64 s2, 0, v4
	s_wait_alu 0xfffe
	s_or_b32 s2, vcc_lo, s2
	s_wait_alu 0xfffe
	s_or_not1_b32 s2, s2, exec_lo
.LBB91_2:
	s_wait_alu 0xfffe
	s_or_b32 exec_lo, exec_lo, s3
	s_and_saveexec_b32 s3, s2
	s_cbranch_execz .LBB91_21
; %bb.3:
	s_load_b64 s[2:3], s[0:1], 0x0
	v_lshrrev_b32_e32 v5, 4, v0
	s_delay_alu instid0(VALU_DEP_1) | instskip(SKIP_1) | instid1(VALU_DEP_1)
	v_lshl_or_b32 v5, ttmp9, 3, v5
	s_wait_kmcnt 0x0
	v_cmp_gt_i32_e32 vcc_lo, s2, v5
	s_and_b32 exec_lo, exec_lo, vcc_lo
	s_cbranch_execz .LBB91_21
; %bb.4:
	s_load_b256 s[4:11], s[0:1], 0x10
	v_ashrrev_i32_e32 v6, 31, v5
	v_and_b32_e32 v0, 15, v0
	s_cmp_lg_u32 s3, 0
	s_delay_alu instid0(VALU_DEP_2) | instskip(SKIP_1) | instid1(VALU_DEP_1)
	v_lshlrev_b64_e32 v[6:7], 2, v[5:6]
	s_wait_kmcnt 0x0
	v_add_co_u32 v6, vcc_lo, s4, v6
	s_delay_alu instid0(VALU_DEP_1) | instskip(SKIP_4) | instid1(VALU_DEP_2)
	v_add_co_ci_u32_e64 v7, null, s5, v7, vcc_lo
	global_load_b64 v[6:7], v[6:7], off
	s_wait_loadcnt 0x0
	v_subrev_nc_u32_e32 v6, s12, v6
	v_subrev_nc_u32_e32 v17, s12, v7
	v_add_nc_u32_e32 v6, v6, v0
	s_delay_alu instid0(VALU_DEP_1)
	v_cmp_lt_i32_e64 s2, v6, v17
	s_cbranch_scc0 .LBB91_10
; %bb.5:
	v_dual_mov_b32 v13, 0 :: v_dual_mov_b32 v18, 0
	v_dual_mov_b32 v19, 0 :: v_dual_mov_b32 v14, 0
	;; [unrolled: 1-line block ×4, first 2 shown]
	s_and_saveexec_b32 s3, s2
	s_cbranch_execz .LBB91_9
; %bb.6:
	v_mad_co_u64_u32 v[7:8], null, v6, 20, 16
	v_dual_mov_b32 v10, 0 :: v_dual_mov_b32 v11, v6
	v_dual_mov_b32 v13, 0 :: v_dual_mov_b32 v18, 0
	;; [unrolled: 1-line block ×5, first 2 shown]
	s_mov_b32 s4, 0
.LBB91_7:                               ; =>This Inner Loop Header: Depth=1
	v_ashrrev_i32_e32 v12, 31, v11
	s_delay_alu instid0(VALU_DEP_1) | instskip(NEXT) | instid1(VALU_DEP_1)
	v_lshlrev_b64_e32 v[8:9], 2, v[11:12]
	v_add_co_u32 v8, vcc_lo, s6, v8
	s_wait_alu 0xfffd
	s_delay_alu instid0(VALU_DEP_2) | instskip(SKIP_2) | instid1(VALU_DEP_1)
	v_add_co_ci_u32_e64 v9, null, s7, v9, vcc_lo
	global_load_b32 v12, v[8:9], off
	v_dual_mov_b32 v8, v10 :: v_dual_add_nc_u32 v9, -16, v7
	v_lshlrev_b64_e32 v[22:23], 3, v[9:10]
	v_add_nc_u32_e32 v9, -12, v7
	s_delay_alu instid0(VALU_DEP_3) | instskip(NEXT) | instid1(VALU_DEP_2)
	v_lshlrev_b64_e32 v[24:25], 3, v[7:8]
	v_lshlrev_b64_e32 v[8:9], 3, v[9:10]
	s_delay_alu instid0(VALU_DEP_4) | instskip(SKIP_2) | instid1(VALU_DEP_4)
	v_add_co_u32 v26, vcc_lo, s8, v22
	s_wait_alu 0xfffd
	v_add_co_ci_u32_e64 v27, null, s9, v23, vcc_lo
	v_add_co_u32 v34, vcc_lo, s8, v24
	s_wait_alu 0xfffd
	v_add_co_ci_u32_e64 v35, null, s9, v25, vcc_lo
	;; [unrolled: 3-line block ×3, first 2 shown]
	s_clause 0x5
	global_load_b128 v[22:25], v[26:27], off offset:16
	global_load_b128 v[26:29], v[26:27], off
	global_load_b128 v[30:33], v[34:35], off offset:16
	global_load_b128 v[34:37], v[34:35], off
	;; [unrolled: 2-line block ×3, first 2 shown]
	v_mov_b32_e32 v55, v10
	s_wait_loadcnt 0x6
	v_subrev_nc_u32_e32 v8, s12, v12
	s_delay_alu instid0(VALU_DEP_1) | instskip(NEXT) | instid1(VALU_DEP_1)
	v_lshl_add_u32 v54, v8, 2, v8
	v_lshlrev_b64_e32 v[46:47], 3, v[54:55]
	s_delay_alu instid0(VALU_DEP_1) | instskip(SKIP_1) | instid1(VALU_DEP_2)
	v_add_co_u32 v46, vcc_lo, s10, v46
	s_wait_alu 0xfffd
	v_add_co_ci_u32_e64 v47, null, s11, v47, vcc_lo
	global_load_b64 v[62:63], v[46:47], off
	s_wait_loadcnt 0x0
	v_dual_fmac_f32 v14, v25, v62 :: v_dual_add_nc_u32 v11, 16, v11
	v_fmac_f32_e32 v16, v29, v62
	v_add_nc_u32_e32 v9, 1, v54
	v_fmac_f32_e32 v18, v26, v62
	v_fmac_f32_e32 v20, v22, v62
	;; [unrolled: 1-line block ×4, first 2 shown]
	v_lshlrev_b64_e32 v[48:49], 3, v[9:10]
	v_add_nc_u32_e32 v9, -8, v7
	v_fma_f32 v12, -v27, v63, v18
	v_fma_f32 v20, -v23, v63, v20
	s_delay_alu instid0(VALU_DEP_3) | instskip(SKIP_4) | instid1(VALU_DEP_3)
	v_lshlrev_b64_e32 v[50:51], 3, v[9:10]
	v_add_nc_u32_e32 v9, 2, v54
	v_add_co_u32 v46, vcc_lo, s10, v48
	s_wait_alu 0xfffd
	v_add_co_ci_u32_e64 v47, null, s11, v49, vcc_lo
	v_lshlrev_b64_e32 v[48:49], 3, v[9:10]
	v_add_co_u32 v50, vcc_lo, s8, v50
	global_load_b64 v[64:65], v[46:47], off
	s_wait_alu 0xfffd
	v_add_co_ci_u32_e64 v51, null, s9, v51, vcc_lo
	v_add_co_u32 v57, vcc_lo, s10, v48
	s_wait_alu 0xfffd
	v_add_co_ci_u32_e64 v58, null, s11, v49, vcc_lo
	s_clause 0x1
	global_load_b128 v[46:49], v[50:51], off offset:16
	global_load_b128 v[50:53], v[50:51], off
	v_add_nc_u32_e32 v9, -4, v7
	v_fmac_f32_e32 v13, v27, v62
	global_load_b64 v[66:67], v[57:58], off
	s_wait_loadcnt 0x3
	v_dual_fmac_f32 v20, v38, v64 :: v_dual_add_nc_u32 v7, 0x140, v7
	v_fmac_f32_e32 v12, v42, v64
	v_dual_fmac_f32 v14, v41, v64 :: v_dual_fmac_f32 v13, v26, v63
	v_lshlrev_b64_e32 v[55:56], 3, v[9:10]
	s_delay_alu instid0(VALU_DEP_4) | instskip(NEXT) | instid1(VALU_DEP_4)
	v_fma_f32 v20, -v39, v65, v20
	v_fma_f32 v12, -v43, v65, v12
	s_delay_alu instid0(VALU_DEP_4)
	v_dual_fmac_f32 v14, v40, v65 :: v_dual_fmac_f32 v13, v43, v64
	v_fmac_f32_e32 v16, v45, v64
	v_add_co_u32 v68, vcc_lo, s8, v55
	s_wait_loadcnt 0x0
	v_fmac_f32_e32 v12, v50, v66
	s_wait_alu 0xfffd
	v_add_co_ci_u32_e64 v69, null, s9, v56, vcc_lo
	v_dual_fmac_f32 v15, v23, v62 :: v_dual_fmac_f32 v16, v44, v65
	s_delay_alu instid0(VALU_DEP_3) | instskip(SKIP_2) | instid1(VALU_DEP_4)
	v_fma_f32 v12, -v51, v67, v12
	v_fmac_f32_e32 v21, v28, v62
	v_dual_fmac_f32 v13, v42, v65 :: v_dual_fmac_f32 v14, v49, v66
	v_fmac_f32_e32 v16, v53, v66
	v_fmac_f32_e32 v20, v46, v66
	s_delay_alu instid0(VALU_DEP_4) | instskip(SKIP_3) | instid1(VALU_DEP_4)
	v_fma_f32 v18, -v29, v63, v21
	v_add_nc_u32_e32 v9, 3, v54
	v_dual_fmac_f32 v13, v51, v66 :: v_dual_fmac_f32 v14, v48, v67
	v_fmac_f32_e32 v16, v52, v67
	v_fmac_f32_e32 v18, v44, v64
	s_delay_alu instid0(VALU_DEP_4) | instskip(SKIP_2) | instid1(VALU_DEP_4)
	v_lshlrev_b64_e32 v[59:60], 3, v[9:10]
	v_add_nc_u32_e32 v9, 4, v54
	v_fma_f32 v20, -v47, v67, v20
	v_fma_f32 v18, -v45, v65, v18
	v_fmac_f32_e32 v15, v22, v63
	v_add_co_u32 v70, vcc_lo, s10, v59
	s_wait_alu 0xfffd
	v_add_co_ci_u32_e64 v71, null, s11, v60, vcc_lo
	s_clause 0x1
	global_load_b128 v[54:57], v[68:69], off offset:16
	global_load_b128 v[58:61], v[68:69], off
	global_load_b64 v[68:69], v[70:71], off
	v_lshlrev_b64_e32 v[8:9], 3, v[9:10]
	v_dual_fmac_f32 v18, v52, v66 :: v_dual_fmac_f32 v15, v39, v64
	v_fmac_f32_e32 v19, v24, v62
	v_fmac_f32_e32 v13, v50, v67
	s_delay_alu instid0(VALU_DEP_4)
	v_add_co_u32 v8, vcc_lo, s10, v8
	s_wait_alu 0xfffd
	v_add_co_ci_u32_e64 v9, null, s11, v9, vcc_lo
	v_fmac_f32_e32 v15, v38, v65
	v_fma_f32 v18, -v53, v67, v18
	v_cmp_ge_i32_e32 vcc_lo, v11, v17
	global_load_b64 v[8:9], v[8:9], off
	v_fmac_f32_e32 v15, v47, v66
	s_wait_alu 0xfffe
	s_or_b32 s4, vcc_lo, s4
	s_wait_loadcnt 0x1
	v_fmac_f32_e32 v16, v61, v68
	v_fma_f32 v19, -v25, v63, v19
	v_dual_fmac_f32 v18, v60, v68 :: v_dual_fmac_f32 v15, v46, v67
	v_fmac_f32_e32 v14, v57, v68
	v_fmac_f32_e32 v13, v59, v68
	s_delay_alu instid0(VALU_DEP_4)
	v_fmac_f32_e32 v19, v40, v64
	v_fmac_f32_e32 v20, v54, v68
	;; [unrolled: 1-line block ×5, first 2 shown]
	v_fma_f32 v19, -v41, v65, v19
	v_fmac_f32_e32 v13, v58, v69
	v_fma_f32 v21, -v61, v69, v18
	s_wait_loadcnt 0x0
	v_fmac_f32_e32 v16, v37, v8
	v_fmac_f32_e32 v15, v55, v68
	;; [unrolled: 1-line block ×3, first 2 shown]
	v_fma_f32 v12, -v59, v69, v12
	v_fma_f32 v20, -v55, v69, v20
	v_fmac_f32_e32 v16, v36, v9
	v_dual_fmac_f32 v15, v54, v69 :: v_dual_fmac_f32 v14, v33, v8
	v_fma_f32 v19, -v49, v67, v19
	v_fmac_f32_e32 v12, v34, v8
	v_fmac_f32_e32 v13, v35, v8
	;; [unrolled: 1-line block ×6, first 2 shown]
	v_fma_f32 v18, -v35, v9, v12
	v_fma_f32 v21, -v37, v9, v21
	;; [unrolled: 1-line block ×4, first 2 shown]
	v_fmac_f32_e32 v15, v30, v9
	v_fmac_f32_e32 v14, v32, v9
	;; [unrolled: 1-line block ×3, first 2 shown]
	s_delay_alu instid0(VALU_DEP_4) | instskip(NEXT) | instid1(VALU_DEP_1)
	v_fmac_f32_e32 v19, v32, v8
	v_fma_f32 v19, -v33, v9, v19
	s_wait_alu 0xfffe
	s_and_not1_b32 exec_lo, exec_lo, s4
	s_cbranch_execnz .LBB91_7
; %bb.8:
	s_or_b32 exec_lo, exec_lo, s4
.LBB91_9:
	s_wait_alu 0xfffe
	s_or_b32 exec_lo, exec_lo, s3
	s_cbranch_execz .LBB91_11
	s_branch .LBB91_16
.LBB91_10:
                                        ; implicit-def: $vgpr13
                                        ; implicit-def: $vgpr18
                                        ; implicit-def: $vgpr19
                                        ; implicit-def: $vgpr14
                                        ; implicit-def: $vgpr20
                                        ; implicit-def: $vgpr15
                                        ; implicit-def: $vgpr21
                                        ; implicit-def: $vgpr16
.LBB91_11:
	v_dual_mov_b32 v13, 0 :: v_dual_mov_b32 v18, 0
	v_dual_mov_b32 v19, 0 :: v_dual_mov_b32 v14, 0
	;; [unrolled: 1-line block ×4, first 2 shown]
	s_and_saveexec_b32 s3, s2
	s_cbranch_execz .LBB91_15
; %bb.12:
	v_mad_co_u64_u32 v[8:9], null, v6, 20, 19
	v_dual_mov_b32 v11, 0 :: v_dual_mov_b32 v18, 0
	v_dual_mov_b32 v13, 0 :: v_dual_mov_b32 v14, 0
	;; [unrolled: 1-line block ×4, first 2 shown]
	v_mov_b32_e32 v21, 0
	s_mov_b32 s2, 0
.LBB91_13:                              ; =>This Inner Loop Header: Depth=1
	v_ashrrev_i32_e32 v7, 31, v6
	v_dual_mov_b32 v31, v11 :: v_dual_add_nc_u32 v22, -14, v8
	v_dual_mov_b32 v23, v11 :: v_dual_add_nc_u32 v24, -9, v8
	s_delay_alu instid0(VALU_DEP_3) | instskip(SKIP_1) | instid1(VALU_DEP_3)
	v_lshlrev_b64_e32 v[9:10], 2, v[6:7]
	v_dual_mov_b32 v25, v11 :: v_dual_add_nc_u32 v26, -4, v8
	v_lshlrev_b64_e32 v[22:23], 3, v[22:23]
	s_delay_alu instid0(VALU_DEP_3) | instskip(SKIP_1) | instid1(VALU_DEP_4)
	v_add_co_u32 v9, vcc_lo, s6, v9
	s_wait_alu 0xfffd
	v_add_co_ci_u32_e64 v10, null, s7, v10, vcc_lo
	v_lshlrev_b64_e32 v[24:25], 3, v[24:25]
	global_load_b32 v7, v[9:10], off
	v_subrev_nc_u32_e32 v10, 19, v8
	v_mov_b32_e32 v9, v11
	s_delay_alu instid0(VALU_DEP_2) | instskip(NEXT) | instid1(VALU_DEP_2)
	v_lshlrev_b64_e32 v[28:29], 3, v[10:11]
	v_lshlrev_b64_e32 v[9:10], 3, v[8:9]
	s_delay_alu instid0(VALU_DEP_2) | instskip(SKIP_1) | instid1(VALU_DEP_3)
	v_add_co_u32 v28, vcc_lo, s8, v28
	s_wait_alu 0xfffd
	v_add_co_ci_u32_e64 v29, null, s9, v29, vcc_lo
	v_add_co_u32 v32, vcc_lo, s8, v22
	s_wait_alu 0xfffd
	v_add_co_ci_u32_e64 v33, null, s9, v23, vcc_lo
	;; [unrolled: 3-line block ×3, first 2 shown]
	s_wait_loadcnt 0x0
	v_subrev_nc_u32_e32 v7, s12, v7
	s_delay_alu instid0(VALU_DEP_1) | instskip(SKIP_1) | instid1(VALU_DEP_2)
	v_lshl_add_u32 v30, v7, 2, v7
	v_mov_b32_e32 v27, v11
	v_lshlrev_b64_e32 v[40:41], 3, v[30:31]
	s_delay_alu instid0(VALU_DEP_2) | instskip(NEXT) | instid1(VALU_DEP_1)
	v_lshlrev_b64_e32 v[26:27], 3, v[26:27]
	v_add_co_u32 v36, vcc_lo, s8, v26
	s_wait_alu 0xfffd
	s_delay_alu instid0(VALU_DEP_2)
	v_add_co_ci_u32_e64 v37, null, s9, v27, vcc_lo
	v_add_co_u32 v38, vcc_lo, s8, v9
	s_wait_alu 0xfffd
	v_add_co_ci_u32_e64 v39, null, s9, v10, vcc_lo
	v_add_co_u32 v40, vcc_lo, s10, v40
	s_wait_alu 0xfffd
	v_add_co_ci_u32_e64 v41, null, s11, v41, vcc_lo
	s_clause 0x4
	global_load_b128 v[22:25], v[28:29], off offset:16
	global_load_b128 v[26:29], v[28:29], off
	global_load_b64 v[32:33], v[32:33], off
	global_load_b64 v[34:35], v[34:35], off
	;; [unrolled: 1-line block ×3, first 2 shown]
	v_add_nc_u32_e32 v10, 1, v30
	global_load_b64 v[40:41], v[40:41], off
	v_lshlrev_b64_e32 v[42:43], 3, v[10:11]
	v_add_nc_u32_e32 v10, -13, v8
	s_delay_alu instid0(VALU_DEP_2) | instskip(SKIP_1) | instid1(VALU_DEP_3)
	v_add_co_u32 v42, vcc_lo, s10, v42
	s_wait_alu 0xfffd
	v_add_co_ci_u32_e64 v43, null, s11, v43, vcc_lo
	s_delay_alu instid0(VALU_DEP_3)
	v_lshlrev_b64_e32 v[44:45], 3, v[10:11]
	global_load_b64 v[42:43], v[42:43], off
	v_add_nc_u32_e32 v6, 16, v6
	v_add_co_u32 v44, vcc_lo, s8, v44
	s_wait_alu 0xfffd
	v_add_co_ci_u32_e64 v45, null, s9, v45, vcc_lo
	global_load_b64 v[44:45], v[44:45], off
	s_wait_loadcnt 0x2
	v_fmac_f32_e32 v13, v27, v40
	v_add_nc_u32_e32 v10, -8, v8
	v_fmac_f32_e32 v15, v35, v40
	v_fmac_f32_e32 v21, v32, v40
	;; [unrolled: 1-line block ×4, first 2 shown]
	v_lshlrev_b64_e32 v[46:47], 3, v[10:11]
	v_dual_fmac_f32 v15, v34, v41 :: v_dual_add_nc_u32 v10, -3, v8
	v_fma_f32 v12, -v33, v41, v21
	v_fma_f32 v19, -v37, v41, v19
	s_delay_alu instid0(VALU_DEP_3) | instskip(SKIP_4) | instid1(VALU_DEP_3)
	v_lshlrev_b64_e32 v[48:49], 3, v[10:11]
	v_add_nc_u32_e32 v10, 2, v30
	v_add_co_u32 v46, vcc_lo, s8, v46
	s_wait_alu 0xfffd
	v_add_co_ci_u32_e64 v47, null, s9, v47, vcc_lo
	v_lshlrev_b64_e32 v[50:51], 3, v[10:11]
	v_add_co_u32 v48, vcc_lo, s8, v48
	s_wait_alu 0xfffd
	v_add_co_ci_u32_e64 v49, null, s9, v49, vcc_lo
	global_load_b64 v[46:47], v[46:47], off
	v_add_co_u32 v50, vcc_lo, s10, v50
	s_wait_alu 0xfffd
	v_add_co_ci_u32_e64 v51, null, s11, v51, vcc_lo
	global_load_b64 v[48:49], v[48:49], off
	s_wait_loadcnt 0x3
	v_fmac_f32_e32 v13, v29, v42
	global_load_b64 v[50:51], v[50:51], off
	v_dual_fmac_f32 v18, v26, v40 :: v_dual_fmac_f32 v13, v28, v43
	s_delay_alu instid0(VALU_DEP_1) | instskip(NEXT) | instid1(VALU_DEP_1)
	v_fma_f32 v7, -v27, v41, v18
	v_dual_fmac_f32 v7, v28, v42 :: v_dual_add_nc_u32 v10, -12, v8
	s_delay_alu instid0(VALU_DEP_1) | instskip(SKIP_1) | instid1(VALU_DEP_3)
	v_lshlrev_b64_e32 v[52:53], 3, v[10:11]
	v_add_nc_u32_e32 v10, -7, v8
	v_fma_f32 v7, -v29, v43, v7
	s_delay_alu instid0(VALU_DEP_2) | instskip(SKIP_4) | instid1(VALU_DEP_3)
	v_lshlrev_b64_e32 v[54:55], 3, v[10:11]
	v_add_nc_u32_e32 v10, -2, v8
	v_add_co_u32 v52, vcc_lo, s8, v52
	s_wait_alu 0xfffd
	v_add_co_ci_u32_e64 v53, null, s9, v53, vcc_lo
	v_lshlrev_b64_e32 v[56:57], 3, v[10:11]
	v_add_co_u32 v54, vcc_lo, s8, v54
	s_wait_alu 0xfffd
	v_add_co_ci_u32_e64 v55, null, s9, v55, vcc_lo
	global_load_b64 v[52:53], v[52:53], off
	v_add_co_u32 v56, vcc_lo, s8, v56
	s_wait_alu 0xfffd
	v_add_co_ci_u32_e64 v57, null, s9, v57, vcc_lo
	global_load_b64 v[54:55], v[54:55], off
	v_add_nc_u32_e32 v10, 3, v30
	global_load_b64 v[56:57], v[56:57], off
	v_lshlrev_b64_e32 v[58:59], 3, v[10:11]
	v_add_nc_u32_e32 v10, -11, v8
	s_delay_alu instid0(VALU_DEP_2) | instskip(SKIP_1) | instid1(VALU_DEP_3)
	v_add_co_u32 v58, vcc_lo, s10, v58
	s_wait_alu 0xfffd
	v_add_co_ci_u32_e64 v59, null, s11, v59, vcc_lo
	global_load_b64 v[58:59], v[58:59], off
	s_wait_loadcnt 0x6
	v_fmac_f32_e32 v15, v47, v42
	v_lshlrev_b64_e32 v[60:61], 3, v[10:11]
	s_wait_loadcnt 0x5
	v_dual_fmac_f32 v19, v48, v42 :: v_dual_add_nc_u32 v10, -6, v8
	s_delay_alu instid0(VALU_DEP_3) | instskip(NEXT) | instid1(VALU_DEP_2)
	v_fmac_f32_e32 v15, v46, v43
	v_lshlrev_b64_e32 v[62:63], 3, v[10:11]
	v_add_nc_u32_e32 v10, -1, v8
	v_add_co_u32 v60, vcc_lo, s8, v60
	s_wait_loadcnt 0x4
	v_fmac_f32_e32 v7, v22, v50
	v_fmac_f32_e32 v13, v23, v50
	v_lshlrev_b64_e32 v[64:65], 3, v[10:11]
	v_add_nc_u32_e32 v10, -15, v8
	s_wait_alu 0xfffd
	v_add_co_ci_u32_e64 v61, null, s9, v61, vcc_lo
	v_add_co_u32 v62, vcc_lo, s8, v62
	s_delay_alu instid0(VALU_DEP_3)
	v_lshlrev_b64_e32 v[66:67], 3, v[10:11]
	v_dual_fmac_f32 v13, v22, v51 :: v_dual_add_nc_u32 v10, 4, v30
	s_wait_alu 0xfffd
	v_add_co_ci_u32_e64 v63, null, s9, v63, vcc_lo
	v_add_co_u32 v30, vcc_lo, s8, v64
	s_wait_alu 0xfffd
	v_add_co_ci_u32_e64 v31, null, s9, v65, vcc_lo
	v_lshlrev_b64_e32 v[64:65], 3, v[10:11]
	v_add_nc_u32_e32 v10, -10, v8
	v_add_co_u32 v66, vcc_lo, s8, v66
	s_wait_alu 0xfffd
	v_add_co_ci_u32_e64 v67, null, s9, v67, vcc_lo
	s_delay_alu instid0(VALU_DEP_4)
	v_add_co_u32 v64, vcc_lo, s10, v64
	v_fma_f32 v19, -v49, v43, v19
	s_wait_alu 0xfffd
	v_add_co_ci_u32_e64 v65, null, s11, v65, vcc_lo
	s_clause 0x2
	global_load_b64 v[60:61], v[60:61], off
	global_load_b64 v[62:63], v[62:63], off
	;; [unrolled: 1-line block ×3, first 2 shown]
	s_wait_loadcnt 0x5
	v_fmac_f32_e32 v15, v55, v50
	v_lshlrev_b64_e32 v[68:69], 3, v[10:11]
	s_wait_loadcnt 0x4
	v_dual_fmac_f32 v19, v56, v50 :: v_dual_add_nc_u32 v10, -5, v8
	global_load_b64 v[64:65], v[64:65], off
	global_load_b64 v[30:31], v[30:31], off
	v_fmac_f32_e32 v20, v34, v40
	v_lshlrev_b64_e32 v[9:10], 3, v[10:11]
	v_add_co_u32 v68, vcc_lo, s8, v68
	s_wait_alu 0xfffd
	v_add_co_ci_u32_e64 v69, null, s9, v69, vcc_lo
	v_fma_f32 v7, -v23, v51, v7
	s_delay_alu instid0(VALU_DEP_4)
	v_add_co_u32 v9, vcc_lo, s8, v9
	s_wait_alu 0xfffd
	v_add_co_ci_u32_e64 v10, null, s9, v10, vcc_lo
	s_clause 0x2
	global_load_b64 v[68:69], v[68:69], off
	global_load_b64 v[9:10], v[9:10], off
	;; [unrolled: 1-line block ×3, first 2 shown]
	s_wait_loadcnt 0x8
	v_dual_fmac_f32 v16, v33, v40 :: v_dual_fmac_f32 v7, v24, v58
	v_fmac_f32_e32 v13, v25, v58
	v_fmac_f32_e32 v14, v37, v40
	v_dual_fmac_f32 v15, v54, v51 :: v_dual_add_nc_u32 v8, 0x140, v8
	s_delay_alu instid0(VALU_DEP_4)
	v_fmac_f32_e32 v16, v32, v41
	v_fma_f32 v18, -v35, v41, v20
	v_fmac_f32_e32 v13, v24, v59
	v_fmac_f32_e32 v14, v36, v41
	v_fma_f32 v19, -v57, v51, v19
	v_fma_f32 v7, -v25, v59, v7
	v_fmac_f32_e32 v16, v45, v42
	v_fmac_f32_e32 v18, v46, v42
	v_cmp_ge_i32_e32 vcc_lo, v6, v17
	s_wait_alu 0xfffe
	s_or_b32 s2, vcc_lo, s2
	s_wait_loadcnt 0x6
	v_fmac_f32_e32 v15, v63, v58
	s_delay_alu instid0(VALU_DEP_1) | instskip(SKIP_2) | instid1(VALU_DEP_2)
	v_dual_fmac_f32 v12, v44, v42 :: v_dual_fmac_f32 v15, v62, v59
	s_wait_loadcnt 0x4
	v_dual_fmac_f32 v13, v67, v64 :: v_dual_fmac_f32 v14, v49, v42
	v_fma_f32 v12, -v45, v43, v12
	v_fma_f32 v18, -v47, v43, v18
	s_wait_loadcnt 0x3
	v_fmac_f32_e32 v19, v30, v58
	v_dual_fmac_f32 v7, v66, v64 :: v_dual_fmac_f32 v16, v44, v43
	v_dual_fmac_f32 v13, v66, v65 :: v_dual_fmac_f32 v14, v48, v43
	v_fmac_f32_e32 v18, v54, v50
	s_delay_alu instid0(VALU_DEP_4)
	v_fma_f32 v19, -v31, v59, v19
	v_fmac_f32_e32 v12, v52, v50
	s_wait_loadcnt 0x1
	v_dual_fmac_f32 v16, v53, v50 :: v_dual_fmac_f32 v15, v10, v64
	v_fmac_f32_e32 v14, v57, v50
	v_fma_f32 v18, -v55, v51, v18
	s_wait_loadcnt 0x0
	s_delay_alu instid0(VALU_DEP_3) | instskip(SKIP_3) | instid1(VALU_DEP_4)
	v_dual_fmac_f32 v16, v52, v51 :: v_dual_fmac_f32 v19, v38, v64
	v_fma_f32 v12, -v53, v51, v12
	v_fmac_f32_e32 v14, v56, v51
	v_dual_fmac_f32 v18, v62, v58 :: v_dual_fmac_f32 v15, v9, v65
	v_fmac_f32_e32 v16, v61, v58
	s_delay_alu instid0(VALU_DEP_4) | instskip(NEXT) | instid1(VALU_DEP_4)
	v_fmac_f32_e32 v12, v60, v58
	v_fmac_f32_e32 v14, v31, v58
	s_delay_alu instid0(VALU_DEP_4)
	v_fma_f32 v20, -v63, v59, v18
	v_fma_f32 v18, -v67, v65, v7
	v_fmac_f32_e32 v16, v60, v59
	v_fma_f32 v12, -v61, v59, v12
	v_fmac_f32_e32 v14, v30, v59
	v_fmac_f32_e32 v20, v9, v64
	v_fma_f32 v19, -v39, v65, v19
	v_fmac_f32_e32 v16, v69, v64
	v_fmac_f32_e32 v12, v68, v64
	;; [unrolled: 1-line block ×3, first 2 shown]
	v_fma_f32 v20, -v10, v65, v20
	s_delay_alu instid0(VALU_DEP_4) | instskip(NEXT) | instid1(VALU_DEP_4)
	v_fmac_f32_e32 v16, v68, v65
	v_fma_f32 v21, -v69, v65, v12
	s_delay_alu instid0(VALU_DEP_4)
	v_fmac_f32_e32 v14, v38, v65
	s_wait_alu 0xfffe
	s_and_not1_b32 exec_lo, exec_lo, s2
	s_cbranch_execnz .LBB91_13
; %bb.14:
	s_or_b32 exec_lo, exec_lo, s2
.LBB91_15:
	s_wait_alu 0xfffe
	s_or_b32 exec_lo, exec_lo, s3
.LBB91_16:
	v_mbcnt_lo_u32_b32 v6, -1, 0
	s_delay_alu instid0(VALU_DEP_1) | instskip(SKIP_1) | instid1(VALU_DEP_2)
	v_xor_b32_e32 v7, 8, v6
	v_xor_b32_e32 v23, 4, v6
	v_cmp_gt_i32_e32 vcc_lo, 32, v7
	s_wait_alu 0xfffd
	v_cndmask_b32_e32 v7, v6, v7, vcc_lo
	s_delay_alu instid0(VALU_DEP_3) | instskip(NEXT) | instid1(VALU_DEP_2)
	v_cmp_gt_i32_e32 vcc_lo, 32, v23
	v_lshlrev_b32_e32 v7, 2, v7
	ds_bpermute_b32 v8, v7, v18
	s_wait_dscnt 0x0
	v_add_f32_e32 v8, v18, v8
	ds_bpermute_b32 v12, v7, v20
	ds_bpermute_b32 v9, v7, v13
	;; [unrolled: 1-line block ×7, first 2 shown]
	s_wait_dscnt 0x6
	s_wait_alu 0xfffd
	v_dual_cndmask_b32 v23, v6, v23 :: v_dual_add_f32 v12, v20, v12
	s_wait_dscnt 0x4
	s_delay_alu instid0(VALU_DEP_1)
	v_dual_add_f32 v10, v21, v10 :: v_dual_lshlrev_b32 v23, 2, v23
	s_wait_dscnt 0x3
	v_add_f32_e32 v11, v16, v11
	s_wait_dscnt 0x0
	v_add_f32_e32 v7, v14, v7
	ds_bpermute_b32 v14, v23, v8
	s_wait_dscnt 0x0
	v_add_f32_e32 v8, v8, v14
	ds_bpermute_b32 v18, v23, v11
	v_add_f32_e32 v9, v13, v9
	v_add_f32_e32 v13, v15, v17
	;; [unrolled: 1-line block ×3, first 2 shown]
	ds_bpermute_b32 v17, v23, v10
	ds_bpermute_b32 v19, v23, v12
	;; [unrolled: 1-line block ×4, first 2 shown]
	s_wait_dscnt 0x3
	v_add_f32_e32 v14, v10, v17
	s_wait_dscnt 0x2
	v_add_f32_e32 v12, v12, v19
	ds_bpermute_b32 v20, v23, v13
	s_wait_dscnt 0x2
	v_dual_add_f32 v9, v9, v16 :: v_dual_add_f32 v16, v11, v18
	s_wait_dscnt 0x1
	v_add_f32_e32 v18, v15, v21
	ds_bpermute_b32 v22, v23, v7
	v_xor_b32_e32 v23, 2, v6
	s_delay_alu instid0(VALU_DEP_1) | instskip(SKIP_2) | instid1(VALU_DEP_1)
	v_cmp_gt_i32_e32 vcc_lo, 32, v23
	s_wait_alu 0xfffd
	v_cndmask_b32_e32 v23, v6, v23, vcc_lo
	v_lshlrev_b32_e32 v23, 2, v23
	s_wait_dscnt 0x0
	v_add_f32_e32 v19, v7, v22
	ds_bpermute_b32 v11, v23, v14
	ds_bpermute_b32 v15, v23, v12
	v_add_f32_e32 v17, v13, v20
	ds_bpermute_b32 v7, v23, v8
	ds_bpermute_b32 v10, v23, v9
	;; [unrolled: 1-line block ×5, first 2 shown]
	s_wait_dscnt 0x6
	v_add_f32_e32 v11, v14, v11
	s_wait_dscnt 0x5
	v_add_f32_e32 v14, v12, v15
	ds_bpermute_b32 v20, v23, v17
	v_xor_b32_e32 v23, 1, v6
	s_wait_dscnt 0x3
	v_add_f32_e32 v13, v16, v13
	s_delay_alu instid0(VALU_DEP_2) | instskip(SKIP_3) | instid1(VALU_DEP_2)
	v_cmp_gt_i32_e32 vcc_lo, 32, v23
	s_wait_alu 0xfffd
	v_cndmask_b32_e32 v6, v6, v23, vcc_lo
	v_cmp_eq_u32_e32 vcc_lo, 15, v0
	v_dual_add_f32 v6, v8, v7 :: v_dual_lshlrev_b32 v23, 2, v6
	s_wait_dscnt 0x2
	v_dual_add_f32 v10, v9, v10 :: v_dual_add_f32 v7, v18, v21
	s_wait_dscnt 0x0
	v_add_f32_e32 v15, v17, v20
	v_add_f32_e32 v9, v19, v22
	ds_bpermute_b32 v8, v23, v6
	ds_bpermute_b32 v12, v23, v10
	;; [unrolled: 1-line block ×8, first 2 shown]
	s_and_b32 exec_lo, exec_lo, vcc_lo
	s_cbranch_execz .LBB91_21
; %bb.17:
	s_load_b64 s[2:3], s[0:1], 0x38
	v_cmp_eq_f32_e32 vcc_lo, 0, v3
	v_cmp_eq_f32_e64 s0, 0, v4
	s_wait_dscnt 0x7
	v_add_f32_e32 v8, v6, v8
	s_wait_dscnt 0x0
	v_dual_add_f32 v12, v10, v12 :: v_dual_add_f32 v9, v9, v17
	v_dual_add_f32 v0, v11, v18 :: v_dual_add_f32 v11, v13, v19
	v_add_f32_e32 v6, v14, v20
	v_add_f32_e32 v10, v15, v21
	;; [unrolled: 1-line block ×3, first 2 shown]
	s_and_b32 s0, vcc_lo, s0
	s_wait_alu 0xfffe
	s_and_saveexec_b32 s1, s0
	s_wait_alu 0xfffe
	s_xor_b32 s0, exec_lo, s1
	s_cbranch_execz .LBB91_19
; %bb.18:
	v_dual_mul_f32 v14, v1, v12 :: v_dual_lshlrev_b32 v3, 2, v5
	v_mul_f32_e64 v13, v12, -v2
	v_mul_f32_e64 v15, v11, -v2
	v_mul_f32_e32 v16, v1, v11
	s_delay_alu instid0(VALU_DEP_4)
	v_ashrrev_i32_e32 v4, 31, v3
	v_mul_f32_e64 v17, v10, -v2
	v_mul_f32_e32 v18, v1, v10
	v_mul_f32_e64 v19, v9, -v2
	v_mul_f32_e32 v20, v1, v9
	v_lshlrev_b64_e32 v[3:4], 3, v[3:4]
	s_delay_alu instid0(VALU_DEP_4) | instskip(SKIP_1) | instid1(VALU_DEP_4)
	v_dual_fmac_f32 v13, v1, v8 :: v_dual_fmac_f32 v18, v2, v6
	v_dual_fmac_f32 v14, v2, v8 :: v_dual_fmac_f32 v17, v1, v6
	;; [unrolled: 1-line block ×3, first 2 shown]
	s_wait_kmcnt 0x0
	s_delay_alu instid0(VALU_DEP_4)
	v_add_co_u32 v3, vcc_lo, s2, v3
	s_wait_alu 0xfffd
	v_add_co_ci_u32_e64 v4, null, s3, v4, vcc_lo
	v_dual_fmac_f32 v16, v2, v0 :: v_dual_fmac_f32 v19, v1, v7
	s_clause 0x1
	global_store_b128 v[3:4], v[13:16], off
	global_store_b128 v[3:4], v[17:20], off offset:16
                                        ; implicit-def: $vgpr5
                                        ; implicit-def: $vgpr8
                                        ; implicit-def: $vgpr12
                                        ; implicit-def: $vgpr0
                                        ; implicit-def: $vgpr11
                                        ; implicit-def: $vgpr6
                                        ; implicit-def: $vgpr10
                                        ; implicit-def: $vgpr7
                                        ; implicit-def: $vgpr9
                                        ; implicit-def: $vgpr1_vgpr2
                                        ; implicit-def: $vgpr3_vgpr4
.LBB91_19:
	s_wait_alu 0xfffe
	s_and_not1_saveexec_b32 s0, s0
	s_cbranch_execz .LBB91_21
; %bb.20:
	v_dual_mul_f32 v22, v1, v12 :: v_dual_lshlrev_b32 v13, 2, v5
	v_mul_f32_e64 v5, v12, -v2
	v_mul_f32_e64 v23, v11, -v2
	;; [unrolled: 1-line block ×3, first 2 shown]
	s_delay_alu instid0(VALU_DEP_4) | instskip(NEXT) | instid1(VALU_DEP_4)
	v_ashrrev_i32_e32 v14, 31, v13
	v_fmac_f32_e32 v5, v1, v8
	s_delay_alu instid0(VALU_DEP_2) | instskip(SKIP_1) | instid1(VALU_DEP_1)
	v_lshlrev_b64_e32 v[13:14], 3, v[13:14]
	s_wait_kmcnt 0x0
	v_add_co_u32 v25, vcc_lo, s2, v13
	s_wait_alu 0xfffd
	s_delay_alu instid0(VALU_DEP_2)
	v_add_co_ci_u32_e64 v26, null, s3, v14, vcc_lo
	s_clause 0x1
	global_load_b128 v[13:16], v[25:26], off
	global_load_b128 v[17:20], v[25:26], off offset:16
	v_mul_f32_e32 v24, v1, v11
	v_mul_f32_e64 v11, v10, -v2
	s_delay_alu instid0(VALU_DEP_1) | instskip(SKIP_1) | instid1(VALU_DEP_1)
	v_dual_fmac_f32 v22, v2, v8 :: v_dual_fmac_f32 v11, v1, v6
	s_wait_loadcnt 0x1
	v_dual_fmac_f32 v27, v1, v7 :: v_dual_fmac_f32 v22, v4, v13
	s_wait_loadcnt 0x0
	s_delay_alu instid0(VALU_DEP_1) | instskip(SKIP_3) | instid1(VALU_DEP_4)
	v_dual_mul_f32 v12, v1, v9 :: v_dual_fmac_f32 v27, v3, v19
	v_fmac_f32_e32 v23, v1, v0
	v_fmac_f32_e32 v11, v3, v17
	;; [unrolled: 1-line block ×4, first 2 shown]
	s_delay_alu instid0(VALU_DEP_4) | instskip(NEXT) | instid1(VALU_DEP_4)
	v_dual_mul_f32 v10, v1, v10 :: v_dual_fmac_f32 v23, v3, v15
	v_fma_f32 v9, -v4, v18, v11
	v_fma_f32 v11, -v4, v20, v27
	s_delay_alu instid0(VALU_DEP_4) | instskip(NEXT) | instid1(VALU_DEP_4)
	v_fmac_f32_e32 v12, v4, v19
	v_dual_fmac_f32 v10, v2, v6 :: v_dual_fmac_f32 v5, v3, v13
	v_fmac_f32_e32 v24, v2, v0
	v_fma_f32 v23, -v4, v16, v23
	s_delay_alu instid0(VALU_DEP_4) | instskip(NEXT) | instid1(VALU_DEP_4)
	v_fmac_f32_e32 v12, v3, v20
	v_fmac_f32_e32 v10, v4, v17
	v_fma_f32 v21, -v4, v14, v5
	v_fmac_f32_e32 v24, v4, v15
	s_delay_alu instid0(VALU_DEP_3) | instskip(NEXT) | instid1(VALU_DEP_2)
	v_fmac_f32_e32 v10, v3, v18
	v_fmac_f32_e32 v24, v3, v16
	s_clause 0x1
	global_store_b128 v[25:26], v[21:24], off
	global_store_b128 v[25:26], v[9:12], off offset:16
.LBB91_21:
	s_endpgm
	.section	.rodata,"a",@progbits
	.p2align	6, 0x0
	.amdhsa_kernel _ZN9rocsparseL19gebsrmvn_4xn_kernelILj128ELj5ELj16E21rocsparse_complex_numIfEEEvi20rocsparse_direction_NS_24const_host_device_scalarIT2_EEPKiS8_PKS5_SA_S6_PS5_21rocsparse_index_base_b
		.amdhsa_group_segment_fixed_size 0
		.amdhsa_private_segment_fixed_size 0
		.amdhsa_kernarg_size 72
		.amdhsa_user_sgpr_count 2
		.amdhsa_user_sgpr_dispatch_ptr 0
		.amdhsa_user_sgpr_queue_ptr 0
		.amdhsa_user_sgpr_kernarg_segment_ptr 1
		.amdhsa_user_sgpr_dispatch_id 0
		.amdhsa_user_sgpr_private_segment_size 0
		.amdhsa_wavefront_size32 1
		.amdhsa_uses_dynamic_stack 0
		.amdhsa_enable_private_segment 0
		.amdhsa_system_sgpr_workgroup_id_x 1
		.amdhsa_system_sgpr_workgroup_id_y 0
		.amdhsa_system_sgpr_workgroup_id_z 0
		.amdhsa_system_sgpr_workgroup_info 0
		.amdhsa_system_vgpr_workitem_id 0
		.amdhsa_next_free_vgpr 72
		.amdhsa_next_free_sgpr 14
		.amdhsa_reserve_vcc 1
		.amdhsa_float_round_mode_32 0
		.amdhsa_float_round_mode_16_64 0
		.amdhsa_float_denorm_mode_32 3
		.amdhsa_float_denorm_mode_16_64 3
		.amdhsa_fp16_overflow 0
		.amdhsa_workgroup_processor_mode 1
		.amdhsa_memory_ordered 1
		.amdhsa_forward_progress 1
		.amdhsa_inst_pref_size 34
		.amdhsa_round_robin_scheduling 0
		.amdhsa_exception_fp_ieee_invalid_op 0
		.amdhsa_exception_fp_denorm_src 0
		.amdhsa_exception_fp_ieee_div_zero 0
		.amdhsa_exception_fp_ieee_overflow 0
		.amdhsa_exception_fp_ieee_underflow 0
		.amdhsa_exception_fp_ieee_inexact 0
		.amdhsa_exception_int_div_zero 0
	.end_amdhsa_kernel
	.section	.text._ZN9rocsparseL19gebsrmvn_4xn_kernelILj128ELj5ELj16E21rocsparse_complex_numIfEEEvi20rocsparse_direction_NS_24const_host_device_scalarIT2_EEPKiS8_PKS5_SA_S6_PS5_21rocsparse_index_base_b,"axG",@progbits,_ZN9rocsparseL19gebsrmvn_4xn_kernelILj128ELj5ELj16E21rocsparse_complex_numIfEEEvi20rocsparse_direction_NS_24const_host_device_scalarIT2_EEPKiS8_PKS5_SA_S6_PS5_21rocsparse_index_base_b,comdat
.Lfunc_end91:
	.size	_ZN9rocsparseL19gebsrmvn_4xn_kernelILj128ELj5ELj16E21rocsparse_complex_numIfEEEvi20rocsparse_direction_NS_24const_host_device_scalarIT2_EEPKiS8_PKS5_SA_S6_PS5_21rocsparse_index_base_b, .Lfunc_end91-_ZN9rocsparseL19gebsrmvn_4xn_kernelILj128ELj5ELj16E21rocsparse_complex_numIfEEEvi20rocsparse_direction_NS_24const_host_device_scalarIT2_EEPKiS8_PKS5_SA_S6_PS5_21rocsparse_index_base_b
                                        ; -- End function
	.set _ZN9rocsparseL19gebsrmvn_4xn_kernelILj128ELj5ELj16E21rocsparse_complex_numIfEEEvi20rocsparse_direction_NS_24const_host_device_scalarIT2_EEPKiS8_PKS5_SA_S6_PS5_21rocsparse_index_base_b.num_vgpr, 72
	.set _ZN9rocsparseL19gebsrmvn_4xn_kernelILj128ELj5ELj16E21rocsparse_complex_numIfEEEvi20rocsparse_direction_NS_24const_host_device_scalarIT2_EEPKiS8_PKS5_SA_S6_PS5_21rocsparse_index_base_b.num_agpr, 0
	.set _ZN9rocsparseL19gebsrmvn_4xn_kernelILj128ELj5ELj16E21rocsparse_complex_numIfEEEvi20rocsparse_direction_NS_24const_host_device_scalarIT2_EEPKiS8_PKS5_SA_S6_PS5_21rocsparse_index_base_b.numbered_sgpr, 14
	.set _ZN9rocsparseL19gebsrmvn_4xn_kernelILj128ELj5ELj16E21rocsparse_complex_numIfEEEvi20rocsparse_direction_NS_24const_host_device_scalarIT2_EEPKiS8_PKS5_SA_S6_PS5_21rocsparse_index_base_b.num_named_barrier, 0
	.set _ZN9rocsparseL19gebsrmvn_4xn_kernelILj128ELj5ELj16E21rocsparse_complex_numIfEEEvi20rocsparse_direction_NS_24const_host_device_scalarIT2_EEPKiS8_PKS5_SA_S6_PS5_21rocsparse_index_base_b.private_seg_size, 0
	.set _ZN9rocsparseL19gebsrmvn_4xn_kernelILj128ELj5ELj16E21rocsparse_complex_numIfEEEvi20rocsparse_direction_NS_24const_host_device_scalarIT2_EEPKiS8_PKS5_SA_S6_PS5_21rocsparse_index_base_b.uses_vcc, 1
	.set _ZN9rocsparseL19gebsrmvn_4xn_kernelILj128ELj5ELj16E21rocsparse_complex_numIfEEEvi20rocsparse_direction_NS_24const_host_device_scalarIT2_EEPKiS8_PKS5_SA_S6_PS5_21rocsparse_index_base_b.uses_flat_scratch, 0
	.set _ZN9rocsparseL19gebsrmvn_4xn_kernelILj128ELj5ELj16E21rocsparse_complex_numIfEEEvi20rocsparse_direction_NS_24const_host_device_scalarIT2_EEPKiS8_PKS5_SA_S6_PS5_21rocsparse_index_base_b.has_dyn_sized_stack, 0
	.set _ZN9rocsparseL19gebsrmvn_4xn_kernelILj128ELj5ELj16E21rocsparse_complex_numIfEEEvi20rocsparse_direction_NS_24const_host_device_scalarIT2_EEPKiS8_PKS5_SA_S6_PS5_21rocsparse_index_base_b.has_recursion, 0
	.set _ZN9rocsparseL19gebsrmvn_4xn_kernelILj128ELj5ELj16E21rocsparse_complex_numIfEEEvi20rocsparse_direction_NS_24const_host_device_scalarIT2_EEPKiS8_PKS5_SA_S6_PS5_21rocsparse_index_base_b.has_indirect_call, 0
	.section	.AMDGPU.csdata,"",@progbits
; Kernel info:
; codeLenInByte = 4236
; TotalNumSgprs: 16
; NumVgprs: 72
; ScratchSize: 0
; MemoryBound: 0
; FloatMode: 240
; IeeeMode: 1
; LDSByteSize: 0 bytes/workgroup (compile time only)
; SGPRBlocks: 0
; VGPRBlocks: 8
; NumSGPRsForWavesPerEU: 16
; NumVGPRsForWavesPerEU: 72
; Occupancy: 16
; WaveLimiterHint : 1
; COMPUTE_PGM_RSRC2:SCRATCH_EN: 0
; COMPUTE_PGM_RSRC2:USER_SGPR: 2
; COMPUTE_PGM_RSRC2:TRAP_HANDLER: 0
; COMPUTE_PGM_RSRC2:TGID_X_EN: 1
; COMPUTE_PGM_RSRC2:TGID_Y_EN: 0
; COMPUTE_PGM_RSRC2:TGID_Z_EN: 0
; COMPUTE_PGM_RSRC2:TIDIG_COMP_CNT: 0
	.section	.text._ZN9rocsparseL19gebsrmvn_4xn_kernelILj128ELj5ELj32E21rocsparse_complex_numIfEEEvi20rocsparse_direction_NS_24const_host_device_scalarIT2_EEPKiS8_PKS5_SA_S6_PS5_21rocsparse_index_base_b,"axG",@progbits,_ZN9rocsparseL19gebsrmvn_4xn_kernelILj128ELj5ELj32E21rocsparse_complex_numIfEEEvi20rocsparse_direction_NS_24const_host_device_scalarIT2_EEPKiS8_PKS5_SA_S6_PS5_21rocsparse_index_base_b,comdat
	.globl	_ZN9rocsparseL19gebsrmvn_4xn_kernelILj128ELj5ELj32E21rocsparse_complex_numIfEEEvi20rocsparse_direction_NS_24const_host_device_scalarIT2_EEPKiS8_PKS5_SA_S6_PS5_21rocsparse_index_base_b ; -- Begin function _ZN9rocsparseL19gebsrmvn_4xn_kernelILj128ELj5ELj32E21rocsparse_complex_numIfEEEvi20rocsparse_direction_NS_24const_host_device_scalarIT2_EEPKiS8_PKS5_SA_S6_PS5_21rocsparse_index_base_b
	.p2align	8
	.type	_ZN9rocsparseL19gebsrmvn_4xn_kernelILj128ELj5ELj32E21rocsparse_complex_numIfEEEvi20rocsparse_direction_NS_24const_host_device_scalarIT2_EEPKiS8_PKS5_SA_S6_PS5_21rocsparse_index_base_b,@function
_ZN9rocsparseL19gebsrmvn_4xn_kernelILj128ELj5ELj32E21rocsparse_complex_numIfEEEvi20rocsparse_direction_NS_24const_host_device_scalarIT2_EEPKiS8_PKS5_SA_S6_PS5_21rocsparse_index_base_b: ; @_ZN9rocsparseL19gebsrmvn_4xn_kernelILj128ELj5ELj32E21rocsparse_complex_numIfEEEvi20rocsparse_direction_NS_24const_host_device_scalarIT2_EEPKiS8_PKS5_SA_S6_PS5_21rocsparse_index_base_b
; %bb.0:
	s_clause 0x2
	s_load_b64 s[12:13], s[0:1], 0x40
	s_load_b64 s[2:3], s[0:1], 0x8
	s_load_b64 s[4:5], s[0:1], 0x30
	s_add_nc_u64 s[6:7], s[0:1], 8
	s_wait_kmcnt 0x0
	s_bitcmp1_b32 s13, 0
	s_cselect_b32 s2, s6, s2
	s_cselect_b32 s3, s7, s3
	s_delay_alu instid0(SALU_CYCLE_1)
	v_dual_mov_b32 v1, s2 :: v_dual_mov_b32 v2, s3
	s_add_nc_u64 s[2:3], s[0:1], 48
	s_wait_alu 0xfffe
	s_cselect_b32 s2, s2, s4
	s_cselect_b32 s3, s3, s5
	flat_load_b64 v[1:2], v[1:2]
	s_wait_alu 0xfffe
	v_dual_mov_b32 v3, s2 :: v_dual_mov_b32 v4, s3
	flat_load_b64 v[3:4], v[3:4]
	s_wait_loadcnt_dscnt 0x101
	v_cmp_eq_f32_e32 vcc_lo, 0, v1
	v_cmp_eq_f32_e64 s2, 0, v2
	s_and_b32 s4, vcc_lo, s2
	s_mov_b32 s2, -1
	s_and_saveexec_b32 s3, s4
	s_cbranch_execz .LBB92_2
; %bb.1:
	s_wait_loadcnt_dscnt 0x0
	v_cmp_neq_f32_e32 vcc_lo, 1.0, v3
	v_cmp_neq_f32_e64 s2, 0, v4
	s_wait_alu 0xfffe
	s_or_b32 s2, vcc_lo, s2
	s_wait_alu 0xfffe
	s_or_not1_b32 s2, s2, exec_lo
.LBB92_2:
	s_wait_alu 0xfffe
	s_or_b32 exec_lo, exec_lo, s3
	s_and_saveexec_b32 s3, s2
	s_cbranch_execz .LBB92_21
; %bb.3:
	s_load_b64 s[2:3], s[0:1], 0x0
	v_lshrrev_b32_e32 v5, 5, v0
	s_delay_alu instid0(VALU_DEP_1) | instskip(SKIP_1) | instid1(VALU_DEP_1)
	v_lshl_or_b32 v5, ttmp9, 2, v5
	s_wait_kmcnt 0x0
	v_cmp_gt_i32_e32 vcc_lo, s2, v5
	s_and_b32 exec_lo, exec_lo, vcc_lo
	s_cbranch_execz .LBB92_21
; %bb.4:
	s_load_b256 s[4:11], s[0:1], 0x10
	v_ashrrev_i32_e32 v6, 31, v5
	v_and_b32_e32 v0, 31, v0
	s_cmp_lg_u32 s3, 0
	s_delay_alu instid0(VALU_DEP_2) | instskip(SKIP_1) | instid1(VALU_DEP_1)
	v_lshlrev_b64_e32 v[6:7], 2, v[5:6]
	s_wait_kmcnt 0x0
	v_add_co_u32 v6, vcc_lo, s4, v6
	s_delay_alu instid0(VALU_DEP_1) | instskip(SKIP_4) | instid1(VALU_DEP_2)
	v_add_co_ci_u32_e64 v7, null, s5, v7, vcc_lo
	global_load_b64 v[6:7], v[6:7], off
	s_wait_loadcnt 0x0
	v_subrev_nc_u32_e32 v6, s12, v6
	v_subrev_nc_u32_e32 v17, s12, v7
	v_add_nc_u32_e32 v6, v6, v0
	s_delay_alu instid0(VALU_DEP_1)
	v_cmp_lt_i32_e64 s2, v6, v17
	s_cbranch_scc0 .LBB92_10
; %bb.5:
	v_dual_mov_b32 v13, 0 :: v_dual_mov_b32 v18, 0
	v_dual_mov_b32 v19, 0 :: v_dual_mov_b32 v14, 0
	v_dual_mov_b32 v20, 0 :: v_dual_mov_b32 v15, 0
	v_dual_mov_b32 v21, 0 :: v_dual_mov_b32 v16, 0
	s_and_saveexec_b32 s3, s2
	s_cbranch_execz .LBB92_9
; %bb.6:
	v_mad_co_u64_u32 v[7:8], null, v6, 20, 16
	v_dual_mov_b32 v10, 0 :: v_dual_mov_b32 v11, v6
	v_dual_mov_b32 v13, 0 :: v_dual_mov_b32 v18, 0
	;; [unrolled: 1-line block ×5, first 2 shown]
	s_mov_b32 s4, 0
.LBB92_7:                               ; =>This Inner Loop Header: Depth=1
	v_ashrrev_i32_e32 v12, 31, v11
	s_delay_alu instid0(VALU_DEP_1) | instskip(NEXT) | instid1(VALU_DEP_1)
	v_lshlrev_b64_e32 v[8:9], 2, v[11:12]
	v_add_co_u32 v8, vcc_lo, s6, v8
	s_wait_alu 0xfffd
	s_delay_alu instid0(VALU_DEP_2) | instskip(SKIP_2) | instid1(VALU_DEP_1)
	v_add_co_ci_u32_e64 v9, null, s7, v9, vcc_lo
	global_load_b32 v12, v[8:9], off
	v_dual_mov_b32 v8, v10 :: v_dual_add_nc_u32 v9, -16, v7
	v_lshlrev_b64_e32 v[22:23], 3, v[9:10]
	v_add_nc_u32_e32 v9, -12, v7
	s_delay_alu instid0(VALU_DEP_3) | instskip(NEXT) | instid1(VALU_DEP_2)
	v_lshlrev_b64_e32 v[24:25], 3, v[7:8]
	v_lshlrev_b64_e32 v[8:9], 3, v[9:10]
	s_delay_alu instid0(VALU_DEP_4) | instskip(SKIP_2) | instid1(VALU_DEP_4)
	v_add_co_u32 v26, vcc_lo, s8, v22
	s_wait_alu 0xfffd
	v_add_co_ci_u32_e64 v27, null, s9, v23, vcc_lo
	v_add_co_u32 v34, vcc_lo, s8, v24
	s_wait_alu 0xfffd
	v_add_co_ci_u32_e64 v35, null, s9, v25, vcc_lo
	;; [unrolled: 3-line block ×3, first 2 shown]
	s_clause 0x5
	global_load_b128 v[22:25], v[26:27], off offset:16
	global_load_b128 v[26:29], v[26:27], off
	global_load_b128 v[30:33], v[34:35], off offset:16
	global_load_b128 v[34:37], v[34:35], off
	;; [unrolled: 2-line block ×3, first 2 shown]
	v_mov_b32_e32 v55, v10
	s_wait_loadcnt 0x6
	v_subrev_nc_u32_e32 v8, s12, v12
	s_delay_alu instid0(VALU_DEP_1) | instskip(NEXT) | instid1(VALU_DEP_1)
	v_lshl_add_u32 v54, v8, 2, v8
	v_lshlrev_b64_e32 v[46:47], 3, v[54:55]
	s_delay_alu instid0(VALU_DEP_1) | instskip(SKIP_1) | instid1(VALU_DEP_2)
	v_add_co_u32 v46, vcc_lo, s10, v46
	s_wait_alu 0xfffd
	v_add_co_ci_u32_e64 v47, null, s11, v47, vcc_lo
	global_load_b64 v[62:63], v[46:47], off
	s_wait_loadcnt 0x0
	v_dual_fmac_f32 v14, v25, v62 :: v_dual_add_nc_u32 v11, 32, v11
	v_fmac_f32_e32 v16, v29, v62
	v_add_nc_u32_e32 v9, 1, v54
	v_fmac_f32_e32 v18, v26, v62
	v_fmac_f32_e32 v20, v22, v62
	;; [unrolled: 1-line block ×4, first 2 shown]
	v_lshlrev_b64_e32 v[48:49], 3, v[9:10]
	v_add_nc_u32_e32 v9, -8, v7
	v_fma_f32 v12, -v27, v63, v18
	v_fma_f32 v20, -v23, v63, v20
	s_delay_alu instid0(VALU_DEP_3) | instskip(SKIP_4) | instid1(VALU_DEP_3)
	v_lshlrev_b64_e32 v[50:51], 3, v[9:10]
	v_add_nc_u32_e32 v9, 2, v54
	v_add_co_u32 v46, vcc_lo, s10, v48
	s_wait_alu 0xfffd
	v_add_co_ci_u32_e64 v47, null, s11, v49, vcc_lo
	v_lshlrev_b64_e32 v[48:49], 3, v[9:10]
	v_add_co_u32 v50, vcc_lo, s8, v50
	global_load_b64 v[64:65], v[46:47], off
	s_wait_alu 0xfffd
	v_add_co_ci_u32_e64 v51, null, s9, v51, vcc_lo
	v_add_co_u32 v57, vcc_lo, s10, v48
	s_wait_alu 0xfffd
	v_add_co_ci_u32_e64 v58, null, s11, v49, vcc_lo
	s_clause 0x1
	global_load_b128 v[46:49], v[50:51], off offset:16
	global_load_b128 v[50:53], v[50:51], off
	v_add_nc_u32_e32 v9, -4, v7
	v_fmac_f32_e32 v13, v27, v62
	global_load_b64 v[66:67], v[57:58], off
	s_wait_loadcnt 0x3
	v_dual_fmac_f32 v20, v38, v64 :: v_dual_add_nc_u32 v7, 0x280, v7
	v_fmac_f32_e32 v12, v42, v64
	v_dual_fmac_f32 v14, v41, v64 :: v_dual_fmac_f32 v13, v26, v63
	v_lshlrev_b64_e32 v[55:56], 3, v[9:10]
	s_delay_alu instid0(VALU_DEP_4) | instskip(NEXT) | instid1(VALU_DEP_4)
	v_fma_f32 v20, -v39, v65, v20
	v_fma_f32 v12, -v43, v65, v12
	s_delay_alu instid0(VALU_DEP_4)
	v_dual_fmac_f32 v14, v40, v65 :: v_dual_fmac_f32 v13, v43, v64
	v_fmac_f32_e32 v16, v45, v64
	v_add_co_u32 v68, vcc_lo, s8, v55
	s_wait_loadcnt 0x0
	v_fmac_f32_e32 v12, v50, v66
	s_wait_alu 0xfffd
	v_add_co_ci_u32_e64 v69, null, s9, v56, vcc_lo
	v_dual_fmac_f32 v15, v23, v62 :: v_dual_fmac_f32 v16, v44, v65
	s_delay_alu instid0(VALU_DEP_3) | instskip(SKIP_2) | instid1(VALU_DEP_4)
	v_fma_f32 v12, -v51, v67, v12
	v_fmac_f32_e32 v21, v28, v62
	v_dual_fmac_f32 v13, v42, v65 :: v_dual_fmac_f32 v14, v49, v66
	v_fmac_f32_e32 v16, v53, v66
	v_fmac_f32_e32 v20, v46, v66
	s_delay_alu instid0(VALU_DEP_4) | instskip(SKIP_3) | instid1(VALU_DEP_4)
	v_fma_f32 v18, -v29, v63, v21
	v_add_nc_u32_e32 v9, 3, v54
	v_dual_fmac_f32 v13, v51, v66 :: v_dual_fmac_f32 v14, v48, v67
	v_fmac_f32_e32 v16, v52, v67
	v_fmac_f32_e32 v18, v44, v64
	s_delay_alu instid0(VALU_DEP_4) | instskip(SKIP_2) | instid1(VALU_DEP_4)
	v_lshlrev_b64_e32 v[59:60], 3, v[9:10]
	v_add_nc_u32_e32 v9, 4, v54
	v_fma_f32 v20, -v47, v67, v20
	v_fma_f32 v18, -v45, v65, v18
	v_fmac_f32_e32 v15, v22, v63
	v_add_co_u32 v70, vcc_lo, s10, v59
	s_wait_alu 0xfffd
	v_add_co_ci_u32_e64 v71, null, s11, v60, vcc_lo
	s_clause 0x1
	global_load_b128 v[54:57], v[68:69], off offset:16
	global_load_b128 v[58:61], v[68:69], off
	global_load_b64 v[68:69], v[70:71], off
	v_lshlrev_b64_e32 v[8:9], 3, v[9:10]
	v_dual_fmac_f32 v18, v52, v66 :: v_dual_fmac_f32 v15, v39, v64
	v_fmac_f32_e32 v19, v24, v62
	v_fmac_f32_e32 v13, v50, v67
	s_delay_alu instid0(VALU_DEP_4)
	v_add_co_u32 v8, vcc_lo, s10, v8
	s_wait_alu 0xfffd
	v_add_co_ci_u32_e64 v9, null, s11, v9, vcc_lo
	v_fmac_f32_e32 v15, v38, v65
	v_fma_f32 v18, -v53, v67, v18
	v_cmp_ge_i32_e32 vcc_lo, v11, v17
	global_load_b64 v[8:9], v[8:9], off
	v_fmac_f32_e32 v15, v47, v66
	s_wait_alu 0xfffe
	s_or_b32 s4, vcc_lo, s4
	s_wait_loadcnt 0x1
	v_fmac_f32_e32 v16, v61, v68
	v_fma_f32 v19, -v25, v63, v19
	v_dual_fmac_f32 v18, v60, v68 :: v_dual_fmac_f32 v15, v46, v67
	v_fmac_f32_e32 v14, v57, v68
	v_fmac_f32_e32 v13, v59, v68
	s_delay_alu instid0(VALU_DEP_4)
	v_fmac_f32_e32 v19, v40, v64
	v_fmac_f32_e32 v20, v54, v68
	;; [unrolled: 1-line block ×5, first 2 shown]
	v_fma_f32 v19, -v41, v65, v19
	v_fmac_f32_e32 v13, v58, v69
	v_fma_f32 v21, -v61, v69, v18
	s_wait_loadcnt 0x0
	v_fmac_f32_e32 v16, v37, v8
	v_fmac_f32_e32 v15, v55, v68
	;; [unrolled: 1-line block ×3, first 2 shown]
	v_fma_f32 v12, -v59, v69, v12
	v_fma_f32 v20, -v55, v69, v20
	v_fmac_f32_e32 v16, v36, v9
	v_dual_fmac_f32 v15, v54, v69 :: v_dual_fmac_f32 v14, v33, v8
	v_fma_f32 v19, -v49, v67, v19
	v_fmac_f32_e32 v12, v34, v8
	v_fmac_f32_e32 v13, v35, v8
	;; [unrolled: 1-line block ×6, first 2 shown]
	v_fma_f32 v18, -v35, v9, v12
	v_fma_f32 v21, -v37, v9, v21
	;; [unrolled: 1-line block ×4, first 2 shown]
	v_fmac_f32_e32 v15, v30, v9
	v_fmac_f32_e32 v14, v32, v9
	;; [unrolled: 1-line block ×3, first 2 shown]
	s_delay_alu instid0(VALU_DEP_4) | instskip(NEXT) | instid1(VALU_DEP_1)
	v_fmac_f32_e32 v19, v32, v8
	v_fma_f32 v19, -v33, v9, v19
	s_wait_alu 0xfffe
	s_and_not1_b32 exec_lo, exec_lo, s4
	s_cbranch_execnz .LBB92_7
; %bb.8:
	s_or_b32 exec_lo, exec_lo, s4
.LBB92_9:
	s_wait_alu 0xfffe
	s_or_b32 exec_lo, exec_lo, s3
	s_cbranch_execz .LBB92_11
	s_branch .LBB92_16
.LBB92_10:
                                        ; implicit-def: $vgpr13
                                        ; implicit-def: $vgpr18
                                        ; implicit-def: $vgpr19
                                        ; implicit-def: $vgpr14
                                        ; implicit-def: $vgpr20
                                        ; implicit-def: $vgpr15
                                        ; implicit-def: $vgpr21
                                        ; implicit-def: $vgpr16
.LBB92_11:
	v_dual_mov_b32 v13, 0 :: v_dual_mov_b32 v18, 0
	v_dual_mov_b32 v19, 0 :: v_dual_mov_b32 v14, 0
	;; [unrolled: 1-line block ×4, first 2 shown]
	s_and_saveexec_b32 s3, s2
	s_cbranch_execz .LBB92_15
; %bb.12:
	v_mad_co_u64_u32 v[8:9], null, v6, 20, 19
	v_dual_mov_b32 v11, 0 :: v_dual_mov_b32 v18, 0
	v_dual_mov_b32 v13, 0 :: v_dual_mov_b32 v14, 0
	v_dual_mov_b32 v19, 0 :: v_dual_mov_b32 v20, 0
	v_dual_mov_b32 v15, 0 :: v_dual_mov_b32 v16, 0
	v_mov_b32_e32 v21, 0
	s_mov_b32 s2, 0
.LBB92_13:                              ; =>This Inner Loop Header: Depth=1
	v_ashrrev_i32_e32 v7, 31, v6
	v_dual_mov_b32 v31, v11 :: v_dual_add_nc_u32 v22, -14, v8
	v_dual_mov_b32 v23, v11 :: v_dual_add_nc_u32 v24, -9, v8
	s_delay_alu instid0(VALU_DEP_3) | instskip(SKIP_1) | instid1(VALU_DEP_3)
	v_lshlrev_b64_e32 v[9:10], 2, v[6:7]
	v_dual_mov_b32 v25, v11 :: v_dual_add_nc_u32 v26, -4, v8
	v_lshlrev_b64_e32 v[22:23], 3, v[22:23]
	s_delay_alu instid0(VALU_DEP_3) | instskip(SKIP_1) | instid1(VALU_DEP_4)
	v_add_co_u32 v9, vcc_lo, s6, v9
	s_wait_alu 0xfffd
	v_add_co_ci_u32_e64 v10, null, s7, v10, vcc_lo
	v_lshlrev_b64_e32 v[24:25], 3, v[24:25]
	global_load_b32 v7, v[9:10], off
	v_subrev_nc_u32_e32 v10, 19, v8
	v_mov_b32_e32 v9, v11
	s_delay_alu instid0(VALU_DEP_2) | instskip(NEXT) | instid1(VALU_DEP_2)
	v_lshlrev_b64_e32 v[28:29], 3, v[10:11]
	v_lshlrev_b64_e32 v[9:10], 3, v[8:9]
	s_delay_alu instid0(VALU_DEP_2) | instskip(SKIP_1) | instid1(VALU_DEP_3)
	v_add_co_u32 v28, vcc_lo, s8, v28
	s_wait_alu 0xfffd
	v_add_co_ci_u32_e64 v29, null, s9, v29, vcc_lo
	v_add_co_u32 v32, vcc_lo, s8, v22
	s_wait_alu 0xfffd
	v_add_co_ci_u32_e64 v33, null, s9, v23, vcc_lo
	;; [unrolled: 3-line block ×3, first 2 shown]
	s_wait_loadcnt 0x0
	v_subrev_nc_u32_e32 v7, s12, v7
	s_delay_alu instid0(VALU_DEP_1) | instskip(SKIP_1) | instid1(VALU_DEP_2)
	v_lshl_add_u32 v30, v7, 2, v7
	v_mov_b32_e32 v27, v11
	v_lshlrev_b64_e32 v[40:41], 3, v[30:31]
	s_delay_alu instid0(VALU_DEP_2) | instskip(NEXT) | instid1(VALU_DEP_1)
	v_lshlrev_b64_e32 v[26:27], 3, v[26:27]
	v_add_co_u32 v36, vcc_lo, s8, v26
	s_wait_alu 0xfffd
	s_delay_alu instid0(VALU_DEP_2)
	v_add_co_ci_u32_e64 v37, null, s9, v27, vcc_lo
	v_add_co_u32 v38, vcc_lo, s8, v9
	s_wait_alu 0xfffd
	v_add_co_ci_u32_e64 v39, null, s9, v10, vcc_lo
	v_add_co_u32 v40, vcc_lo, s10, v40
	s_wait_alu 0xfffd
	v_add_co_ci_u32_e64 v41, null, s11, v41, vcc_lo
	s_clause 0x4
	global_load_b128 v[22:25], v[28:29], off offset:16
	global_load_b128 v[26:29], v[28:29], off
	global_load_b64 v[32:33], v[32:33], off
	global_load_b64 v[34:35], v[34:35], off
	;; [unrolled: 1-line block ×3, first 2 shown]
	v_add_nc_u32_e32 v10, 1, v30
	global_load_b64 v[40:41], v[40:41], off
	v_lshlrev_b64_e32 v[42:43], 3, v[10:11]
	v_add_nc_u32_e32 v10, -13, v8
	s_delay_alu instid0(VALU_DEP_2) | instskip(SKIP_1) | instid1(VALU_DEP_3)
	v_add_co_u32 v42, vcc_lo, s10, v42
	s_wait_alu 0xfffd
	v_add_co_ci_u32_e64 v43, null, s11, v43, vcc_lo
	s_delay_alu instid0(VALU_DEP_3)
	v_lshlrev_b64_e32 v[44:45], 3, v[10:11]
	global_load_b64 v[42:43], v[42:43], off
	v_add_nc_u32_e32 v6, 32, v6
	v_add_co_u32 v44, vcc_lo, s8, v44
	s_wait_alu 0xfffd
	v_add_co_ci_u32_e64 v45, null, s9, v45, vcc_lo
	global_load_b64 v[44:45], v[44:45], off
	s_wait_loadcnt 0x2
	v_fmac_f32_e32 v13, v27, v40
	v_add_nc_u32_e32 v10, -8, v8
	v_fmac_f32_e32 v15, v35, v40
	v_fmac_f32_e32 v21, v32, v40
	;; [unrolled: 1-line block ×4, first 2 shown]
	v_lshlrev_b64_e32 v[46:47], 3, v[10:11]
	v_dual_fmac_f32 v15, v34, v41 :: v_dual_add_nc_u32 v10, -3, v8
	v_fma_f32 v12, -v33, v41, v21
	v_fma_f32 v19, -v37, v41, v19
	s_delay_alu instid0(VALU_DEP_3) | instskip(SKIP_4) | instid1(VALU_DEP_3)
	v_lshlrev_b64_e32 v[48:49], 3, v[10:11]
	v_add_nc_u32_e32 v10, 2, v30
	v_add_co_u32 v46, vcc_lo, s8, v46
	s_wait_alu 0xfffd
	v_add_co_ci_u32_e64 v47, null, s9, v47, vcc_lo
	v_lshlrev_b64_e32 v[50:51], 3, v[10:11]
	v_add_co_u32 v48, vcc_lo, s8, v48
	s_wait_alu 0xfffd
	v_add_co_ci_u32_e64 v49, null, s9, v49, vcc_lo
	global_load_b64 v[46:47], v[46:47], off
	v_add_co_u32 v50, vcc_lo, s10, v50
	s_wait_alu 0xfffd
	v_add_co_ci_u32_e64 v51, null, s11, v51, vcc_lo
	global_load_b64 v[48:49], v[48:49], off
	s_wait_loadcnt 0x3
	v_fmac_f32_e32 v13, v29, v42
	global_load_b64 v[50:51], v[50:51], off
	v_dual_fmac_f32 v18, v26, v40 :: v_dual_fmac_f32 v13, v28, v43
	s_delay_alu instid0(VALU_DEP_1) | instskip(NEXT) | instid1(VALU_DEP_1)
	v_fma_f32 v7, -v27, v41, v18
	v_dual_fmac_f32 v7, v28, v42 :: v_dual_add_nc_u32 v10, -12, v8
	s_delay_alu instid0(VALU_DEP_1) | instskip(SKIP_1) | instid1(VALU_DEP_3)
	v_lshlrev_b64_e32 v[52:53], 3, v[10:11]
	v_add_nc_u32_e32 v10, -7, v8
	v_fma_f32 v7, -v29, v43, v7
	s_delay_alu instid0(VALU_DEP_2) | instskip(SKIP_4) | instid1(VALU_DEP_3)
	v_lshlrev_b64_e32 v[54:55], 3, v[10:11]
	v_add_nc_u32_e32 v10, -2, v8
	v_add_co_u32 v52, vcc_lo, s8, v52
	s_wait_alu 0xfffd
	v_add_co_ci_u32_e64 v53, null, s9, v53, vcc_lo
	v_lshlrev_b64_e32 v[56:57], 3, v[10:11]
	v_add_co_u32 v54, vcc_lo, s8, v54
	s_wait_alu 0xfffd
	v_add_co_ci_u32_e64 v55, null, s9, v55, vcc_lo
	global_load_b64 v[52:53], v[52:53], off
	v_add_co_u32 v56, vcc_lo, s8, v56
	s_wait_alu 0xfffd
	v_add_co_ci_u32_e64 v57, null, s9, v57, vcc_lo
	global_load_b64 v[54:55], v[54:55], off
	v_add_nc_u32_e32 v10, 3, v30
	global_load_b64 v[56:57], v[56:57], off
	v_lshlrev_b64_e32 v[58:59], 3, v[10:11]
	v_add_nc_u32_e32 v10, -11, v8
	s_delay_alu instid0(VALU_DEP_2) | instskip(SKIP_1) | instid1(VALU_DEP_3)
	v_add_co_u32 v58, vcc_lo, s10, v58
	s_wait_alu 0xfffd
	v_add_co_ci_u32_e64 v59, null, s11, v59, vcc_lo
	global_load_b64 v[58:59], v[58:59], off
	s_wait_loadcnt 0x6
	v_fmac_f32_e32 v15, v47, v42
	v_lshlrev_b64_e32 v[60:61], 3, v[10:11]
	s_wait_loadcnt 0x5
	v_dual_fmac_f32 v19, v48, v42 :: v_dual_add_nc_u32 v10, -6, v8
	s_delay_alu instid0(VALU_DEP_3) | instskip(NEXT) | instid1(VALU_DEP_2)
	v_fmac_f32_e32 v15, v46, v43
	v_lshlrev_b64_e32 v[62:63], 3, v[10:11]
	v_add_nc_u32_e32 v10, -1, v8
	v_add_co_u32 v60, vcc_lo, s8, v60
	s_wait_loadcnt 0x4
	v_fmac_f32_e32 v7, v22, v50
	v_fmac_f32_e32 v13, v23, v50
	v_lshlrev_b64_e32 v[64:65], 3, v[10:11]
	v_add_nc_u32_e32 v10, -15, v8
	s_wait_alu 0xfffd
	v_add_co_ci_u32_e64 v61, null, s9, v61, vcc_lo
	v_add_co_u32 v62, vcc_lo, s8, v62
	s_delay_alu instid0(VALU_DEP_3)
	v_lshlrev_b64_e32 v[66:67], 3, v[10:11]
	v_dual_fmac_f32 v13, v22, v51 :: v_dual_add_nc_u32 v10, 4, v30
	s_wait_alu 0xfffd
	v_add_co_ci_u32_e64 v63, null, s9, v63, vcc_lo
	v_add_co_u32 v30, vcc_lo, s8, v64
	s_wait_alu 0xfffd
	v_add_co_ci_u32_e64 v31, null, s9, v65, vcc_lo
	v_lshlrev_b64_e32 v[64:65], 3, v[10:11]
	v_add_nc_u32_e32 v10, -10, v8
	v_add_co_u32 v66, vcc_lo, s8, v66
	s_wait_alu 0xfffd
	v_add_co_ci_u32_e64 v67, null, s9, v67, vcc_lo
	s_delay_alu instid0(VALU_DEP_4)
	v_add_co_u32 v64, vcc_lo, s10, v64
	v_fma_f32 v19, -v49, v43, v19
	s_wait_alu 0xfffd
	v_add_co_ci_u32_e64 v65, null, s11, v65, vcc_lo
	s_clause 0x2
	global_load_b64 v[60:61], v[60:61], off
	global_load_b64 v[62:63], v[62:63], off
	;; [unrolled: 1-line block ×3, first 2 shown]
	s_wait_loadcnt 0x5
	v_fmac_f32_e32 v15, v55, v50
	v_lshlrev_b64_e32 v[68:69], 3, v[10:11]
	s_wait_loadcnt 0x4
	v_dual_fmac_f32 v19, v56, v50 :: v_dual_add_nc_u32 v10, -5, v8
	global_load_b64 v[64:65], v[64:65], off
	global_load_b64 v[30:31], v[30:31], off
	v_fmac_f32_e32 v20, v34, v40
	v_lshlrev_b64_e32 v[9:10], 3, v[10:11]
	v_add_co_u32 v68, vcc_lo, s8, v68
	s_wait_alu 0xfffd
	v_add_co_ci_u32_e64 v69, null, s9, v69, vcc_lo
	v_fma_f32 v7, -v23, v51, v7
	s_delay_alu instid0(VALU_DEP_4)
	v_add_co_u32 v9, vcc_lo, s8, v9
	s_wait_alu 0xfffd
	v_add_co_ci_u32_e64 v10, null, s9, v10, vcc_lo
	s_clause 0x2
	global_load_b64 v[68:69], v[68:69], off
	global_load_b64 v[9:10], v[9:10], off
	;; [unrolled: 1-line block ×3, first 2 shown]
	s_wait_loadcnt 0x8
	v_dual_fmac_f32 v16, v33, v40 :: v_dual_fmac_f32 v7, v24, v58
	v_fmac_f32_e32 v13, v25, v58
	v_fmac_f32_e32 v14, v37, v40
	v_dual_fmac_f32 v15, v54, v51 :: v_dual_add_nc_u32 v8, 0x280, v8
	s_delay_alu instid0(VALU_DEP_4)
	v_fmac_f32_e32 v16, v32, v41
	v_fma_f32 v18, -v35, v41, v20
	v_fmac_f32_e32 v13, v24, v59
	v_fmac_f32_e32 v14, v36, v41
	v_fma_f32 v19, -v57, v51, v19
	v_fma_f32 v7, -v25, v59, v7
	v_fmac_f32_e32 v16, v45, v42
	v_fmac_f32_e32 v18, v46, v42
	v_cmp_ge_i32_e32 vcc_lo, v6, v17
	s_wait_alu 0xfffe
	s_or_b32 s2, vcc_lo, s2
	s_wait_loadcnt 0x6
	v_fmac_f32_e32 v15, v63, v58
	s_delay_alu instid0(VALU_DEP_1) | instskip(SKIP_2) | instid1(VALU_DEP_2)
	v_dual_fmac_f32 v12, v44, v42 :: v_dual_fmac_f32 v15, v62, v59
	s_wait_loadcnt 0x4
	v_dual_fmac_f32 v13, v67, v64 :: v_dual_fmac_f32 v14, v49, v42
	v_fma_f32 v12, -v45, v43, v12
	v_fma_f32 v18, -v47, v43, v18
	s_wait_loadcnt 0x3
	v_fmac_f32_e32 v19, v30, v58
	v_dual_fmac_f32 v7, v66, v64 :: v_dual_fmac_f32 v16, v44, v43
	v_dual_fmac_f32 v13, v66, v65 :: v_dual_fmac_f32 v14, v48, v43
	v_fmac_f32_e32 v18, v54, v50
	s_delay_alu instid0(VALU_DEP_4)
	v_fma_f32 v19, -v31, v59, v19
	v_fmac_f32_e32 v12, v52, v50
	s_wait_loadcnt 0x1
	v_dual_fmac_f32 v16, v53, v50 :: v_dual_fmac_f32 v15, v10, v64
	v_fmac_f32_e32 v14, v57, v50
	v_fma_f32 v18, -v55, v51, v18
	s_wait_loadcnt 0x0
	s_delay_alu instid0(VALU_DEP_3) | instskip(SKIP_3) | instid1(VALU_DEP_4)
	v_dual_fmac_f32 v16, v52, v51 :: v_dual_fmac_f32 v19, v38, v64
	v_fma_f32 v12, -v53, v51, v12
	v_fmac_f32_e32 v14, v56, v51
	v_dual_fmac_f32 v18, v62, v58 :: v_dual_fmac_f32 v15, v9, v65
	v_fmac_f32_e32 v16, v61, v58
	s_delay_alu instid0(VALU_DEP_4) | instskip(NEXT) | instid1(VALU_DEP_4)
	v_fmac_f32_e32 v12, v60, v58
	v_fmac_f32_e32 v14, v31, v58
	s_delay_alu instid0(VALU_DEP_4)
	v_fma_f32 v20, -v63, v59, v18
	v_fma_f32 v18, -v67, v65, v7
	v_fmac_f32_e32 v16, v60, v59
	v_fma_f32 v12, -v61, v59, v12
	v_fmac_f32_e32 v14, v30, v59
	v_fmac_f32_e32 v20, v9, v64
	v_fma_f32 v19, -v39, v65, v19
	v_fmac_f32_e32 v16, v69, v64
	v_fmac_f32_e32 v12, v68, v64
	v_fmac_f32_e32 v14, v39, v64
	v_fma_f32 v20, -v10, v65, v20
	s_delay_alu instid0(VALU_DEP_4) | instskip(NEXT) | instid1(VALU_DEP_4)
	v_fmac_f32_e32 v16, v68, v65
	v_fma_f32 v21, -v69, v65, v12
	s_delay_alu instid0(VALU_DEP_4)
	v_fmac_f32_e32 v14, v38, v65
	s_wait_alu 0xfffe
	s_and_not1_b32 exec_lo, exec_lo, s2
	s_cbranch_execnz .LBB92_13
; %bb.14:
	s_or_b32 exec_lo, exec_lo, s2
.LBB92_15:
	s_wait_alu 0xfffe
	s_or_b32 exec_lo, exec_lo, s3
.LBB92_16:
	v_mbcnt_lo_u32_b32 v6, -1, 0
	s_delay_alu instid0(VALU_DEP_1) | instskip(SKIP_1) | instid1(VALU_DEP_2)
	v_xor_b32_e32 v7, 16, v6
	v_xor_b32_e32 v23, 8, v6
	v_cmp_gt_i32_e32 vcc_lo, 32, v7
	s_wait_alu 0xfffd
	v_cndmask_b32_e32 v7, v6, v7, vcc_lo
	s_delay_alu instid0(VALU_DEP_3) | instskip(NEXT) | instid1(VALU_DEP_2)
	v_cmp_gt_i32_e32 vcc_lo, 32, v23
	v_lshlrev_b32_e32 v7, 2, v7
	ds_bpermute_b32 v8, v7, v18
	s_wait_dscnt 0x0
	v_add_f32_e32 v8, v18, v8
	ds_bpermute_b32 v12, v7, v20
	ds_bpermute_b32 v9, v7, v13
	;; [unrolled: 1-line block ×7, first 2 shown]
	s_wait_dscnt 0x6
	s_wait_alu 0xfffd
	v_dual_cndmask_b32 v23, v6, v23 :: v_dual_add_f32 v12, v20, v12
	s_wait_dscnt 0x4
	s_delay_alu instid0(VALU_DEP_1)
	v_dual_add_f32 v10, v21, v10 :: v_dual_lshlrev_b32 v23, 2, v23
	v_add_f32_e32 v9, v13, v9
	s_wait_dscnt 0x0
	v_add_f32_e32 v7, v14, v7
	ds_bpermute_b32 v14, v23, v8
	s_wait_dscnt 0x0
	v_dual_add_f32 v8, v8, v14 :: v_dual_add_f32 v13, v15, v17
	ds_bpermute_b32 v17, v23, v10
	v_add_f32_e32 v15, v19, v22
	ds_bpermute_b32 v19, v23, v12
	v_add_f32_e32 v11, v16, v11
	ds_bpermute_b32 v20, v23, v13
	ds_bpermute_b32 v22, v23, v7
	;; [unrolled: 1-line block ×3, first 2 shown]
	s_wait_dscnt 0x4
	v_add_f32_e32 v10, v10, v17
	ds_bpermute_b32 v18, v23, v11
	s_wait_dscnt 0x4
	v_add_f32_e32 v12, v12, v19
	ds_bpermute_b32 v16, v23, v9
	v_xor_b32_e32 v23, 4, v6
	s_delay_alu instid0(VALU_DEP_1)
	v_cmp_gt_i32_e32 vcc_lo, 32, v23
	s_wait_dscnt 0x1
	v_add_f32_e32 v11, v11, v18
	s_wait_alu 0xfffd
	v_cndmask_b32_e32 v23, v6, v23, vcc_lo
	s_wait_dscnt 0x0
	v_add_f32_e32 v9, v9, v16
	s_delay_alu instid0(VALU_DEP_2)
	v_lshlrev_b32_e32 v23, 2, v23
	ds_bpermute_b32 v19, v23, v12
	ds_bpermute_b32 v16, v23, v9
	;; [unrolled: 1-line block ×3, first 2 shown]
	s_wait_dscnt 0x2
	v_add_f32_e32 v12, v12, v19
	s_wait_dscnt 0x1
	v_dual_add_f32 v14, v15, v21 :: v_dual_add_f32 v9, v9, v16
	s_wait_dscnt 0x0
	v_add_f32_e32 v16, v11, v18
	v_add_f32_e32 v7, v7, v22
	ds_bpermute_b32 v21, v23, v14
	s_wait_dscnt 0x0
	v_add_f32_e32 v18, v14, v21
	ds_bpermute_b32 v15, v23, v8
	ds_bpermute_b32 v17, v23, v10
	;; [unrolled: 1-line block ×3, first 2 shown]
	s_wait_dscnt 0x2
	v_dual_add_f32 v8, v8, v15 :: v_dual_add_f32 v13, v13, v20
	s_wait_dscnt 0x1
	v_add_f32_e32 v15, v10, v17
	s_wait_dscnt 0x0
	v_add_f32_e32 v19, v7, v22
	ds_bpermute_b32 v20, v23, v13
	v_xor_b32_e32 v23, 2, v6
	s_delay_alu instid0(VALU_DEP_1) | instskip(SKIP_2) | instid1(VALU_DEP_1)
	v_cmp_gt_i32_e32 vcc_lo, 32, v23
	s_wait_alu 0xfffd
	v_cndmask_b32_e32 v23, v6, v23, vcc_lo
	v_lshlrev_b32_e32 v23, 2, v23
	ds_bpermute_b32 v14, v23, v12
	ds_bpermute_b32 v7, v23, v8
	ds_bpermute_b32 v10, v23, v9
	ds_bpermute_b32 v11, v23, v15
	ds_bpermute_b32 v21, v23, v18
	ds_bpermute_b32 v22, v23, v19
	s_wait_dscnt 0x5
	v_dual_add_f32 v14, v12, v14 :: v_dual_add_f32 v17, v13, v20
	ds_bpermute_b32 v13, v23, v16
	s_wait_dscnt 0x3
	v_dual_add_f32 v10, v9, v10 :: v_dual_add_f32 v11, v15, v11
	s_wait_dscnt 0x1
	v_add_f32_e32 v9, v19, v22
	ds_bpermute_b32 v20, v23, v17
	v_xor_b32_e32 v23, 1, v6
	s_delay_alu instid0(VALU_DEP_1) | instskip(SKIP_3) | instid1(VALU_DEP_2)
	v_cmp_gt_i32_e32 vcc_lo, 32, v23
	s_wait_alu 0xfffd
	v_cndmask_b32_e32 v6, v6, v23, vcc_lo
	v_cmp_eq_u32_e32 vcc_lo, 31, v0
	v_dual_add_f32 v6, v8, v7 :: v_dual_lshlrev_b32 v23, 2, v6
	s_wait_dscnt 0x1
	v_add_f32_e32 v13, v16, v13
	v_add_f32_e32 v7, v18, v21
	s_wait_dscnt 0x0
	v_add_f32_e32 v15, v17, v20
	ds_bpermute_b32 v12, v23, v10
	ds_bpermute_b32 v8, v23, v6
	;; [unrolled: 1-line block ×8, first 2 shown]
	s_and_b32 exec_lo, exec_lo, vcc_lo
	s_cbranch_execz .LBB92_21
; %bb.17:
	s_load_b64 s[2:3], s[0:1], 0x38
	v_cmp_eq_f32_e32 vcc_lo, 0, v3
	v_cmp_eq_f32_e64 s0, 0, v4
	s_wait_dscnt 0x6
	v_add_f32_e32 v8, v6, v8
	s_wait_dscnt 0x0
	v_dual_add_f32 v12, v10, v12 :: v_dual_add_f32 v9, v9, v17
	v_dual_add_f32 v0, v11, v18 :: v_dual_add_f32 v11, v13, v19
	v_add_f32_e32 v6, v14, v20
	v_add_f32_e32 v10, v15, v21
	v_add_f32_e32 v7, v7, v16
	s_and_b32 s0, vcc_lo, s0
	s_wait_alu 0xfffe
	s_and_saveexec_b32 s1, s0
	s_wait_alu 0xfffe
	s_xor_b32 s0, exec_lo, s1
	s_cbranch_execz .LBB92_19
; %bb.18:
	v_dual_mul_f32 v14, v1, v12 :: v_dual_lshlrev_b32 v3, 2, v5
	v_mul_f32_e64 v13, v12, -v2
	v_mul_f32_e64 v15, v11, -v2
	v_mul_f32_e32 v16, v1, v11
	s_delay_alu instid0(VALU_DEP_4)
	v_ashrrev_i32_e32 v4, 31, v3
	v_mul_f32_e64 v17, v10, -v2
	v_mul_f32_e32 v18, v1, v10
	v_mul_f32_e64 v19, v9, -v2
	v_mul_f32_e32 v20, v1, v9
	v_lshlrev_b64_e32 v[3:4], 3, v[3:4]
	s_delay_alu instid0(VALU_DEP_4) | instskip(SKIP_1) | instid1(VALU_DEP_4)
	v_dual_fmac_f32 v13, v1, v8 :: v_dual_fmac_f32 v18, v2, v6
	v_dual_fmac_f32 v14, v2, v8 :: v_dual_fmac_f32 v17, v1, v6
	;; [unrolled: 1-line block ×3, first 2 shown]
	s_wait_kmcnt 0x0
	s_delay_alu instid0(VALU_DEP_4)
	v_add_co_u32 v3, vcc_lo, s2, v3
	s_wait_alu 0xfffd
	v_add_co_ci_u32_e64 v4, null, s3, v4, vcc_lo
	v_dual_fmac_f32 v16, v2, v0 :: v_dual_fmac_f32 v19, v1, v7
	s_clause 0x1
	global_store_b128 v[3:4], v[13:16], off
	global_store_b128 v[3:4], v[17:20], off offset:16
                                        ; implicit-def: $vgpr5
                                        ; implicit-def: $vgpr8
                                        ; implicit-def: $vgpr12
                                        ; implicit-def: $vgpr0
                                        ; implicit-def: $vgpr11
                                        ; implicit-def: $vgpr6
                                        ; implicit-def: $vgpr10
                                        ; implicit-def: $vgpr7
                                        ; implicit-def: $vgpr9
                                        ; implicit-def: $vgpr1_vgpr2
                                        ; implicit-def: $vgpr3_vgpr4
.LBB92_19:
	s_wait_alu 0xfffe
	s_and_not1_saveexec_b32 s0, s0
	s_cbranch_execz .LBB92_21
; %bb.20:
	v_dual_mul_f32 v22, v1, v12 :: v_dual_lshlrev_b32 v13, 2, v5
	v_mul_f32_e64 v5, v12, -v2
	v_mul_f32_e64 v23, v11, -v2
	;; [unrolled: 1-line block ×3, first 2 shown]
	s_delay_alu instid0(VALU_DEP_4) | instskip(NEXT) | instid1(VALU_DEP_4)
	v_ashrrev_i32_e32 v14, 31, v13
	v_fmac_f32_e32 v5, v1, v8
	s_delay_alu instid0(VALU_DEP_2) | instskip(SKIP_1) | instid1(VALU_DEP_1)
	v_lshlrev_b64_e32 v[13:14], 3, v[13:14]
	s_wait_kmcnt 0x0
	v_add_co_u32 v25, vcc_lo, s2, v13
	s_wait_alu 0xfffd
	s_delay_alu instid0(VALU_DEP_2)
	v_add_co_ci_u32_e64 v26, null, s3, v14, vcc_lo
	s_clause 0x1
	global_load_b128 v[13:16], v[25:26], off
	global_load_b128 v[17:20], v[25:26], off offset:16
	v_mul_f32_e32 v24, v1, v11
	v_mul_f32_e64 v11, v10, -v2
	s_delay_alu instid0(VALU_DEP_1) | instskip(SKIP_1) | instid1(VALU_DEP_1)
	v_dual_fmac_f32 v22, v2, v8 :: v_dual_fmac_f32 v11, v1, v6
	s_wait_loadcnt 0x1
	v_dual_fmac_f32 v27, v1, v7 :: v_dual_fmac_f32 v22, v4, v13
	s_wait_loadcnt 0x0
	s_delay_alu instid0(VALU_DEP_1) | instskip(SKIP_3) | instid1(VALU_DEP_4)
	v_dual_mul_f32 v12, v1, v9 :: v_dual_fmac_f32 v27, v3, v19
	v_fmac_f32_e32 v23, v1, v0
	v_fmac_f32_e32 v11, v3, v17
	;; [unrolled: 1-line block ×4, first 2 shown]
	s_delay_alu instid0(VALU_DEP_4) | instskip(NEXT) | instid1(VALU_DEP_4)
	v_dual_mul_f32 v10, v1, v10 :: v_dual_fmac_f32 v23, v3, v15
	v_fma_f32 v9, -v4, v18, v11
	v_fma_f32 v11, -v4, v20, v27
	s_delay_alu instid0(VALU_DEP_4) | instskip(NEXT) | instid1(VALU_DEP_4)
	v_fmac_f32_e32 v12, v4, v19
	v_dual_fmac_f32 v10, v2, v6 :: v_dual_fmac_f32 v5, v3, v13
	v_fmac_f32_e32 v24, v2, v0
	v_fma_f32 v23, -v4, v16, v23
	s_delay_alu instid0(VALU_DEP_4) | instskip(NEXT) | instid1(VALU_DEP_4)
	v_fmac_f32_e32 v12, v3, v20
	v_fmac_f32_e32 v10, v4, v17
	v_fma_f32 v21, -v4, v14, v5
	v_fmac_f32_e32 v24, v4, v15
	s_delay_alu instid0(VALU_DEP_3) | instskip(NEXT) | instid1(VALU_DEP_2)
	v_fmac_f32_e32 v10, v3, v18
	v_fmac_f32_e32 v24, v3, v16
	s_clause 0x1
	global_store_b128 v[25:26], v[21:24], off
	global_store_b128 v[25:26], v[9:12], off offset:16
.LBB92_21:
	s_endpgm
	.section	.rodata,"a",@progbits
	.p2align	6, 0x0
	.amdhsa_kernel _ZN9rocsparseL19gebsrmvn_4xn_kernelILj128ELj5ELj32E21rocsparse_complex_numIfEEEvi20rocsparse_direction_NS_24const_host_device_scalarIT2_EEPKiS8_PKS5_SA_S6_PS5_21rocsparse_index_base_b
		.amdhsa_group_segment_fixed_size 0
		.amdhsa_private_segment_fixed_size 0
		.amdhsa_kernarg_size 72
		.amdhsa_user_sgpr_count 2
		.amdhsa_user_sgpr_dispatch_ptr 0
		.amdhsa_user_sgpr_queue_ptr 0
		.amdhsa_user_sgpr_kernarg_segment_ptr 1
		.amdhsa_user_sgpr_dispatch_id 0
		.amdhsa_user_sgpr_private_segment_size 0
		.amdhsa_wavefront_size32 1
		.amdhsa_uses_dynamic_stack 0
		.amdhsa_enable_private_segment 0
		.amdhsa_system_sgpr_workgroup_id_x 1
		.amdhsa_system_sgpr_workgroup_id_y 0
		.amdhsa_system_sgpr_workgroup_id_z 0
		.amdhsa_system_sgpr_workgroup_info 0
		.amdhsa_system_vgpr_workitem_id 0
		.amdhsa_next_free_vgpr 72
		.amdhsa_next_free_sgpr 14
		.amdhsa_reserve_vcc 1
		.amdhsa_float_round_mode_32 0
		.amdhsa_float_round_mode_16_64 0
		.amdhsa_float_denorm_mode_32 3
		.amdhsa_float_denorm_mode_16_64 3
		.amdhsa_fp16_overflow 0
		.amdhsa_workgroup_processor_mode 1
		.amdhsa_memory_ordered 1
		.amdhsa_forward_progress 1
		.amdhsa_inst_pref_size 35
		.amdhsa_round_robin_scheduling 0
		.amdhsa_exception_fp_ieee_invalid_op 0
		.amdhsa_exception_fp_denorm_src 0
		.amdhsa_exception_fp_ieee_div_zero 0
		.amdhsa_exception_fp_ieee_overflow 0
		.amdhsa_exception_fp_ieee_underflow 0
		.amdhsa_exception_fp_ieee_inexact 0
		.amdhsa_exception_int_div_zero 0
	.end_amdhsa_kernel
	.section	.text._ZN9rocsparseL19gebsrmvn_4xn_kernelILj128ELj5ELj32E21rocsparse_complex_numIfEEEvi20rocsparse_direction_NS_24const_host_device_scalarIT2_EEPKiS8_PKS5_SA_S6_PS5_21rocsparse_index_base_b,"axG",@progbits,_ZN9rocsparseL19gebsrmvn_4xn_kernelILj128ELj5ELj32E21rocsparse_complex_numIfEEEvi20rocsparse_direction_NS_24const_host_device_scalarIT2_EEPKiS8_PKS5_SA_S6_PS5_21rocsparse_index_base_b,comdat
.Lfunc_end92:
	.size	_ZN9rocsparseL19gebsrmvn_4xn_kernelILj128ELj5ELj32E21rocsparse_complex_numIfEEEvi20rocsparse_direction_NS_24const_host_device_scalarIT2_EEPKiS8_PKS5_SA_S6_PS5_21rocsparse_index_base_b, .Lfunc_end92-_ZN9rocsparseL19gebsrmvn_4xn_kernelILj128ELj5ELj32E21rocsparse_complex_numIfEEEvi20rocsparse_direction_NS_24const_host_device_scalarIT2_EEPKiS8_PKS5_SA_S6_PS5_21rocsparse_index_base_b
                                        ; -- End function
	.set _ZN9rocsparseL19gebsrmvn_4xn_kernelILj128ELj5ELj32E21rocsparse_complex_numIfEEEvi20rocsparse_direction_NS_24const_host_device_scalarIT2_EEPKiS8_PKS5_SA_S6_PS5_21rocsparse_index_base_b.num_vgpr, 72
	.set _ZN9rocsparseL19gebsrmvn_4xn_kernelILj128ELj5ELj32E21rocsparse_complex_numIfEEEvi20rocsparse_direction_NS_24const_host_device_scalarIT2_EEPKiS8_PKS5_SA_S6_PS5_21rocsparse_index_base_b.num_agpr, 0
	.set _ZN9rocsparseL19gebsrmvn_4xn_kernelILj128ELj5ELj32E21rocsparse_complex_numIfEEEvi20rocsparse_direction_NS_24const_host_device_scalarIT2_EEPKiS8_PKS5_SA_S6_PS5_21rocsparse_index_base_b.numbered_sgpr, 14
	.set _ZN9rocsparseL19gebsrmvn_4xn_kernelILj128ELj5ELj32E21rocsparse_complex_numIfEEEvi20rocsparse_direction_NS_24const_host_device_scalarIT2_EEPKiS8_PKS5_SA_S6_PS5_21rocsparse_index_base_b.num_named_barrier, 0
	.set _ZN9rocsparseL19gebsrmvn_4xn_kernelILj128ELj5ELj32E21rocsparse_complex_numIfEEEvi20rocsparse_direction_NS_24const_host_device_scalarIT2_EEPKiS8_PKS5_SA_S6_PS5_21rocsparse_index_base_b.private_seg_size, 0
	.set _ZN9rocsparseL19gebsrmvn_4xn_kernelILj128ELj5ELj32E21rocsparse_complex_numIfEEEvi20rocsparse_direction_NS_24const_host_device_scalarIT2_EEPKiS8_PKS5_SA_S6_PS5_21rocsparse_index_base_b.uses_vcc, 1
	.set _ZN9rocsparseL19gebsrmvn_4xn_kernelILj128ELj5ELj32E21rocsparse_complex_numIfEEEvi20rocsparse_direction_NS_24const_host_device_scalarIT2_EEPKiS8_PKS5_SA_S6_PS5_21rocsparse_index_base_b.uses_flat_scratch, 0
	.set _ZN9rocsparseL19gebsrmvn_4xn_kernelILj128ELj5ELj32E21rocsparse_complex_numIfEEEvi20rocsparse_direction_NS_24const_host_device_scalarIT2_EEPKiS8_PKS5_SA_S6_PS5_21rocsparse_index_base_b.has_dyn_sized_stack, 0
	.set _ZN9rocsparseL19gebsrmvn_4xn_kernelILj128ELj5ELj32E21rocsparse_complex_numIfEEEvi20rocsparse_direction_NS_24const_host_device_scalarIT2_EEPKiS8_PKS5_SA_S6_PS5_21rocsparse_index_base_b.has_recursion, 0
	.set _ZN9rocsparseL19gebsrmvn_4xn_kernelILj128ELj5ELj32E21rocsparse_complex_numIfEEEvi20rocsparse_direction_NS_24const_host_device_scalarIT2_EEPKiS8_PKS5_SA_S6_PS5_21rocsparse_index_base_b.has_indirect_call, 0
	.section	.AMDGPU.csdata,"",@progbits
; Kernel info:
; codeLenInByte = 4380
; TotalNumSgprs: 16
; NumVgprs: 72
; ScratchSize: 0
; MemoryBound: 0
; FloatMode: 240
; IeeeMode: 1
; LDSByteSize: 0 bytes/workgroup (compile time only)
; SGPRBlocks: 0
; VGPRBlocks: 8
; NumSGPRsForWavesPerEU: 16
; NumVGPRsForWavesPerEU: 72
; Occupancy: 16
; WaveLimiterHint : 1
; COMPUTE_PGM_RSRC2:SCRATCH_EN: 0
; COMPUTE_PGM_RSRC2:USER_SGPR: 2
; COMPUTE_PGM_RSRC2:TRAP_HANDLER: 0
; COMPUTE_PGM_RSRC2:TGID_X_EN: 1
; COMPUTE_PGM_RSRC2:TGID_Y_EN: 0
; COMPUTE_PGM_RSRC2:TGID_Z_EN: 0
; COMPUTE_PGM_RSRC2:TIDIG_COMP_CNT: 0
	.section	.text._ZN9rocsparseL19gebsrmvn_4xn_kernelILj128ELj5ELj64E21rocsparse_complex_numIfEEEvi20rocsparse_direction_NS_24const_host_device_scalarIT2_EEPKiS8_PKS5_SA_S6_PS5_21rocsparse_index_base_b,"axG",@progbits,_ZN9rocsparseL19gebsrmvn_4xn_kernelILj128ELj5ELj64E21rocsparse_complex_numIfEEEvi20rocsparse_direction_NS_24const_host_device_scalarIT2_EEPKiS8_PKS5_SA_S6_PS5_21rocsparse_index_base_b,comdat
	.globl	_ZN9rocsparseL19gebsrmvn_4xn_kernelILj128ELj5ELj64E21rocsparse_complex_numIfEEEvi20rocsparse_direction_NS_24const_host_device_scalarIT2_EEPKiS8_PKS5_SA_S6_PS5_21rocsparse_index_base_b ; -- Begin function _ZN9rocsparseL19gebsrmvn_4xn_kernelILj128ELj5ELj64E21rocsparse_complex_numIfEEEvi20rocsparse_direction_NS_24const_host_device_scalarIT2_EEPKiS8_PKS5_SA_S6_PS5_21rocsparse_index_base_b
	.p2align	8
	.type	_ZN9rocsparseL19gebsrmvn_4xn_kernelILj128ELj5ELj64E21rocsparse_complex_numIfEEEvi20rocsparse_direction_NS_24const_host_device_scalarIT2_EEPKiS8_PKS5_SA_S6_PS5_21rocsparse_index_base_b,@function
_ZN9rocsparseL19gebsrmvn_4xn_kernelILj128ELj5ELj64E21rocsparse_complex_numIfEEEvi20rocsparse_direction_NS_24const_host_device_scalarIT2_EEPKiS8_PKS5_SA_S6_PS5_21rocsparse_index_base_b: ; @_ZN9rocsparseL19gebsrmvn_4xn_kernelILj128ELj5ELj64E21rocsparse_complex_numIfEEEvi20rocsparse_direction_NS_24const_host_device_scalarIT2_EEPKiS8_PKS5_SA_S6_PS5_21rocsparse_index_base_b
; %bb.0:
	s_clause 0x2
	s_load_b64 s[12:13], s[0:1], 0x40
	s_load_b64 s[2:3], s[0:1], 0x8
	;; [unrolled: 1-line block ×3, first 2 shown]
	s_add_nc_u64 s[6:7], s[0:1], 8
	s_wait_kmcnt 0x0
	s_bitcmp1_b32 s13, 0
	s_cselect_b32 s2, s6, s2
	s_cselect_b32 s3, s7, s3
	s_delay_alu instid0(SALU_CYCLE_1)
	v_dual_mov_b32 v1, s2 :: v_dual_mov_b32 v2, s3
	s_add_nc_u64 s[2:3], s[0:1], 48
	s_wait_alu 0xfffe
	s_cselect_b32 s2, s2, s4
	s_cselect_b32 s3, s3, s5
	flat_load_b64 v[1:2], v[1:2]
	s_wait_alu 0xfffe
	v_dual_mov_b32 v3, s2 :: v_dual_mov_b32 v4, s3
	flat_load_b64 v[3:4], v[3:4]
	s_wait_loadcnt_dscnt 0x101
	v_cmp_eq_f32_e32 vcc_lo, 0, v1
	v_cmp_eq_f32_e64 s2, 0, v2
	s_and_b32 s4, vcc_lo, s2
	s_mov_b32 s2, -1
	s_and_saveexec_b32 s3, s4
	s_cbranch_execz .LBB93_2
; %bb.1:
	s_wait_loadcnt_dscnt 0x0
	v_cmp_neq_f32_e32 vcc_lo, 1.0, v3
	v_cmp_neq_f32_e64 s2, 0, v4
	s_wait_alu 0xfffe
	s_or_b32 s2, vcc_lo, s2
	s_wait_alu 0xfffe
	s_or_not1_b32 s2, s2, exec_lo
.LBB93_2:
	s_wait_alu 0xfffe
	s_or_b32 exec_lo, exec_lo, s3
	s_and_saveexec_b32 s3, s2
	s_cbranch_execz .LBB93_21
; %bb.3:
	s_load_b64 s[2:3], s[0:1], 0x0
	v_lshrrev_b32_e32 v5, 6, v0
	s_delay_alu instid0(VALU_DEP_1) | instskip(SKIP_1) | instid1(VALU_DEP_1)
	v_lshl_or_b32 v5, ttmp9, 1, v5
	s_wait_kmcnt 0x0
	v_cmp_gt_i32_e32 vcc_lo, s2, v5
	s_and_b32 exec_lo, exec_lo, vcc_lo
	s_cbranch_execz .LBB93_21
; %bb.4:
	s_load_b256 s[4:11], s[0:1], 0x10
	v_ashrrev_i32_e32 v6, 31, v5
	v_and_b32_e32 v0, 63, v0
	s_cmp_lg_u32 s3, 0
	s_delay_alu instid0(VALU_DEP_2) | instskip(SKIP_1) | instid1(VALU_DEP_1)
	v_lshlrev_b64_e32 v[6:7], 2, v[5:6]
	s_wait_kmcnt 0x0
	v_add_co_u32 v6, vcc_lo, s4, v6
	s_delay_alu instid0(VALU_DEP_1) | instskip(SKIP_4) | instid1(VALU_DEP_2)
	v_add_co_ci_u32_e64 v7, null, s5, v7, vcc_lo
	global_load_b64 v[6:7], v[6:7], off
	s_wait_loadcnt 0x0
	v_subrev_nc_u32_e32 v6, s12, v6
	v_subrev_nc_u32_e32 v17, s12, v7
	v_add_nc_u32_e32 v6, v6, v0
	s_delay_alu instid0(VALU_DEP_1)
	v_cmp_lt_i32_e64 s2, v6, v17
	s_cbranch_scc0 .LBB93_10
; %bb.5:
	v_dual_mov_b32 v13, 0 :: v_dual_mov_b32 v18, 0
	v_dual_mov_b32 v19, 0 :: v_dual_mov_b32 v14, 0
	;; [unrolled: 1-line block ×4, first 2 shown]
	s_and_saveexec_b32 s3, s2
	s_cbranch_execz .LBB93_9
; %bb.6:
	v_mad_co_u64_u32 v[7:8], null, v6, 20, 16
	v_dual_mov_b32 v10, 0 :: v_dual_mov_b32 v11, v6
	v_dual_mov_b32 v13, 0 :: v_dual_mov_b32 v18, 0
	;; [unrolled: 1-line block ×5, first 2 shown]
	s_mov_b32 s4, 0
.LBB93_7:                               ; =>This Inner Loop Header: Depth=1
	v_ashrrev_i32_e32 v12, 31, v11
	s_delay_alu instid0(VALU_DEP_1) | instskip(NEXT) | instid1(VALU_DEP_1)
	v_lshlrev_b64_e32 v[8:9], 2, v[11:12]
	v_add_co_u32 v8, vcc_lo, s6, v8
	s_wait_alu 0xfffd
	s_delay_alu instid0(VALU_DEP_2) | instskip(SKIP_2) | instid1(VALU_DEP_1)
	v_add_co_ci_u32_e64 v9, null, s7, v9, vcc_lo
	global_load_b32 v12, v[8:9], off
	v_dual_mov_b32 v8, v10 :: v_dual_add_nc_u32 v9, -16, v7
	v_lshlrev_b64_e32 v[22:23], 3, v[9:10]
	v_add_nc_u32_e32 v9, -12, v7
	s_delay_alu instid0(VALU_DEP_3) | instskip(NEXT) | instid1(VALU_DEP_2)
	v_lshlrev_b64_e32 v[24:25], 3, v[7:8]
	v_lshlrev_b64_e32 v[8:9], 3, v[9:10]
	s_delay_alu instid0(VALU_DEP_4) | instskip(SKIP_2) | instid1(VALU_DEP_4)
	v_add_co_u32 v26, vcc_lo, s8, v22
	s_wait_alu 0xfffd
	v_add_co_ci_u32_e64 v27, null, s9, v23, vcc_lo
	v_add_co_u32 v34, vcc_lo, s8, v24
	s_wait_alu 0xfffd
	v_add_co_ci_u32_e64 v35, null, s9, v25, vcc_lo
	;; [unrolled: 3-line block ×3, first 2 shown]
	s_clause 0x5
	global_load_b128 v[22:25], v[26:27], off offset:16
	global_load_b128 v[26:29], v[26:27], off
	global_load_b128 v[30:33], v[34:35], off offset:16
	global_load_b128 v[34:37], v[34:35], off
	;; [unrolled: 2-line block ×3, first 2 shown]
	v_mov_b32_e32 v55, v10
	s_wait_loadcnt 0x6
	v_subrev_nc_u32_e32 v8, s12, v12
	s_delay_alu instid0(VALU_DEP_1) | instskip(NEXT) | instid1(VALU_DEP_1)
	v_lshl_add_u32 v54, v8, 2, v8
	v_lshlrev_b64_e32 v[46:47], 3, v[54:55]
	s_delay_alu instid0(VALU_DEP_1) | instskip(SKIP_1) | instid1(VALU_DEP_2)
	v_add_co_u32 v46, vcc_lo, s10, v46
	s_wait_alu 0xfffd
	v_add_co_ci_u32_e64 v47, null, s11, v47, vcc_lo
	global_load_b64 v[62:63], v[46:47], off
	s_wait_loadcnt 0x0
	v_dual_fmac_f32 v14, v25, v62 :: v_dual_add_nc_u32 v11, 64, v11
	v_fmac_f32_e32 v16, v29, v62
	v_add_nc_u32_e32 v9, 1, v54
	v_fmac_f32_e32 v18, v26, v62
	v_fmac_f32_e32 v20, v22, v62
	v_fmac_f32_e32 v14, v24, v63
	v_fmac_f32_e32 v16, v28, v63
	v_lshlrev_b64_e32 v[48:49], 3, v[9:10]
	v_add_nc_u32_e32 v9, -8, v7
	v_fma_f32 v12, -v27, v63, v18
	v_fma_f32 v20, -v23, v63, v20
	s_delay_alu instid0(VALU_DEP_3) | instskip(SKIP_4) | instid1(VALU_DEP_3)
	v_lshlrev_b64_e32 v[50:51], 3, v[9:10]
	v_add_nc_u32_e32 v9, 2, v54
	v_add_co_u32 v46, vcc_lo, s10, v48
	s_wait_alu 0xfffd
	v_add_co_ci_u32_e64 v47, null, s11, v49, vcc_lo
	v_lshlrev_b64_e32 v[48:49], 3, v[9:10]
	v_add_co_u32 v50, vcc_lo, s8, v50
	global_load_b64 v[64:65], v[46:47], off
	s_wait_alu 0xfffd
	v_add_co_ci_u32_e64 v51, null, s9, v51, vcc_lo
	v_add_co_u32 v57, vcc_lo, s10, v48
	s_wait_alu 0xfffd
	v_add_co_ci_u32_e64 v58, null, s11, v49, vcc_lo
	s_clause 0x1
	global_load_b128 v[46:49], v[50:51], off offset:16
	global_load_b128 v[50:53], v[50:51], off
	v_add_nc_u32_e32 v9, -4, v7
	v_fmac_f32_e32 v13, v27, v62
	global_load_b64 v[66:67], v[57:58], off
	s_wait_loadcnt 0x3
	v_dual_fmac_f32 v20, v38, v64 :: v_dual_add_nc_u32 v7, 0x500, v7
	v_fmac_f32_e32 v12, v42, v64
	v_dual_fmac_f32 v14, v41, v64 :: v_dual_fmac_f32 v13, v26, v63
	v_lshlrev_b64_e32 v[55:56], 3, v[9:10]
	s_delay_alu instid0(VALU_DEP_4) | instskip(NEXT) | instid1(VALU_DEP_4)
	v_fma_f32 v20, -v39, v65, v20
	v_fma_f32 v12, -v43, v65, v12
	s_delay_alu instid0(VALU_DEP_4)
	v_dual_fmac_f32 v14, v40, v65 :: v_dual_fmac_f32 v13, v43, v64
	v_fmac_f32_e32 v16, v45, v64
	v_add_co_u32 v68, vcc_lo, s8, v55
	s_wait_loadcnt 0x0
	v_fmac_f32_e32 v12, v50, v66
	s_wait_alu 0xfffd
	v_add_co_ci_u32_e64 v69, null, s9, v56, vcc_lo
	v_dual_fmac_f32 v15, v23, v62 :: v_dual_fmac_f32 v16, v44, v65
	s_delay_alu instid0(VALU_DEP_3) | instskip(SKIP_2) | instid1(VALU_DEP_4)
	v_fma_f32 v12, -v51, v67, v12
	v_fmac_f32_e32 v21, v28, v62
	v_dual_fmac_f32 v13, v42, v65 :: v_dual_fmac_f32 v14, v49, v66
	v_fmac_f32_e32 v16, v53, v66
	v_fmac_f32_e32 v20, v46, v66
	s_delay_alu instid0(VALU_DEP_4) | instskip(SKIP_3) | instid1(VALU_DEP_4)
	v_fma_f32 v18, -v29, v63, v21
	v_add_nc_u32_e32 v9, 3, v54
	v_dual_fmac_f32 v13, v51, v66 :: v_dual_fmac_f32 v14, v48, v67
	v_fmac_f32_e32 v16, v52, v67
	v_fmac_f32_e32 v18, v44, v64
	s_delay_alu instid0(VALU_DEP_4) | instskip(SKIP_2) | instid1(VALU_DEP_4)
	v_lshlrev_b64_e32 v[59:60], 3, v[9:10]
	v_add_nc_u32_e32 v9, 4, v54
	v_fma_f32 v20, -v47, v67, v20
	v_fma_f32 v18, -v45, v65, v18
	v_fmac_f32_e32 v15, v22, v63
	v_add_co_u32 v70, vcc_lo, s10, v59
	s_wait_alu 0xfffd
	v_add_co_ci_u32_e64 v71, null, s11, v60, vcc_lo
	s_clause 0x1
	global_load_b128 v[54:57], v[68:69], off offset:16
	global_load_b128 v[58:61], v[68:69], off
	global_load_b64 v[68:69], v[70:71], off
	v_lshlrev_b64_e32 v[8:9], 3, v[9:10]
	v_dual_fmac_f32 v18, v52, v66 :: v_dual_fmac_f32 v15, v39, v64
	v_fmac_f32_e32 v19, v24, v62
	v_fmac_f32_e32 v13, v50, v67
	s_delay_alu instid0(VALU_DEP_4)
	v_add_co_u32 v8, vcc_lo, s10, v8
	s_wait_alu 0xfffd
	v_add_co_ci_u32_e64 v9, null, s11, v9, vcc_lo
	v_fmac_f32_e32 v15, v38, v65
	v_fma_f32 v18, -v53, v67, v18
	v_cmp_ge_i32_e32 vcc_lo, v11, v17
	global_load_b64 v[8:9], v[8:9], off
	v_fmac_f32_e32 v15, v47, v66
	s_wait_alu 0xfffe
	s_or_b32 s4, vcc_lo, s4
	s_wait_loadcnt 0x1
	v_fmac_f32_e32 v16, v61, v68
	v_fma_f32 v19, -v25, v63, v19
	v_dual_fmac_f32 v18, v60, v68 :: v_dual_fmac_f32 v15, v46, v67
	v_fmac_f32_e32 v14, v57, v68
	v_fmac_f32_e32 v13, v59, v68
	s_delay_alu instid0(VALU_DEP_4)
	v_fmac_f32_e32 v19, v40, v64
	v_fmac_f32_e32 v20, v54, v68
	;; [unrolled: 1-line block ×5, first 2 shown]
	v_fma_f32 v19, -v41, v65, v19
	v_fmac_f32_e32 v13, v58, v69
	v_fma_f32 v21, -v61, v69, v18
	s_wait_loadcnt 0x0
	v_fmac_f32_e32 v16, v37, v8
	v_fmac_f32_e32 v15, v55, v68
	;; [unrolled: 1-line block ×3, first 2 shown]
	v_fma_f32 v12, -v59, v69, v12
	v_fma_f32 v20, -v55, v69, v20
	v_fmac_f32_e32 v16, v36, v9
	v_dual_fmac_f32 v15, v54, v69 :: v_dual_fmac_f32 v14, v33, v8
	v_fma_f32 v19, -v49, v67, v19
	v_fmac_f32_e32 v12, v34, v8
	v_fmac_f32_e32 v13, v35, v8
	;; [unrolled: 1-line block ×6, first 2 shown]
	v_fma_f32 v18, -v35, v9, v12
	v_fma_f32 v21, -v37, v9, v21
	;; [unrolled: 1-line block ×4, first 2 shown]
	v_fmac_f32_e32 v15, v30, v9
	v_fmac_f32_e32 v14, v32, v9
	v_fmac_f32_e32 v13, v34, v9
	s_delay_alu instid0(VALU_DEP_4) | instskip(NEXT) | instid1(VALU_DEP_1)
	v_fmac_f32_e32 v19, v32, v8
	v_fma_f32 v19, -v33, v9, v19
	s_wait_alu 0xfffe
	s_and_not1_b32 exec_lo, exec_lo, s4
	s_cbranch_execnz .LBB93_7
; %bb.8:
	s_or_b32 exec_lo, exec_lo, s4
.LBB93_9:
	s_wait_alu 0xfffe
	s_or_b32 exec_lo, exec_lo, s3
	s_cbranch_execz .LBB93_11
	s_branch .LBB93_16
.LBB93_10:
                                        ; implicit-def: $vgpr13
                                        ; implicit-def: $vgpr18
                                        ; implicit-def: $vgpr19
                                        ; implicit-def: $vgpr14
                                        ; implicit-def: $vgpr20
                                        ; implicit-def: $vgpr15
                                        ; implicit-def: $vgpr21
                                        ; implicit-def: $vgpr16
.LBB93_11:
	v_dual_mov_b32 v13, 0 :: v_dual_mov_b32 v18, 0
	v_dual_mov_b32 v19, 0 :: v_dual_mov_b32 v14, 0
	v_dual_mov_b32 v20, 0 :: v_dual_mov_b32 v15, 0
	v_dual_mov_b32 v21, 0 :: v_dual_mov_b32 v16, 0
	s_and_saveexec_b32 s3, s2
	s_cbranch_execz .LBB93_15
; %bb.12:
	v_mad_co_u64_u32 v[8:9], null, v6, 20, 19
	v_dual_mov_b32 v11, 0 :: v_dual_mov_b32 v18, 0
	v_dual_mov_b32 v13, 0 :: v_dual_mov_b32 v14, 0
	;; [unrolled: 1-line block ×4, first 2 shown]
	v_mov_b32_e32 v21, 0
	s_mov_b32 s2, 0
.LBB93_13:                              ; =>This Inner Loop Header: Depth=1
	v_ashrrev_i32_e32 v7, 31, v6
	v_dual_mov_b32 v31, v11 :: v_dual_add_nc_u32 v22, -14, v8
	v_dual_mov_b32 v23, v11 :: v_dual_add_nc_u32 v24, -9, v8
	s_delay_alu instid0(VALU_DEP_3) | instskip(SKIP_1) | instid1(VALU_DEP_3)
	v_lshlrev_b64_e32 v[9:10], 2, v[6:7]
	v_dual_mov_b32 v25, v11 :: v_dual_add_nc_u32 v26, -4, v8
	v_lshlrev_b64_e32 v[22:23], 3, v[22:23]
	s_delay_alu instid0(VALU_DEP_3) | instskip(SKIP_1) | instid1(VALU_DEP_4)
	v_add_co_u32 v9, vcc_lo, s6, v9
	s_wait_alu 0xfffd
	v_add_co_ci_u32_e64 v10, null, s7, v10, vcc_lo
	v_lshlrev_b64_e32 v[24:25], 3, v[24:25]
	global_load_b32 v7, v[9:10], off
	v_subrev_nc_u32_e32 v10, 19, v8
	v_mov_b32_e32 v9, v11
	s_delay_alu instid0(VALU_DEP_2) | instskip(NEXT) | instid1(VALU_DEP_2)
	v_lshlrev_b64_e32 v[28:29], 3, v[10:11]
	v_lshlrev_b64_e32 v[9:10], 3, v[8:9]
	s_delay_alu instid0(VALU_DEP_2) | instskip(SKIP_1) | instid1(VALU_DEP_3)
	v_add_co_u32 v28, vcc_lo, s8, v28
	s_wait_alu 0xfffd
	v_add_co_ci_u32_e64 v29, null, s9, v29, vcc_lo
	v_add_co_u32 v32, vcc_lo, s8, v22
	s_wait_alu 0xfffd
	v_add_co_ci_u32_e64 v33, null, s9, v23, vcc_lo
	;; [unrolled: 3-line block ×3, first 2 shown]
	s_wait_loadcnt 0x0
	v_subrev_nc_u32_e32 v7, s12, v7
	s_delay_alu instid0(VALU_DEP_1) | instskip(SKIP_1) | instid1(VALU_DEP_2)
	v_lshl_add_u32 v30, v7, 2, v7
	v_mov_b32_e32 v27, v11
	v_lshlrev_b64_e32 v[40:41], 3, v[30:31]
	s_delay_alu instid0(VALU_DEP_2) | instskip(NEXT) | instid1(VALU_DEP_1)
	v_lshlrev_b64_e32 v[26:27], 3, v[26:27]
	v_add_co_u32 v36, vcc_lo, s8, v26
	s_wait_alu 0xfffd
	s_delay_alu instid0(VALU_DEP_2)
	v_add_co_ci_u32_e64 v37, null, s9, v27, vcc_lo
	v_add_co_u32 v38, vcc_lo, s8, v9
	s_wait_alu 0xfffd
	v_add_co_ci_u32_e64 v39, null, s9, v10, vcc_lo
	v_add_co_u32 v40, vcc_lo, s10, v40
	s_wait_alu 0xfffd
	v_add_co_ci_u32_e64 v41, null, s11, v41, vcc_lo
	s_clause 0x4
	global_load_b128 v[22:25], v[28:29], off offset:16
	global_load_b128 v[26:29], v[28:29], off
	global_load_b64 v[32:33], v[32:33], off
	global_load_b64 v[34:35], v[34:35], off
	;; [unrolled: 1-line block ×3, first 2 shown]
	v_add_nc_u32_e32 v10, 1, v30
	global_load_b64 v[40:41], v[40:41], off
	v_lshlrev_b64_e32 v[42:43], 3, v[10:11]
	v_add_nc_u32_e32 v10, -13, v8
	s_delay_alu instid0(VALU_DEP_2) | instskip(SKIP_1) | instid1(VALU_DEP_3)
	v_add_co_u32 v42, vcc_lo, s10, v42
	s_wait_alu 0xfffd
	v_add_co_ci_u32_e64 v43, null, s11, v43, vcc_lo
	s_delay_alu instid0(VALU_DEP_3)
	v_lshlrev_b64_e32 v[44:45], 3, v[10:11]
	global_load_b64 v[42:43], v[42:43], off
	v_add_nc_u32_e32 v6, 64, v6
	v_add_co_u32 v44, vcc_lo, s8, v44
	s_wait_alu 0xfffd
	v_add_co_ci_u32_e64 v45, null, s9, v45, vcc_lo
	global_load_b64 v[44:45], v[44:45], off
	s_wait_loadcnt 0x2
	v_fmac_f32_e32 v13, v27, v40
	v_add_nc_u32_e32 v10, -8, v8
	v_fmac_f32_e32 v15, v35, v40
	v_fmac_f32_e32 v21, v32, v40
	;; [unrolled: 1-line block ×4, first 2 shown]
	v_lshlrev_b64_e32 v[46:47], 3, v[10:11]
	v_dual_fmac_f32 v15, v34, v41 :: v_dual_add_nc_u32 v10, -3, v8
	v_fma_f32 v12, -v33, v41, v21
	v_fma_f32 v19, -v37, v41, v19
	s_delay_alu instid0(VALU_DEP_3) | instskip(SKIP_4) | instid1(VALU_DEP_3)
	v_lshlrev_b64_e32 v[48:49], 3, v[10:11]
	v_add_nc_u32_e32 v10, 2, v30
	v_add_co_u32 v46, vcc_lo, s8, v46
	s_wait_alu 0xfffd
	v_add_co_ci_u32_e64 v47, null, s9, v47, vcc_lo
	v_lshlrev_b64_e32 v[50:51], 3, v[10:11]
	v_add_co_u32 v48, vcc_lo, s8, v48
	s_wait_alu 0xfffd
	v_add_co_ci_u32_e64 v49, null, s9, v49, vcc_lo
	global_load_b64 v[46:47], v[46:47], off
	v_add_co_u32 v50, vcc_lo, s10, v50
	s_wait_alu 0xfffd
	v_add_co_ci_u32_e64 v51, null, s11, v51, vcc_lo
	global_load_b64 v[48:49], v[48:49], off
	s_wait_loadcnt 0x3
	v_fmac_f32_e32 v13, v29, v42
	global_load_b64 v[50:51], v[50:51], off
	v_dual_fmac_f32 v18, v26, v40 :: v_dual_fmac_f32 v13, v28, v43
	s_delay_alu instid0(VALU_DEP_1) | instskip(NEXT) | instid1(VALU_DEP_1)
	v_fma_f32 v7, -v27, v41, v18
	v_dual_fmac_f32 v7, v28, v42 :: v_dual_add_nc_u32 v10, -12, v8
	s_delay_alu instid0(VALU_DEP_1) | instskip(SKIP_1) | instid1(VALU_DEP_3)
	v_lshlrev_b64_e32 v[52:53], 3, v[10:11]
	v_add_nc_u32_e32 v10, -7, v8
	v_fma_f32 v7, -v29, v43, v7
	s_delay_alu instid0(VALU_DEP_2) | instskip(SKIP_4) | instid1(VALU_DEP_3)
	v_lshlrev_b64_e32 v[54:55], 3, v[10:11]
	v_add_nc_u32_e32 v10, -2, v8
	v_add_co_u32 v52, vcc_lo, s8, v52
	s_wait_alu 0xfffd
	v_add_co_ci_u32_e64 v53, null, s9, v53, vcc_lo
	v_lshlrev_b64_e32 v[56:57], 3, v[10:11]
	v_add_co_u32 v54, vcc_lo, s8, v54
	s_wait_alu 0xfffd
	v_add_co_ci_u32_e64 v55, null, s9, v55, vcc_lo
	global_load_b64 v[52:53], v[52:53], off
	v_add_co_u32 v56, vcc_lo, s8, v56
	s_wait_alu 0xfffd
	v_add_co_ci_u32_e64 v57, null, s9, v57, vcc_lo
	global_load_b64 v[54:55], v[54:55], off
	v_add_nc_u32_e32 v10, 3, v30
	global_load_b64 v[56:57], v[56:57], off
	v_lshlrev_b64_e32 v[58:59], 3, v[10:11]
	v_add_nc_u32_e32 v10, -11, v8
	s_delay_alu instid0(VALU_DEP_2) | instskip(SKIP_1) | instid1(VALU_DEP_3)
	v_add_co_u32 v58, vcc_lo, s10, v58
	s_wait_alu 0xfffd
	v_add_co_ci_u32_e64 v59, null, s11, v59, vcc_lo
	global_load_b64 v[58:59], v[58:59], off
	s_wait_loadcnt 0x6
	v_fmac_f32_e32 v15, v47, v42
	v_lshlrev_b64_e32 v[60:61], 3, v[10:11]
	s_wait_loadcnt 0x5
	v_dual_fmac_f32 v19, v48, v42 :: v_dual_add_nc_u32 v10, -6, v8
	s_delay_alu instid0(VALU_DEP_3) | instskip(NEXT) | instid1(VALU_DEP_2)
	v_fmac_f32_e32 v15, v46, v43
	v_lshlrev_b64_e32 v[62:63], 3, v[10:11]
	v_add_nc_u32_e32 v10, -1, v8
	v_add_co_u32 v60, vcc_lo, s8, v60
	s_wait_loadcnt 0x4
	v_fmac_f32_e32 v7, v22, v50
	v_fmac_f32_e32 v13, v23, v50
	v_lshlrev_b64_e32 v[64:65], 3, v[10:11]
	v_add_nc_u32_e32 v10, -15, v8
	s_wait_alu 0xfffd
	v_add_co_ci_u32_e64 v61, null, s9, v61, vcc_lo
	v_add_co_u32 v62, vcc_lo, s8, v62
	s_delay_alu instid0(VALU_DEP_3)
	v_lshlrev_b64_e32 v[66:67], 3, v[10:11]
	v_dual_fmac_f32 v13, v22, v51 :: v_dual_add_nc_u32 v10, 4, v30
	s_wait_alu 0xfffd
	v_add_co_ci_u32_e64 v63, null, s9, v63, vcc_lo
	v_add_co_u32 v30, vcc_lo, s8, v64
	s_wait_alu 0xfffd
	v_add_co_ci_u32_e64 v31, null, s9, v65, vcc_lo
	v_lshlrev_b64_e32 v[64:65], 3, v[10:11]
	v_add_nc_u32_e32 v10, -10, v8
	v_add_co_u32 v66, vcc_lo, s8, v66
	s_wait_alu 0xfffd
	v_add_co_ci_u32_e64 v67, null, s9, v67, vcc_lo
	s_delay_alu instid0(VALU_DEP_4)
	v_add_co_u32 v64, vcc_lo, s10, v64
	v_fma_f32 v19, -v49, v43, v19
	s_wait_alu 0xfffd
	v_add_co_ci_u32_e64 v65, null, s11, v65, vcc_lo
	s_clause 0x2
	global_load_b64 v[60:61], v[60:61], off
	global_load_b64 v[62:63], v[62:63], off
	;; [unrolled: 1-line block ×3, first 2 shown]
	s_wait_loadcnt 0x5
	v_fmac_f32_e32 v15, v55, v50
	v_lshlrev_b64_e32 v[68:69], 3, v[10:11]
	s_wait_loadcnt 0x4
	v_dual_fmac_f32 v19, v56, v50 :: v_dual_add_nc_u32 v10, -5, v8
	global_load_b64 v[64:65], v[64:65], off
	global_load_b64 v[30:31], v[30:31], off
	v_fmac_f32_e32 v20, v34, v40
	v_lshlrev_b64_e32 v[9:10], 3, v[10:11]
	v_add_co_u32 v68, vcc_lo, s8, v68
	s_wait_alu 0xfffd
	v_add_co_ci_u32_e64 v69, null, s9, v69, vcc_lo
	v_fma_f32 v7, -v23, v51, v7
	s_delay_alu instid0(VALU_DEP_4)
	v_add_co_u32 v9, vcc_lo, s8, v9
	s_wait_alu 0xfffd
	v_add_co_ci_u32_e64 v10, null, s9, v10, vcc_lo
	s_clause 0x2
	global_load_b64 v[68:69], v[68:69], off
	global_load_b64 v[9:10], v[9:10], off
	global_load_b64 v[38:39], v[38:39], off
	s_wait_loadcnt 0x8
	v_dual_fmac_f32 v16, v33, v40 :: v_dual_fmac_f32 v7, v24, v58
	v_fmac_f32_e32 v13, v25, v58
	v_fmac_f32_e32 v14, v37, v40
	v_dual_fmac_f32 v15, v54, v51 :: v_dual_add_nc_u32 v8, 0x500, v8
	s_delay_alu instid0(VALU_DEP_4)
	v_fmac_f32_e32 v16, v32, v41
	v_fma_f32 v18, -v35, v41, v20
	v_fmac_f32_e32 v13, v24, v59
	v_fmac_f32_e32 v14, v36, v41
	v_fma_f32 v19, -v57, v51, v19
	v_fma_f32 v7, -v25, v59, v7
	v_fmac_f32_e32 v16, v45, v42
	v_fmac_f32_e32 v18, v46, v42
	v_cmp_ge_i32_e32 vcc_lo, v6, v17
	s_wait_alu 0xfffe
	s_or_b32 s2, vcc_lo, s2
	s_wait_loadcnt 0x6
	v_fmac_f32_e32 v15, v63, v58
	s_delay_alu instid0(VALU_DEP_1) | instskip(SKIP_2) | instid1(VALU_DEP_2)
	v_dual_fmac_f32 v12, v44, v42 :: v_dual_fmac_f32 v15, v62, v59
	s_wait_loadcnt 0x4
	v_dual_fmac_f32 v13, v67, v64 :: v_dual_fmac_f32 v14, v49, v42
	v_fma_f32 v12, -v45, v43, v12
	v_fma_f32 v18, -v47, v43, v18
	s_wait_loadcnt 0x3
	v_fmac_f32_e32 v19, v30, v58
	v_dual_fmac_f32 v7, v66, v64 :: v_dual_fmac_f32 v16, v44, v43
	v_dual_fmac_f32 v13, v66, v65 :: v_dual_fmac_f32 v14, v48, v43
	v_fmac_f32_e32 v18, v54, v50
	s_delay_alu instid0(VALU_DEP_4)
	v_fma_f32 v19, -v31, v59, v19
	v_fmac_f32_e32 v12, v52, v50
	s_wait_loadcnt 0x1
	v_dual_fmac_f32 v16, v53, v50 :: v_dual_fmac_f32 v15, v10, v64
	v_fmac_f32_e32 v14, v57, v50
	v_fma_f32 v18, -v55, v51, v18
	s_wait_loadcnt 0x0
	s_delay_alu instid0(VALU_DEP_3) | instskip(SKIP_3) | instid1(VALU_DEP_4)
	v_dual_fmac_f32 v16, v52, v51 :: v_dual_fmac_f32 v19, v38, v64
	v_fma_f32 v12, -v53, v51, v12
	v_fmac_f32_e32 v14, v56, v51
	v_dual_fmac_f32 v18, v62, v58 :: v_dual_fmac_f32 v15, v9, v65
	v_fmac_f32_e32 v16, v61, v58
	s_delay_alu instid0(VALU_DEP_4) | instskip(NEXT) | instid1(VALU_DEP_4)
	v_fmac_f32_e32 v12, v60, v58
	v_fmac_f32_e32 v14, v31, v58
	s_delay_alu instid0(VALU_DEP_4)
	v_fma_f32 v20, -v63, v59, v18
	v_fma_f32 v18, -v67, v65, v7
	v_fmac_f32_e32 v16, v60, v59
	v_fma_f32 v12, -v61, v59, v12
	v_fmac_f32_e32 v14, v30, v59
	v_fmac_f32_e32 v20, v9, v64
	v_fma_f32 v19, -v39, v65, v19
	v_fmac_f32_e32 v16, v69, v64
	v_fmac_f32_e32 v12, v68, v64
	;; [unrolled: 1-line block ×3, first 2 shown]
	v_fma_f32 v20, -v10, v65, v20
	s_delay_alu instid0(VALU_DEP_4) | instskip(NEXT) | instid1(VALU_DEP_4)
	v_fmac_f32_e32 v16, v68, v65
	v_fma_f32 v21, -v69, v65, v12
	s_delay_alu instid0(VALU_DEP_4)
	v_fmac_f32_e32 v14, v38, v65
	s_wait_alu 0xfffe
	s_and_not1_b32 exec_lo, exec_lo, s2
	s_cbranch_execnz .LBB93_13
; %bb.14:
	s_or_b32 exec_lo, exec_lo, s2
.LBB93_15:
	s_wait_alu 0xfffe
	s_or_b32 exec_lo, exec_lo, s3
.LBB93_16:
	v_mbcnt_lo_u32_b32 v6, -1, 0
	s_delay_alu instid0(VALU_DEP_1) | instskip(SKIP_1) | instid1(VALU_DEP_2)
	v_or_b32_e32 v7, 32, v6
	v_xor_b32_e32 v23, 16, v6
	v_cmp_gt_i32_e32 vcc_lo, 32, v7
	s_wait_alu 0xfffd
	v_cndmask_b32_e32 v7, v6, v7, vcc_lo
	s_delay_alu instid0(VALU_DEP_3) | instskip(NEXT) | instid1(VALU_DEP_2)
	v_cmp_gt_i32_e32 vcc_lo, 32, v23
	v_lshlrev_b32_e32 v7, 2, v7
	ds_bpermute_b32 v8, v7, v18
	s_wait_dscnt 0x0
	v_add_f32_e32 v8, v18, v8
	ds_bpermute_b32 v12, v7, v20
	ds_bpermute_b32 v9, v7, v13
	;; [unrolled: 1-line block ×7, first 2 shown]
	s_wait_dscnt 0x6
	s_wait_alu 0xfffd
	v_dual_cndmask_b32 v23, v6, v23 :: v_dual_add_f32 v12, v20, v12
	s_wait_dscnt 0x4
	s_delay_alu instid0(VALU_DEP_1)
	v_dual_add_f32 v10, v21, v10 :: v_dual_lshlrev_b32 v23, 2, v23
	v_add_f32_e32 v9, v13, v9
	s_wait_dscnt 0x0
	v_add_f32_e32 v7, v14, v7
	ds_bpermute_b32 v14, v23, v8
	s_wait_dscnt 0x0
	v_dual_add_f32 v8, v8, v14 :: v_dual_add_f32 v13, v15, v17
	ds_bpermute_b32 v17, v23, v10
	v_add_f32_e32 v11, v16, v11
	ds_bpermute_b32 v20, v23, v13
	s_wait_dscnt 0x1
	v_dual_add_f32 v10, v10, v17 :: v_dual_add_f32 v15, v19, v22
	ds_bpermute_b32 v19, v23, v12
	ds_bpermute_b32 v18, v23, v11
	;; [unrolled: 1-line block ×4, first 2 shown]
	s_wait_dscnt 0x3
	v_add_f32_e32 v12, v12, v19
	ds_bpermute_b32 v16, v23, v9
	v_xor_b32_e32 v23, 8, v6
	s_delay_alu instid0(VALU_DEP_1) | instskip(SKIP_2) | instid1(VALU_DEP_1)
	v_cmp_gt_i32_e32 vcc_lo, 32, v23
	s_wait_alu 0xfffd
	v_cndmask_b32_e32 v23, v6, v23, vcc_lo
	v_lshlrev_b32_e32 v23, 2, v23
	ds_bpermute_b32 v17, v23, v10
	s_wait_dscnt 0x0
	v_add_f32_e32 v10, v10, v17
	v_add_f32_e32 v14, v15, v21
	ds_bpermute_b32 v21, v23, v14
	s_wait_dscnt 0x0
	v_add_f32_e32 v14, v14, v21
	ds_bpermute_b32 v15, v23, v8
	ds_bpermute_b32 v19, v23, v12
	v_add_f32_e32 v9, v9, v16
	v_add_f32_e32 v7, v7, v22
	ds_bpermute_b32 v22, v23, v7
	s_wait_dscnt 0x2
	v_dual_add_f32 v8, v8, v15 :: v_dual_add_f32 v11, v11, v18
	s_wait_dscnt 0x1
	v_dual_add_f32 v12, v12, v19 :: v_dual_add_f32 v13, v13, v20
	ds_bpermute_b32 v16, v23, v9
	ds_bpermute_b32 v18, v23, v11
	;; [unrolled: 1-line block ×3, first 2 shown]
	v_xor_b32_e32 v23, 4, v6
	s_delay_alu instid0(VALU_DEP_1) | instskip(SKIP_2) | instid1(VALU_DEP_1)
	v_cmp_gt_i32_e32 vcc_lo, 32, v23
	s_wait_alu 0xfffd
	v_cndmask_b32_e32 v23, v6, v23, vcc_lo
	v_lshlrev_b32_e32 v23, 2, v23
	s_wait_dscnt 0x2
	v_add_f32_e32 v9, v9, v16
	ds_bpermute_b32 v15, v23, v8
	ds_bpermute_b32 v16, v23, v9
	;; [unrolled: 1-line block ×5, first 2 shown]
	s_wait_dscnt 0x4
	v_dual_add_f32 v8, v8, v15 :: v_dual_add_f32 v11, v11, v18
	s_wait_dscnt 0x2
	v_dual_add_f32 v9, v9, v16 :: v_dual_add_f32 v12, v12, v19
	v_add_f32_e32 v13, v13, v20
	s_wait_dscnt 0x0
	v_add_f32_e32 v15, v10, v17
	ds_bpermute_b32 v18, v23, v11
	ds_bpermute_b32 v20, v23, v13
	s_wait_dscnt 0x1
	v_add_f32_e32 v16, v11, v18
	v_dual_add_f32 v18, v14, v21 :: v_dual_add_f32 v7, v7, v22
	s_wait_dscnt 0x0
	v_add_f32_e32 v17, v13, v20
	ds_bpermute_b32 v22, v23, v7
	v_xor_b32_e32 v23, 2, v6
	s_delay_alu instid0(VALU_DEP_1) | instskip(SKIP_2) | instid1(VALU_DEP_1)
	v_cmp_gt_i32_e32 vcc_lo, 32, v23
	s_wait_alu 0xfffd
	v_cndmask_b32_e32 v23, v6, v23, vcc_lo
	v_lshlrev_b32_e32 v23, 2, v23
	s_wait_dscnt 0x0
	v_add_f32_e32 v19, v7, v22
	ds_bpermute_b32 v7, v23, v8
	ds_bpermute_b32 v10, v23, v9
	;; [unrolled: 1-line block ×8, first 2 shown]
	v_xor_b32_e32 v23, 1, v6
	s_delay_alu instid0(VALU_DEP_1)
	v_cmp_gt_i32_e32 vcc_lo, 32, v23
	s_wait_alu 0xfffd
	v_cndmask_b32_e32 v6, v6, v23, vcc_lo
	v_cmp_eq_u32_e32 vcc_lo, 63, v0
	s_wait_dscnt 0x5
	v_dual_add_f32 v10, v9, v10 :: v_dual_add_f32 v11, v15, v11
	s_delay_alu instid0(VALU_DEP_3)
	v_dual_add_f32 v6, v8, v7 :: v_dual_lshlrev_b32 v23, 2, v6
	s_wait_dscnt 0x4
	v_add_f32_e32 v13, v16, v13
	s_wait_dscnt 0x2
	v_dual_add_f32 v14, v12, v14 :: v_dual_add_f32 v15, v17, v20
	s_wait_dscnt 0x1
	v_add_f32_e32 v7, v18, v21
	s_wait_dscnt 0x0
	v_add_f32_e32 v9, v19, v22
	ds_bpermute_b32 v8, v23, v6
	ds_bpermute_b32 v12, v23, v10
	;; [unrolled: 1-line block ×8, first 2 shown]
	s_and_b32 exec_lo, exec_lo, vcc_lo
	s_cbranch_execz .LBB93_21
; %bb.17:
	s_load_b64 s[2:3], s[0:1], 0x38
	v_cmp_eq_f32_e32 vcc_lo, 0, v3
	v_cmp_eq_f32_e64 s0, 0, v4
	s_wait_dscnt 0x7
	v_add_f32_e32 v8, v6, v8
	s_wait_dscnt 0x0
	v_dual_add_f32 v12, v10, v12 :: v_dual_add_f32 v9, v9, v17
	v_dual_add_f32 v0, v11, v18 :: v_dual_add_f32 v11, v13, v19
	v_add_f32_e32 v6, v14, v20
	v_add_f32_e32 v10, v15, v21
	;; [unrolled: 1-line block ×3, first 2 shown]
	s_and_b32 s0, vcc_lo, s0
	s_wait_alu 0xfffe
	s_and_saveexec_b32 s1, s0
	s_wait_alu 0xfffe
	s_xor_b32 s0, exec_lo, s1
	s_cbranch_execz .LBB93_19
; %bb.18:
	v_dual_mul_f32 v14, v1, v12 :: v_dual_lshlrev_b32 v3, 2, v5
	v_mul_f32_e64 v13, v12, -v2
	v_mul_f32_e64 v15, v11, -v2
	v_mul_f32_e32 v16, v1, v11
	s_delay_alu instid0(VALU_DEP_4)
	v_ashrrev_i32_e32 v4, 31, v3
	v_mul_f32_e64 v17, v10, -v2
	v_mul_f32_e32 v18, v1, v10
	v_mul_f32_e64 v19, v9, -v2
	v_mul_f32_e32 v20, v1, v9
	v_lshlrev_b64_e32 v[3:4], 3, v[3:4]
	s_delay_alu instid0(VALU_DEP_4) | instskip(SKIP_1) | instid1(VALU_DEP_4)
	v_dual_fmac_f32 v13, v1, v8 :: v_dual_fmac_f32 v18, v2, v6
	v_dual_fmac_f32 v14, v2, v8 :: v_dual_fmac_f32 v17, v1, v6
	;; [unrolled: 1-line block ×3, first 2 shown]
	s_wait_kmcnt 0x0
	s_delay_alu instid0(VALU_DEP_4)
	v_add_co_u32 v3, vcc_lo, s2, v3
	s_wait_alu 0xfffd
	v_add_co_ci_u32_e64 v4, null, s3, v4, vcc_lo
	v_dual_fmac_f32 v16, v2, v0 :: v_dual_fmac_f32 v19, v1, v7
	s_clause 0x1
	global_store_b128 v[3:4], v[13:16], off
	global_store_b128 v[3:4], v[17:20], off offset:16
                                        ; implicit-def: $vgpr5
                                        ; implicit-def: $vgpr8
                                        ; implicit-def: $vgpr12
                                        ; implicit-def: $vgpr0
                                        ; implicit-def: $vgpr11
                                        ; implicit-def: $vgpr6
                                        ; implicit-def: $vgpr10
                                        ; implicit-def: $vgpr7
                                        ; implicit-def: $vgpr9
                                        ; implicit-def: $vgpr1_vgpr2
                                        ; implicit-def: $vgpr3_vgpr4
.LBB93_19:
	s_wait_alu 0xfffe
	s_and_not1_saveexec_b32 s0, s0
	s_cbranch_execz .LBB93_21
; %bb.20:
	v_dual_mul_f32 v22, v1, v12 :: v_dual_lshlrev_b32 v13, 2, v5
	v_mul_f32_e64 v5, v12, -v2
	v_mul_f32_e64 v23, v11, -v2
	;; [unrolled: 1-line block ×3, first 2 shown]
	s_delay_alu instid0(VALU_DEP_4) | instskip(NEXT) | instid1(VALU_DEP_4)
	v_ashrrev_i32_e32 v14, 31, v13
	v_fmac_f32_e32 v5, v1, v8
	s_delay_alu instid0(VALU_DEP_2) | instskip(SKIP_1) | instid1(VALU_DEP_1)
	v_lshlrev_b64_e32 v[13:14], 3, v[13:14]
	s_wait_kmcnt 0x0
	v_add_co_u32 v25, vcc_lo, s2, v13
	s_wait_alu 0xfffd
	s_delay_alu instid0(VALU_DEP_2)
	v_add_co_ci_u32_e64 v26, null, s3, v14, vcc_lo
	s_clause 0x1
	global_load_b128 v[13:16], v[25:26], off
	global_load_b128 v[17:20], v[25:26], off offset:16
	v_mul_f32_e32 v24, v1, v11
	v_mul_f32_e64 v11, v10, -v2
	s_delay_alu instid0(VALU_DEP_1) | instskip(SKIP_1) | instid1(VALU_DEP_1)
	v_dual_fmac_f32 v22, v2, v8 :: v_dual_fmac_f32 v11, v1, v6
	s_wait_loadcnt 0x1
	v_dual_fmac_f32 v27, v1, v7 :: v_dual_fmac_f32 v22, v4, v13
	s_wait_loadcnt 0x0
	s_delay_alu instid0(VALU_DEP_1) | instskip(SKIP_3) | instid1(VALU_DEP_4)
	v_dual_mul_f32 v12, v1, v9 :: v_dual_fmac_f32 v27, v3, v19
	v_fmac_f32_e32 v23, v1, v0
	v_fmac_f32_e32 v11, v3, v17
	;; [unrolled: 1-line block ×4, first 2 shown]
	s_delay_alu instid0(VALU_DEP_4) | instskip(NEXT) | instid1(VALU_DEP_4)
	v_dual_mul_f32 v10, v1, v10 :: v_dual_fmac_f32 v23, v3, v15
	v_fma_f32 v9, -v4, v18, v11
	v_fma_f32 v11, -v4, v20, v27
	s_delay_alu instid0(VALU_DEP_4) | instskip(NEXT) | instid1(VALU_DEP_4)
	v_fmac_f32_e32 v12, v4, v19
	v_dual_fmac_f32 v10, v2, v6 :: v_dual_fmac_f32 v5, v3, v13
	v_fmac_f32_e32 v24, v2, v0
	v_fma_f32 v23, -v4, v16, v23
	s_delay_alu instid0(VALU_DEP_4) | instskip(NEXT) | instid1(VALU_DEP_4)
	v_fmac_f32_e32 v12, v3, v20
	v_fmac_f32_e32 v10, v4, v17
	v_fma_f32 v21, -v4, v14, v5
	v_fmac_f32_e32 v24, v4, v15
	s_delay_alu instid0(VALU_DEP_3) | instskip(NEXT) | instid1(VALU_DEP_2)
	v_fmac_f32_e32 v10, v3, v18
	v_fmac_f32_e32 v24, v3, v16
	s_clause 0x1
	global_store_b128 v[25:26], v[21:24], off
	global_store_b128 v[25:26], v[9:12], off offset:16
.LBB93_21:
	s_endpgm
	.section	.rodata,"a",@progbits
	.p2align	6, 0x0
	.amdhsa_kernel _ZN9rocsparseL19gebsrmvn_4xn_kernelILj128ELj5ELj64E21rocsparse_complex_numIfEEEvi20rocsparse_direction_NS_24const_host_device_scalarIT2_EEPKiS8_PKS5_SA_S6_PS5_21rocsparse_index_base_b
		.amdhsa_group_segment_fixed_size 0
		.amdhsa_private_segment_fixed_size 0
		.amdhsa_kernarg_size 72
		.amdhsa_user_sgpr_count 2
		.amdhsa_user_sgpr_dispatch_ptr 0
		.amdhsa_user_sgpr_queue_ptr 0
		.amdhsa_user_sgpr_kernarg_segment_ptr 1
		.amdhsa_user_sgpr_dispatch_id 0
		.amdhsa_user_sgpr_private_segment_size 0
		.amdhsa_wavefront_size32 1
		.amdhsa_uses_dynamic_stack 0
		.amdhsa_enable_private_segment 0
		.amdhsa_system_sgpr_workgroup_id_x 1
		.amdhsa_system_sgpr_workgroup_id_y 0
		.amdhsa_system_sgpr_workgroup_id_z 0
		.amdhsa_system_sgpr_workgroup_info 0
		.amdhsa_system_vgpr_workitem_id 0
		.amdhsa_next_free_vgpr 72
		.amdhsa_next_free_sgpr 14
		.amdhsa_reserve_vcc 1
		.amdhsa_float_round_mode_32 0
		.amdhsa_float_round_mode_16_64 0
		.amdhsa_float_denorm_mode_32 3
		.amdhsa_float_denorm_mode_16_64 3
		.amdhsa_fp16_overflow 0
		.amdhsa_workgroup_processor_mode 1
		.amdhsa_memory_ordered 1
		.amdhsa_forward_progress 1
		.amdhsa_inst_pref_size 36
		.amdhsa_round_robin_scheduling 0
		.amdhsa_exception_fp_ieee_invalid_op 0
		.amdhsa_exception_fp_denorm_src 0
		.amdhsa_exception_fp_ieee_div_zero 0
		.amdhsa_exception_fp_ieee_overflow 0
		.amdhsa_exception_fp_ieee_underflow 0
		.amdhsa_exception_fp_ieee_inexact 0
		.amdhsa_exception_int_div_zero 0
	.end_amdhsa_kernel
	.section	.text._ZN9rocsparseL19gebsrmvn_4xn_kernelILj128ELj5ELj64E21rocsparse_complex_numIfEEEvi20rocsparse_direction_NS_24const_host_device_scalarIT2_EEPKiS8_PKS5_SA_S6_PS5_21rocsparse_index_base_b,"axG",@progbits,_ZN9rocsparseL19gebsrmvn_4xn_kernelILj128ELj5ELj64E21rocsparse_complex_numIfEEEvi20rocsparse_direction_NS_24const_host_device_scalarIT2_EEPKiS8_PKS5_SA_S6_PS5_21rocsparse_index_base_b,comdat
.Lfunc_end93:
	.size	_ZN9rocsparseL19gebsrmvn_4xn_kernelILj128ELj5ELj64E21rocsparse_complex_numIfEEEvi20rocsparse_direction_NS_24const_host_device_scalarIT2_EEPKiS8_PKS5_SA_S6_PS5_21rocsparse_index_base_b, .Lfunc_end93-_ZN9rocsparseL19gebsrmvn_4xn_kernelILj128ELj5ELj64E21rocsparse_complex_numIfEEEvi20rocsparse_direction_NS_24const_host_device_scalarIT2_EEPKiS8_PKS5_SA_S6_PS5_21rocsparse_index_base_b
                                        ; -- End function
	.set _ZN9rocsparseL19gebsrmvn_4xn_kernelILj128ELj5ELj64E21rocsparse_complex_numIfEEEvi20rocsparse_direction_NS_24const_host_device_scalarIT2_EEPKiS8_PKS5_SA_S6_PS5_21rocsparse_index_base_b.num_vgpr, 72
	.set _ZN9rocsparseL19gebsrmvn_4xn_kernelILj128ELj5ELj64E21rocsparse_complex_numIfEEEvi20rocsparse_direction_NS_24const_host_device_scalarIT2_EEPKiS8_PKS5_SA_S6_PS5_21rocsparse_index_base_b.num_agpr, 0
	.set _ZN9rocsparseL19gebsrmvn_4xn_kernelILj128ELj5ELj64E21rocsparse_complex_numIfEEEvi20rocsparse_direction_NS_24const_host_device_scalarIT2_EEPKiS8_PKS5_SA_S6_PS5_21rocsparse_index_base_b.numbered_sgpr, 14
	.set _ZN9rocsparseL19gebsrmvn_4xn_kernelILj128ELj5ELj64E21rocsparse_complex_numIfEEEvi20rocsparse_direction_NS_24const_host_device_scalarIT2_EEPKiS8_PKS5_SA_S6_PS5_21rocsparse_index_base_b.num_named_barrier, 0
	.set _ZN9rocsparseL19gebsrmvn_4xn_kernelILj128ELj5ELj64E21rocsparse_complex_numIfEEEvi20rocsparse_direction_NS_24const_host_device_scalarIT2_EEPKiS8_PKS5_SA_S6_PS5_21rocsparse_index_base_b.private_seg_size, 0
	.set _ZN9rocsparseL19gebsrmvn_4xn_kernelILj128ELj5ELj64E21rocsparse_complex_numIfEEEvi20rocsparse_direction_NS_24const_host_device_scalarIT2_EEPKiS8_PKS5_SA_S6_PS5_21rocsparse_index_base_b.uses_vcc, 1
	.set _ZN9rocsparseL19gebsrmvn_4xn_kernelILj128ELj5ELj64E21rocsparse_complex_numIfEEEvi20rocsparse_direction_NS_24const_host_device_scalarIT2_EEPKiS8_PKS5_SA_S6_PS5_21rocsparse_index_base_b.uses_flat_scratch, 0
	.set _ZN9rocsparseL19gebsrmvn_4xn_kernelILj128ELj5ELj64E21rocsparse_complex_numIfEEEvi20rocsparse_direction_NS_24const_host_device_scalarIT2_EEPKiS8_PKS5_SA_S6_PS5_21rocsparse_index_base_b.has_dyn_sized_stack, 0
	.set _ZN9rocsparseL19gebsrmvn_4xn_kernelILj128ELj5ELj64E21rocsparse_complex_numIfEEEvi20rocsparse_direction_NS_24const_host_device_scalarIT2_EEPKiS8_PKS5_SA_S6_PS5_21rocsparse_index_base_b.has_recursion, 0
	.set _ZN9rocsparseL19gebsrmvn_4xn_kernelILj128ELj5ELj64E21rocsparse_complex_numIfEEEvi20rocsparse_direction_NS_24const_host_device_scalarIT2_EEPKiS8_PKS5_SA_S6_PS5_21rocsparse_index_base_b.has_indirect_call, 0
	.section	.AMDGPU.csdata,"",@progbits
; Kernel info:
; codeLenInByte = 4508
; TotalNumSgprs: 16
; NumVgprs: 72
; ScratchSize: 0
; MemoryBound: 0
; FloatMode: 240
; IeeeMode: 1
; LDSByteSize: 0 bytes/workgroup (compile time only)
; SGPRBlocks: 0
; VGPRBlocks: 8
; NumSGPRsForWavesPerEU: 16
; NumVGPRsForWavesPerEU: 72
; Occupancy: 16
; WaveLimiterHint : 1
; COMPUTE_PGM_RSRC2:SCRATCH_EN: 0
; COMPUTE_PGM_RSRC2:USER_SGPR: 2
; COMPUTE_PGM_RSRC2:TRAP_HANDLER: 0
; COMPUTE_PGM_RSRC2:TGID_X_EN: 1
; COMPUTE_PGM_RSRC2:TGID_Y_EN: 0
; COMPUTE_PGM_RSRC2:TGID_Z_EN: 0
; COMPUTE_PGM_RSRC2:TIDIG_COMP_CNT: 0
	.section	.text._ZN9rocsparseL19gebsrmvn_4xn_kernelILj128ELj6ELj4E21rocsparse_complex_numIfEEEvi20rocsparse_direction_NS_24const_host_device_scalarIT2_EEPKiS8_PKS5_SA_S6_PS5_21rocsparse_index_base_b,"axG",@progbits,_ZN9rocsparseL19gebsrmvn_4xn_kernelILj128ELj6ELj4E21rocsparse_complex_numIfEEEvi20rocsparse_direction_NS_24const_host_device_scalarIT2_EEPKiS8_PKS5_SA_S6_PS5_21rocsparse_index_base_b,comdat
	.globl	_ZN9rocsparseL19gebsrmvn_4xn_kernelILj128ELj6ELj4E21rocsparse_complex_numIfEEEvi20rocsparse_direction_NS_24const_host_device_scalarIT2_EEPKiS8_PKS5_SA_S6_PS5_21rocsparse_index_base_b ; -- Begin function _ZN9rocsparseL19gebsrmvn_4xn_kernelILj128ELj6ELj4E21rocsparse_complex_numIfEEEvi20rocsparse_direction_NS_24const_host_device_scalarIT2_EEPKiS8_PKS5_SA_S6_PS5_21rocsparse_index_base_b
	.p2align	8
	.type	_ZN9rocsparseL19gebsrmvn_4xn_kernelILj128ELj6ELj4E21rocsparse_complex_numIfEEEvi20rocsparse_direction_NS_24const_host_device_scalarIT2_EEPKiS8_PKS5_SA_S6_PS5_21rocsparse_index_base_b,@function
_ZN9rocsparseL19gebsrmvn_4xn_kernelILj128ELj6ELj4E21rocsparse_complex_numIfEEEvi20rocsparse_direction_NS_24const_host_device_scalarIT2_EEPKiS8_PKS5_SA_S6_PS5_21rocsparse_index_base_b: ; @_ZN9rocsparseL19gebsrmvn_4xn_kernelILj128ELj6ELj4E21rocsparse_complex_numIfEEEvi20rocsparse_direction_NS_24const_host_device_scalarIT2_EEPKiS8_PKS5_SA_S6_PS5_21rocsparse_index_base_b
; %bb.0:
	s_clause 0x2
	s_load_b64 s[12:13], s[0:1], 0x40
	s_load_b64 s[2:3], s[0:1], 0x8
	;; [unrolled: 1-line block ×3, first 2 shown]
	s_add_nc_u64 s[6:7], s[0:1], 8
	s_wait_kmcnt 0x0
	s_bitcmp1_b32 s13, 0
	s_cselect_b32 s2, s6, s2
	s_cselect_b32 s3, s7, s3
	s_delay_alu instid0(SALU_CYCLE_1)
	v_dual_mov_b32 v1, s2 :: v_dual_mov_b32 v2, s3
	s_add_nc_u64 s[2:3], s[0:1], 48
	s_wait_alu 0xfffe
	s_cselect_b32 s2, s2, s4
	s_cselect_b32 s3, s3, s5
	flat_load_b64 v[1:2], v[1:2]
	s_wait_alu 0xfffe
	v_dual_mov_b32 v3, s2 :: v_dual_mov_b32 v4, s3
	flat_load_b64 v[3:4], v[3:4]
	s_wait_loadcnt_dscnt 0x101
	v_cmp_eq_f32_e32 vcc_lo, 0, v1
	v_cmp_eq_f32_e64 s2, 0, v2
	s_and_b32 s4, vcc_lo, s2
	s_mov_b32 s2, -1
	s_and_saveexec_b32 s3, s4
	s_cbranch_execz .LBB94_2
; %bb.1:
	s_wait_loadcnt_dscnt 0x0
	v_cmp_neq_f32_e32 vcc_lo, 1.0, v3
	v_cmp_neq_f32_e64 s2, 0, v4
	s_wait_alu 0xfffe
	s_or_b32 s2, vcc_lo, s2
	s_wait_alu 0xfffe
	s_or_not1_b32 s2, s2, exec_lo
.LBB94_2:
	s_wait_alu 0xfffe
	s_or_b32 exec_lo, exec_lo, s3
	s_and_saveexec_b32 s3, s2
	s_cbranch_execz .LBB94_21
; %bb.3:
	s_load_b64 s[2:3], s[0:1], 0x0
	v_lshrrev_b32_e32 v5, 2, v0
	s_delay_alu instid0(VALU_DEP_1) | instskip(SKIP_1) | instid1(VALU_DEP_1)
	v_lshl_or_b32 v5, ttmp9, 5, v5
	s_wait_kmcnt 0x0
	v_cmp_gt_i32_e32 vcc_lo, s2, v5
	s_and_b32 exec_lo, exec_lo, vcc_lo
	s_cbranch_execz .LBB94_21
; %bb.4:
	s_load_b256 s[4:11], s[0:1], 0x10
	v_ashrrev_i32_e32 v6, 31, v5
	v_and_b32_e32 v0, 3, v0
	s_cmp_lg_u32 s3, 0
	s_delay_alu instid0(VALU_DEP_2) | instskip(SKIP_1) | instid1(VALU_DEP_1)
	v_lshlrev_b64_e32 v[6:7], 2, v[5:6]
	s_wait_kmcnt 0x0
	v_add_co_u32 v6, vcc_lo, s4, v6
	s_delay_alu instid0(VALU_DEP_1) | instskip(SKIP_4) | instid1(VALU_DEP_2)
	v_add_co_ci_u32_e64 v7, null, s5, v7, vcc_lo
	global_load_b64 v[6:7], v[6:7], off
	s_wait_loadcnt 0x0
	v_subrev_nc_u32_e32 v6, s12, v6
	v_subrev_nc_u32_e32 v17, s12, v7
	v_add_nc_u32_e32 v6, v6, v0
	s_delay_alu instid0(VALU_DEP_1)
	v_cmp_lt_i32_e64 s2, v6, v17
	s_cbranch_scc0 .LBB94_10
; %bb.5:
	v_dual_mov_b32 v13, 0 :: v_dual_mov_b32 v18, 0
	v_dual_mov_b32 v19, 0 :: v_dual_mov_b32 v14, 0
	;; [unrolled: 1-line block ×4, first 2 shown]
	s_and_saveexec_b32 s3, s2
	s_cbranch_execz .LBB94_9
; %bb.6:
	v_mad_co_u64_u32 v[7:8], null, v6, 24, 20
	v_dual_mov_b32 v10, 0 :: v_dual_mov_b32 v11, v6
	v_dual_mov_b32 v13, 0 :: v_dual_mov_b32 v18, 0
	;; [unrolled: 1-line block ×5, first 2 shown]
	s_mov_b32 s4, 0
.LBB94_7:                               ; =>This Inner Loop Header: Depth=1
	v_ashrrev_i32_e32 v12, 31, v11
	v_mov_b32_e32 v51, v10
	s_delay_alu instid0(VALU_DEP_2) | instskip(NEXT) | instid1(VALU_DEP_1)
	v_lshlrev_b64_e32 v[8:9], 2, v[11:12]
	v_add_co_u32 v8, vcc_lo, s6, v8
	s_wait_alu 0xfffd
	s_delay_alu instid0(VALU_DEP_2) | instskip(SKIP_3) | instid1(VALU_DEP_2)
	v_add_co_ci_u32_e64 v9, null, s7, v9, vcc_lo
	global_load_b32 v12, v[8:9], off
	v_subrev_nc_u32_e32 v9, 20, v7
	v_mov_b32_e32 v8, v10
	v_lshlrev_b64_e32 v[22:23], 3, v[9:10]
	v_add_nc_u32_e32 v9, -12, v7
	s_delay_alu instid0(VALU_DEP_3) | instskip(NEXT) | instid1(VALU_DEP_2)
	v_lshlrev_b64_e32 v[24:25], 3, v[7:8]
	v_lshlrev_b64_e32 v[8:9], 3, v[9:10]
	s_delay_alu instid0(VALU_DEP_4) | instskip(SKIP_2) | instid1(VALU_DEP_4)
	v_add_co_u32 v34, vcc_lo, s8, v22
	s_wait_alu 0xfffd
	v_add_co_ci_u32_e64 v35, null, s9, v23, vcc_lo
	v_add_co_u32 v78, vcc_lo, s8, v24
	s_wait_alu 0xfffd
	v_add_co_ci_u32_e64 v79, null, s9, v25, vcc_lo
	;; [unrolled: 3-line block ×3, first 2 shown]
	s_clause 0x5
	global_load_b128 v[22:25], v[34:35], off offset:48
	global_load_b128 v[26:29], v[34:35], off offset:32
	;; [unrolled: 1-line block ×3, first 2 shown]
	global_load_b128 v[34:37], v[34:35], off
	global_load_b128 v[38:41], v[8:9], off offset:16
	global_load_b128 v[42:45], v[8:9], off
	s_wait_loadcnt 0x6
	v_subrev_nc_u32_e32 v8, s12, v12
	s_delay_alu instid0(VALU_DEP_1) | instskip(NEXT) | instid1(VALU_DEP_1)
	v_mul_lo_u32 v50, v8, 6
	v_lshlrev_b64_e32 v[46:47], 3, v[50:51]
	s_delay_alu instid0(VALU_DEP_1) | instskip(SKIP_1) | instid1(VALU_DEP_2)
	v_add_co_u32 v46, vcc_lo, s10, v46
	s_wait_alu 0xfffd
	v_add_co_ci_u32_e64 v47, null, s11, v47, vcc_lo
	global_load_b128 v[46:49], v[46:47], off
	v_add_nc_u32_e32 v9, 2, v50
	s_delay_alu instid0(VALU_DEP_1) | instskip(SKIP_1) | instid1(VALU_DEP_1)
	v_lshlrev_b64_e32 v[51:52], 3, v[9:10]
	v_add_nc_u32_e32 v9, -8, v7
	v_lshlrev_b64_e32 v[54:55], 3, v[9:10]
	s_delay_alu instid0(VALU_DEP_3) | instskip(SKIP_3) | instid1(VALU_DEP_4)
	v_add_co_u32 v51, vcc_lo, s10, v51
	v_add_nc_u32_e32 v9, -4, v7
	s_wait_alu 0xfffd
	v_add_co_ci_u32_e64 v52, null, s11, v52, vcc_lo
	v_add_co_u32 v58, vcc_lo, s8, v54
	s_delay_alu instid0(VALU_DEP_3)
	v_lshlrev_b64_e32 v[62:63], 3, v[9:10]
	v_add_nc_u32_e32 v9, 4, v50
	global_load_b128 v[50:53], v[51:52], off
	s_wait_alu 0xfffd
	v_add_co_ci_u32_e64 v59, null, s9, v55, vcc_lo
	v_add_nc_u32_e32 v11, 4, v11
	s_clause 0x1
	global_load_b128 v[54:57], v[58:59], off
	global_load_b128 v[58:61], v[58:59], off offset:16
	v_add_co_u32 v66, vcc_lo, s8, v62
	s_wait_alu 0xfffd
	v_add_co_ci_u32_e64 v67, null, s9, v63, vcc_lo
	s_wait_loadcnt 0x3
	v_fmac_f32_e32 v14, v33, v46
	v_fmac_f32_e32 v18, v34, v46
	;; [unrolled: 1-line block ×4, first 2 shown]
	s_delay_alu instid0(VALU_DEP_4)
	v_fmac_f32_e32 v14, v32, v47
	v_lshlrev_b64_e32 v[8:9], 3, v[9:10]
	v_fmac_f32_e32 v19, v32, v46
	v_dual_fmac_f32 v16, v36, v47 :: v_dual_fmac_f32 v13, v35, v46
	v_fma_f32 v12, -v31, v47, v20
	v_fmac_f32_e32 v21, v36, v46
	v_add_co_u32 v8, vcc_lo, s10, v8
	s_wait_alu 0xfffd
	v_add_co_ci_u32_e64 v9, null, s11, v9, vcc_lo
	s_clause 0x1
	global_load_b128 v[62:65], v[66:67], off offset:16
	global_load_b128 v[66:69], v[66:67], off
	global_load_b128 v[70:73], v[8:9], off
	s_clause 0x1
	global_load_b128 v[74:77], v[78:79], off
	global_load_b128 v[78:81], v[78:79], off offset:16
	v_fma_f32 v8, -v35, v47, v18
	v_dual_fmac_f32 v16, v29, v48 :: v_dual_add_nc_u32 v7, 0x60, v7
	v_dual_fmac_f32 v13, v34, v47 :: v_dual_fmac_f32 v14, v25, v48
	v_fma_f32 v18, -v33, v47, v19
	s_delay_alu instid0(VALU_DEP_4) | instskip(SKIP_2) | instid1(VALU_DEP_3)
	v_dual_fmac_f32 v15, v31, v46 :: v_dual_fmac_f32 v8, v26, v48
	v_fmac_f32_e32 v12, v22, v48
	v_fma_f32 v9, -v37, v47, v21
	v_dual_fmac_f32 v18, v24, v48 :: v_dual_fmac_f32 v15, v30, v47
	v_fmac_f32_e32 v14, v24, v49
	v_fma_f32 v8, -v27, v49, v8
	;; [unrolled: 3-line block ×3, first 2 shown]
	v_fmac_f32_e32 v15, v23, v48
	v_fma_f32 v18, -v25, v49, v18
	s_wait_loadcnt 0x7
	v_fmac_f32_e32 v8, v42, v50
	v_dual_fmac_f32 v13, v26, v49 :: v_dual_fmac_f32 v16, v45, v50
	v_fma_f32 v9, -v29, v49, v9
	v_fmac_f32_e32 v12, v38, v50
	v_dual_fmac_f32 v15, v22, v49 :: v_dual_fmac_f32 v14, v41, v50
	v_fmac_f32_e32 v18, v40, v50
	v_dual_fmac_f32 v13, v43, v50 :: v_dual_fmac_f32 v16, v44, v51
	s_delay_alu instid0(VALU_DEP_3)
	v_dual_fmac_f32 v15, v39, v50 :: v_dual_fmac_f32 v14, v40, v51
	v_fma_f32 v8, -v43, v51, v8
	v_fmac_f32_e32 v9, v44, v50
	s_wait_loadcnt 0x6
	v_dual_fmac_f32 v13, v42, v51 :: v_dual_fmac_f32 v16, v57, v52
	v_fma_f32 v12, -v39, v51, v12
	v_fma_f32 v18, -v41, v51, v18
	v_fmac_f32_e32 v15, v38, v51
	v_fmac_f32_e32 v8, v54, v52
	v_fma_f32 v9, -v45, v51, v9
	v_dual_fmac_f32 v13, v55, v52 :: v_dual_fmac_f32 v16, v56, v53
	s_wait_loadcnt 0x5
	v_fmac_f32_e32 v18, v60, v52
	v_fmac_f32_e32 v14, v61, v52
	v_fma_f32 v8, -v55, v53, v8
	v_fmac_f32_e32 v9, v56, v52
	v_fmac_f32_e32 v13, v54, v53
	;; [unrolled: 1-line block ×3, first 2 shown]
	v_dual_fmac_f32 v15, v59, v52 :: v_dual_fmac_f32 v14, v60, v53
	v_fma_f32 v18, -v61, v53, v18
	v_cmp_ge_i32_e32 vcc_lo, v11, v17
	s_delay_alu instid0(VALU_DEP_3)
	v_fmac_f32_e32 v15, v58, v53
	s_wait_alu 0xfffe
	s_or_b32 s4, vcc_lo, s4
	s_wait_loadcnt 0x2
	v_fmac_f32_e32 v8, v66, v70
	v_fma_f32 v9, -v57, v53, v9
	v_fmac_f32_e32 v13, v67, v70
	v_fma_f32 v12, -v59, v53, v12
	v_fmac_f32_e32 v16, v69, v70
	v_fmac_f32_e32 v15, v63, v70
	s_delay_alu instid0(VALU_DEP_4) | instskip(NEXT) | instid1(VALU_DEP_4)
	v_dual_fmac_f32 v18, v64, v70 :: v_dual_fmac_f32 v13, v66, v71
	v_fmac_f32_e32 v12, v62, v70
	v_fma_f32 v8, -v67, v71, v8
	v_fmac_f32_e32 v9, v68, v70
	v_fmac_f32_e32 v16, v68, v71
	v_dual_fmac_f32 v14, v65, v70 :: v_dual_fmac_f32 v15, v62, v71
	v_fma_f32 v19, -v65, v71, v18
	s_wait_loadcnt 0x1
	v_fmac_f32_e32 v8, v74, v72
	v_fma_f32 v9, -v69, v71, v9
	s_wait_loadcnt 0x0
	v_dual_fmac_f32 v14, v64, v71 :: v_dual_fmac_f32 v15, v79, v72
	v_fmac_f32_e32 v13, v75, v72
	v_fma_f32 v12, -v63, v71, v12
	v_fmac_f32_e32 v9, v76, v72
	v_fmac_f32_e32 v16, v77, v72
	;; [unrolled: 1-line block ×3, first 2 shown]
	v_dual_fmac_f32 v14, v81, v72 :: v_dual_fmac_f32 v15, v78, v73
	v_fmac_f32_e32 v12, v78, v72
	v_fma_f32 v18, -v75, v73, v8
	v_fmac_f32_e32 v13, v74, v73
	v_fma_f32 v21, -v77, v73, v9
	v_fmac_f32_e32 v16, v76, v73
	v_fma_f32 v20, -v79, v73, v12
	v_fma_f32 v19, -v81, v73, v19
	v_fmac_f32_e32 v14, v80, v73
	s_wait_alu 0xfffe
	s_and_not1_b32 exec_lo, exec_lo, s4
	s_cbranch_execnz .LBB94_7
; %bb.8:
	s_or_b32 exec_lo, exec_lo, s4
.LBB94_9:
	s_wait_alu 0xfffe
	s_or_b32 exec_lo, exec_lo, s3
	s_cbranch_execz .LBB94_11
	s_branch .LBB94_16
.LBB94_10:
                                        ; implicit-def: $vgpr13
                                        ; implicit-def: $vgpr18
                                        ; implicit-def: $vgpr19
                                        ; implicit-def: $vgpr14
                                        ; implicit-def: $vgpr20
                                        ; implicit-def: $vgpr15
                                        ; implicit-def: $vgpr21
                                        ; implicit-def: $vgpr16
.LBB94_11:
	v_dual_mov_b32 v13, 0 :: v_dual_mov_b32 v18, 0
	v_dual_mov_b32 v19, 0 :: v_dual_mov_b32 v14, 0
	;; [unrolled: 1-line block ×4, first 2 shown]
	s_and_saveexec_b32 s3, s2
	s_cbranch_execz .LBB94_15
; %bb.12:
	v_mad_co_u64_u32 v[8:9], null, v6, 24, 23
	v_dual_mov_b32 v11, 0 :: v_dual_mov_b32 v18, 0
	v_dual_mov_b32 v13, 0 :: v_dual_mov_b32 v14, 0
	;; [unrolled: 1-line block ×4, first 2 shown]
	v_mov_b32_e32 v21, 0
	s_mov_b32 s2, 0
.LBB94_13:                              ; =>This Inner Loop Header: Depth=1
	v_ashrrev_i32_e32 v7, 31, v6
	v_dual_mov_b32 v47, v11 :: v_dual_add_nc_u32 v22, -11, v8
	v_dual_mov_b32 v23, v11 :: v_dual_add_nc_u32 v24, -5, v8
	s_delay_alu instid0(VALU_DEP_3) | instskip(SKIP_1) | instid1(VALU_DEP_3)
	v_lshlrev_b64_e32 v[9:10], 2, v[6:7]
	v_mov_b32_e32 v25, v11
	v_lshlrev_b64_e32 v[22:23], 3, v[22:23]
	s_delay_alu instid0(VALU_DEP_3) | instskip(SKIP_1) | instid1(VALU_DEP_4)
	v_add_co_u32 v9, vcc_lo, s6, v9
	s_wait_alu 0xfffd
	v_add_co_ci_u32_e64 v10, null, s7, v10, vcc_lo
	global_load_b32 v7, v[9:10], off
	v_subrev_nc_u32_e32 v10, 23, v8
	v_mov_b32_e32 v9, v11
	s_delay_alu instid0(VALU_DEP_2) | instskip(SKIP_2) | instid1(VALU_DEP_2)
	v_lshlrev_b64_e32 v[26:27], 3, v[10:11]
	v_add_nc_u32_e32 v10, -10, v8
	v_lshlrev_b64_e32 v[24:25], 3, v[24:25]
	v_lshlrev_b64_e32 v[38:39], 3, v[10:11]
	v_add_nc_u32_e32 v10, -4, v8
	v_lshlrev_b64_e32 v[28:29], 3, v[8:9]
	v_add_co_u32 v34, vcc_lo, s8, v26
	s_wait_alu 0xfffd
	v_add_co_ci_u32_e64 v35, null, s9, v27, vcc_lo
	v_add_co_u32 v40, vcc_lo, s8, v22
	s_wait_alu 0xfffd
	v_add_co_ci_u32_e64 v41, null, s9, v23, vcc_lo
	v_add_co_u32 v42, vcc_lo, s8, v24
	v_lshlrev_b64_e32 v[9:10], 3, v[10:11]
	s_wait_alu 0xfffd
	v_add_co_ci_u32_e64 v43, null, s9, v25, vcc_lo
	v_add_co_u32 v50, vcc_lo, s8, v28
	s_wait_alu 0xfffd
	v_add_co_ci_u32_e64 v51, null, s9, v29, vcc_lo
	v_add_co_u32 v38, vcc_lo, s8, v38
	;; [unrolled: 3-line block ×3, first 2 shown]
	s_wait_alu 0xfffd
	v_add_co_ci_u32_e64 v10, null, s9, v10, vcc_lo
	s_clause 0x7
	global_load_b128 v[22:25], v[34:35], off offset:32
	global_load_b128 v[26:29], v[34:35], off offset:48
	global_load_b128 v[30:33], v[34:35], off offset:16
	global_load_b128 v[34:37], v[34:35], off
	global_load_b64 v[52:53], v[40:41], off
	global_load_b64 v[54:55], v[42:43], off
	global_load_b64 v[56:57], v[38:39], off
	global_load_b64 v[58:59], v[9:10], off
	s_wait_loadcnt 0x8
	v_subrev_nc_u32_e32 v7, s12, v7
	s_delay_alu instid0(VALU_DEP_1) | instskip(NEXT) | instid1(VALU_DEP_1)
	v_mul_lo_u32 v46, v7, 6
	v_add_nc_u32_e32 v10, 2, v46
	v_lshlrev_b64_e32 v[38:39], 3, v[46:47]
	s_delay_alu instid0(VALU_DEP_2) | instskip(NEXT) | instid1(VALU_DEP_2)
	v_lshlrev_b64_e32 v[40:41], 3, v[10:11]
	v_add_co_u32 v38, vcc_lo, s10, v38
	s_wait_alu 0xfffd
	s_delay_alu instid0(VALU_DEP_3) | instskip(NEXT) | instid1(VALU_DEP_3)
	v_add_co_ci_u32_e64 v39, null, s11, v39, vcc_lo
	v_add_co_u32 v42, vcc_lo, s10, v40
	s_wait_alu 0xfffd
	v_add_co_ci_u32_e64 v43, null, s11, v41, vcc_lo
	s_clause 0x1
	global_load_b128 v[38:41], v[38:39], off
	global_load_b128 v[42:45], v[42:43], off
	s_wait_loadcnt 0x1
	v_dual_fmac_f32 v13, v35, v38 :: v_dual_add_nc_u32 v10, -15, v8
	s_delay_alu instid0(VALU_DEP_1) | instskip(SKIP_2) | instid1(VALU_DEP_4)
	v_lshlrev_b64_e32 v[47:48], 3, v[10:11]
	v_dual_fmac_f32 v21, v26, v38 :: v_dual_add_nc_u32 v10, -9, v8
	v_fmac_f32_e32 v15, v53, v38
	v_dual_fmac_f32 v13, v34, v39 :: v_dual_add_nc_u32 v6, 4, v6
	s_delay_alu instid0(VALU_DEP_3) | instskip(SKIP_4) | instid1(VALU_DEP_3)
	v_lshlrev_b64_e32 v[60:61], 3, v[10:11]
	v_add_nc_u32_e32 v10, -3, v8
	v_add_co_u32 v47, vcc_lo, s8, v47
	s_wait_alu 0xfffd
	v_add_co_ci_u32_e64 v48, null, s9, v48, vcc_lo
	v_lshlrev_b64_e32 v[62:63], 3, v[10:11]
	v_add_co_u32 v60, vcc_lo, s8, v60
	s_wait_alu 0xfffd
	v_add_co_ci_u32_e64 v61, null, s9, v61, vcc_lo
	global_load_b64 v[64:65], v[47:48], off
	v_add_co_u32 v62, vcc_lo, s8, v62
	global_load_b64 v[60:61], v[60:61], off
	s_wait_alu 0xfffd
	v_add_co_ci_u32_e64 v63, null, s9, v63, vcc_lo
	v_dual_fmac_f32 v19, v54, v38 :: v_dual_add_nc_u32 v10, -14, v8
	v_fmac_f32_e32 v15, v52, v39
	global_load_b64 v[62:63], v[62:63], off
	v_fmac_f32_e32 v13, v37, v40
	v_lshlrev_b64_e32 v[47:48], 3, v[10:11]
	v_add_nc_u32_e32 v10, -8, v8
	v_dual_fmac_f32 v18, v34, v38 :: v_dual_fmac_f32 v15, v57, v40
	s_delay_alu instid0(VALU_DEP_4) | instskip(SKIP_1) | instid1(VALU_DEP_4)
	v_fmac_f32_e32 v13, v36, v41
	v_fma_f32 v19, -v55, v39, v19
	v_lshlrev_b64_e32 v[66:67], 3, v[10:11]
	v_add_nc_u32_e32 v10, -2, v8
	v_add_co_u32 v47, vcc_lo, s8, v47
	s_wait_alu 0xfffd
	v_add_co_ci_u32_e64 v48, null, s9, v48, vcc_lo
	s_delay_alu instid0(VALU_DEP_3)
	v_lshlrev_b64_e32 v[68:69], 3, v[10:11]
	v_fma_f32 v7, -v35, v39, v18
	v_add_nc_u32_e32 v10, 4, v46
	v_add_co_u32 v46, vcc_lo, s8, v66
	global_load_b64 v[70:71], v[47:48], off
	s_wait_alu 0xfffd
	v_add_co_ci_u32_e64 v47, null, s9, v67, vcc_lo
	v_add_co_u32 v66, vcc_lo, s8, v68
	s_wait_alu 0xfffd
	v_add_co_ci_u32_e64 v67, null, s9, v69, vcc_lo
	v_fmac_f32_e32 v7, v36, v40
	v_lshlrev_b64_e32 v[48:49], 3, v[10:11]
	v_dual_fmac_f32 v15, v56, v41 :: v_dual_add_nc_u32 v10, -13, v8
	s_clause 0x1
	global_load_b64 v[66:67], v[66:67], off
	global_load_b64 v[68:69], v[46:47], off
	v_fma_f32 v7, -v37, v41, v7
	v_lshlrev_b64_e32 v[46:47], 3, v[10:11]
	v_add_nc_u32_e32 v10, -7, v8
	v_add_co_u32 v48, vcc_lo, s10, v48
	s_wait_loadcnt 0x6
	v_fmac_f32_e32 v7, v30, v42
	s_wait_alu 0xfffd
	v_add_co_ci_u32_e64 v49, null, s11, v49, vcc_lo
	v_lshlrev_b64_e32 v[72:73], 3, v[10:11]
	v_dual_fmac_f32 v13, v31, v42 :: v_dual_add_nc_u32 v10, -1, v8
	v_add_co_u32 v74, vcc_lo, s8, v46
	v_dual_fmac_f32 v16, v27, v38 :: v_dual_fmac_f32 v19, v58, v40
	s_delay_alu instid0(VALU_DEP_3)
	v_lshlrev_b64_e32 v[76:77], 3, v[10:11]
	v_add_nc_u32_e32 v10, -12, v8
	s_wait_alu 0xfffd
	v_add_co_ci_u32_e64 v75, null, s9, v47, vcc_lo
	global_load_b128 v[46:49], v[48:49], off
	v_add_co_u32 v72, vcc_lo, s8, v72
	s_wait_alu 0xfffd
	v_add_co_ci_u32_e64 v73, null, s9, v73, vcc_lo
	v_add_co_u32 v76, vcc_lo, s8, v76
	v_fma_f32 v19, -v59, v41, v19
	s_wait_alu 0xfffd
	v_add_co_ci_u32_e64 v77, null, s9, v77, vcc_lo
	global_load_b64 v[74:75], v[74:75], off
	v_fma_f32 v7, -v31, v43, v7
	v_fma_f32 v12, -v27, v39, v21
	s_clause 0x1
	global_load_b64 v[76:77], v[76:77], off
	global_load_b64 v[72:73], v[72:73], off
	v_dual_fmac_f32 v16, v26, v39 :: v_dual_fmac_f32 v7, v32, v44
	v_dual_fmac_f32 v13, v30, v43 :: v_dual_fmac_f32 v20, v52, v38
	s_delay_alu instid0(VALU_DEP_2) | instskip(SKIP_1) | instid1(VALU_DEP_3)
	v_fma_f32 v7, -v33, v45, v7
	v_fmac_f32_e32 v12, v28, v40
	v_fmac_f32_e32 v13, v33, v44
	s_delay_alu instid0(VALU_DEP_4) | instskip(NEXT) | instid1(VALU_DEP_2)
	v_fma_f32 v18, -v53, v39, v20
	v_dual_fmac_f32 v16, v29, v40 :: v_dual_fmac_f32 v13, v32, v45
	s_wait_loadcnt 0x8
	s_delay_alu instid0(VALU_DEP_2) | instskip(SKIP_3) | instid1(VALU_DEP_4)
	v_dual_fmac_f32 v18, v56, v40 :: v_dual_fmac_f32 v15, v61, v42
	v_lshlrev_b64_e32 v[78:79], 3, v[10:11]
	v_add_nc_u32_e32 v10, -6, v8
	v_add_nc_u32_e32 v8, 0x60, v8
	v_dual_fmac_f32 v14, v55, v38 :: v_dual_fmac_f32 v15, v60, v43
	s_wait_loadcnt 0x7
	v_fmac_f32_e32 v19, v62, v42
	v_lshlrev_b64_e32 v[9:10], 3, v[10:11]
	v_add_co_u32 v78, vcc_lo, s8, v78
	s_wait_alu 0xfffd
	v_add_co_ci_u32_e64 v79, null, s9, v79, vcc_lo
	v_fmac_f32_e32 v14, v54, v39
	s_delay_alu instid0(VALU_DEP_4)
	v_add_co_u32 v9, vcc_lo, s8, v9
	s_wait_alu 0xfffd
	v_add_co_ci_u32_e64 v10, null, s9, v10, vcc_lo
	s_clause 0x2
	global_load_b64 v[78:79], v[78:79], off
	global_load_b64 v[9:10], v[9:10], off
	;; [unrolled: 1-line block ×3, first 2 shown]
	v_fma_f32 v19, -v63, v43, v19
	v_fmac_f32_e32 v16, v28, v41
	v_cmp_ge_i32_e32 vcc_lo, v6, v17
	s_wait_alu 0xfffe
	s_or_b32 s2, vcc_lo, s2
	s_wait_loadcnt 0x8
	v_fmac_f32_e32 v19, v66, v44
	s_wait_loadcnt 0x7
	v_fmac_f32_e32 v15, v69, v44
	v_fmac_f32_e32 v14, v59, v40
	s_delay_alu instid0(VALU_DEP_3) | instskip(NEXT) | instid1(VALU_DEP_3)
	v_fma_f32 v19, -v67, v45, v19
	v_fmac_f32_e32 v15, v68, v45
	s_delay_alu instid0(VALU_DEP_3)
	v_fmac_f32_e32 v14, v58, v41
	s_wait_loadcnt 0x6
	v_fmac_f32_e32 v7, v22, v46
	v_fma_f32 v12, -v29, v41, v12
	v_fmac_f32_e32 v13, v23, v46
	v_fma_f32 v18, -v57, v41, v18
	s_delay_alu instid0(VALU_DEP_4) | instskip(NEXT) | instid1(VALU_DEP_3)
	v_fma_f32 v7, -v23, v47, v7
	v_dual_fmac_f32 v12, v64, v42 :: v_dual_fmac_f32 v13, v22, v47
	s_delay_alu instid0(VALU_DEP_3) | instskip(NEXT) | instid1(VALU_DEP_3)
	v_fmac_f32_e32 v18, v60, v42
	v_dual_fmac_f32 v16, v65, v42 :: v_dual_fmac_f32 v7, v24, v48
	s_delay_alu instid0(VALU_DEP_3) | instskip(NEXT) | instid1(VALU_DEP_4)
	v_fma_f32 v12, -v65, v43, v12
	v_fmac_f32_e32 v13, v25, v48
	s_delay_alu instid0(VALU_DEP_4)
	v_fma_f32 v18, -v61, v43, v18
	s_wait_loadcnt 0x3
	v_fmac_f32_e32 v15, v73, v46
	v_fmac_f32_e32 v14, v63, v42
	v_dual_fmac_f32 v12, v70, v44 :: v_dual_fmac_f32 v13, v24, v49
	v_fmac_f32_e32 v18, v68, v44
	s_delay_alu instid0(VALU_DEP_4) | instskip(SKIP_2) | instid1(VALU_DEP_4)
	v_fmac_f32_e32 v15, v72, v47
	v_fmac_f32_e32 v16, v64, v43
	v_dual_fmac_f32 v14, v62, v43 :: v_dual_fmac_f32 v19, v76, v46
	v_fma_f32 v18, -v69, v45, v18
	v_fma_f32 v12, -v71, v45, v12
	s_delay_alu instid0(VALU_DEP_3) | instskip(NEXT) | instid1(VALU_DEP_3)
	v_fmac_f32_e32 v14, v67, v44
	v_fmac_f32_e32 v18, v72, v46
	s_delay_alu instid0(VALU_DEP_3) | instskip(NEXT) | instid1(VALU_DEP_3)
	v_fmac_f32_e32 v12, v74, v46
	v_fmac_f32_e32 v14, v66, v45
	s_delay_alu instid0(VALU_DEP_3) | instskip(SKIP_2) | instid1(VALU_DEP_4)
	v_fma_f32 v20, -v73, v47, v18
	v_fma_f32 v18, -v25, v49, v7
	;; [unrolled: 1-line block ×3, first 2 shown]
	v_fmac_f32_e32 v14, v77, v46
	v_fma_f32 v12, -v75, v47, v12
	s_delay_alu instid0(VALU_DEP_2) | instskip(SKIP_1) | instid1(VALU_DEP_2)
	v_fmac_f32_e32 v14, v76, v47
	s_wait_loadcnt 0x2
	v_fmac_f32_e32 v12, v78, v48
	s_wait_loadcnt 0x1
	v_fmac_f32_e32 v15, v10, v48
	v_fmac_f32_e32 v16, v71, v44
	;; [unrolled: 1-line block ×3, first 2 shown]
	s_wait_loadcnt 0x0
	v_fmac_f32_e32 v7, v50, v48
	v_dual_fmac_f32 v14, v51, v48 :: v_dual_fmac_f32 v15, v9, v49
	v_fmac_f32_e32 v16, v70, v45
	v_fma_f32 v21, -v79, v49, v12
	v_fma_f32 v20, -v10, v49, v20
	;; [unrolled: 1-line block ×3, first 2 shown]
	v_fmac_f32_e32 v14, v50, v49
	v_fmac_f32_e32 v16, v75, v46
	s_delay_alu instid0(VALU_DEP_1) | instskip(NEXT) | instid1(VALU_DEP_1)
	v_fmac_f32_e32 v16, v74, v47
	v_fmac_f32_e32 v16, v79, v48
	s_delay_alu instid0(VALU_DEP_1)
	v_fmac_f32_e32 v16, v78, v49
	s_wait_alu 0xfffe
	s_and_not1_b32 exec_lo, exec_lo, s2
	s_cbranch_execnz .LBB94_13
; %bb.14:
	s_or_b32 exec_lo, exec_lo, s2
.LBB94_15:
	s_wait_alu 0xfffe
	s_or_b32 exec_lo, exec_lo, s3
.LBB94_16:
	v_mbcnt_lo_u32_b32 v6, -1, 0
	s_delay_alu instid0(VALU_DEP_1) | instskip(NEXT) | instid1(VALU_DEP_1)
	v_xor_b32_e32 v7, 2, v6
	v_cmp_gt_i32_e32 vcc_lo, 32, v7
	s_wait_alu 0xfffd
	v_cndmask_b32_e32 v7, v6, v7, vcc_lo
	s_delay_alu instid0(VALU_DEP_1)
	v_lshlrev_b32_e32 v7, 2, v7
	ds_bpermute_b32 v8, v7, v18
	ds_bpermute_b32 v9, v7, v13
	;; [unrolled: 1-line block ×8, first 2 shown]
	v_xor_b32_e32 v7, 1, v6
	s_delay_alu instid0(VALU_DEP_1)
	v_cmp_gt_i32_e32 vcc_lo, 32, v7
	s_wait_alu 0xfffd
	v_cndmask_b32_e32 v6, v6, v7, vcc_lo
	v_cmp_eq_u32_e32 vcc_lo, 3, v0
	s_wait_dscnt 0x6
	v_add_f32_e32 v10, v13, v9
	s_wait_dscnt 0x5
	v_add_f32_e32 v11, v21, v11
	;; [unrolled: 2-line block ×3, first 2 shown]
	s_wait_dscnt 0x3
	v_dual_add_f32 v16, v20, v17 :: v_dual_lshlrev_b32 v25, 2, v6
	s_wait_dscnt 0x2
	v_dual_add_f32 v6, v18, v8 :: v_dual_add_f32 v15, v15, v22
	s_wait_dscnt 0x1
	v_add_f32_e32 v7, v19, v23
	s_wait_dscnt 0x0
	v_add_f32_e32 v9, v14, v24
	ds_bpermute_b32 v12, v25, v10
	ds_bpermute_b32 v8, v25, v6
	;; [unrolled: 1-line block ×8, first 2 shown]
	s_and_b32 exec_lo, exec_lo, vcc_lo
	s_cbranch_execz .LBB94_21
; %bb.17:
	s_load_b64 s[2:3], s[0:1], 0x38
	v_cmp_eq_f32_e32 vcc_lo, 0, v3
	v_cmp_eq_f32_e64 s0, 0, v4
	s_wait_dscnt 0x6
	v_add_f32_e32 v8, v6, v8
	s_wait_dscnt 0x1
	v_dual_add_f32 v12, v10, v12 :: v_dual_add_f32 v7, v7, v14
	s_wait_dscnt 0x0
	v_dual_add_f32 v0, v11, v18 :: v_dual_add_f32 v9, v9, v17
	v_dual_add_f32 v11, v13, v19 :: v_dual_add_f32 v6, v16, v20
	v_add_f32_e32 v10, v15, v21
	s_and_b32 s0, vcc_lo, s0
	s_wait_alu 0xfffe
	s_and_saveexec_b32 s1, s0
	s_wait_alu 0xfffe
	s_xor_b32 s0, exec_lo, s1
	s_cbranch_execz .LBB94_19
; %bb.18:
	v_dual_mul_f32 v14, v1, v12 :: v_dual_lshlrev_b32 v3, 2, v5
	v_mul_f32_e64 v13, v12, -v2
	v_mul_f32_e64 v15, v11, -v2
	v_mul_f32_e32 v16, v1, v11
	s_delay_alu instid0(VALU_DEP_4)
	v_ashrrev_i32_e32 v4, 31, v3
	v_mul_f32_e64 v17, v10, -v2
	v_mul_f32_e32 v18, v1, v10
	v_mul_f32_e64 v19, v9, -v2
	v_mul_f32_e32 v20, v1, v9
	v_lshlrev_b64_e32 v[3:4], 3, v[3:4]
	s_delay_alu instid0(VALU_DEP_4) | instskip(SKIP_1) | instid1(VALU_DEP_4)
	v_dual_fmac_f32 v13, v1, v8 :: v_dual_fmac_f32 v18, v2, v6
	v_dual_fmac_f32 v14, v2, v8 :: v_dual_fmac_f32 v17, v1, v6
	;; [unrolled: 1-line block ×3, first 2 shown]
	s_wait_kmcnt 0x0
	s_delay_alu instid0(VALU_DEP_4)
	v_add_co_u32 v3, vcc_lo, s2, v3
	s_wait_alu 0xfffd
	v_add_co_ci_u32_e64 v4, null, s3, v4, vcc_lo
	v_dual_fmac_f32 v16, v2, v0 :: v_dual_fmac_f32 v19, v1, v7
	s_clause 0x1
	global_store_b128 v[3:4], v[13:16], off
	global_store_b128 v[3:4], v[17:20], off offset:16
                                        ; implicit-def: $vgpr5
                                        ; implicit-def: $vgpr8
                                        ; implicit-def: $vgpr12
                                        ; implicit-def: $vgpr0
                                        ; implicit-def: $vgpr11
                                        ; implicit-def: $vgpr6
                                        ; implicit-def: $vgpr10
                                        ; implicit-def: $vgpr7
                                        ; implicit-def: $vgpr9
                                        ; implicit-def: $vgpr1_vgpr2
                                        ; implicit-def: $vgpr3_vgpr4
.LBB94_19:
	s_wait_alu 0xfffe
	s_and_not1_saveexec_b32 s0, s0
	s_cbranch_execz .LBB94_21
; %bb.20:
	v_dual_mul_f32 v22, v1, v12 :: v_dual_lshlrev_b32 v13, 2, v5
	v_mul_f32_e64 v5, v12, -v2
	v_mul_f32_e64 v23, v11, -v2
	;; [unrolled: 1-line block ×3, first 2 shown]
	s_delay_alu instid0(VALU_DEP_4) | instskip(NEXT) | instid1(VALU_DEP_4)
	v_ashrrev_i32_e32 v14, 31, v13
	v_fmac_f32_e32 v5, v1, v8
	s_delay_alu instid0(VALU_DEP_2) | instskip(SKIP_1) | instid1(VALU_DEP_1)
	v_lshlrev_b64_e32 v[13:14], 3, v[13:14]
	s_wait_kmcnt 0x0
	v_add_co_u32 v25, vcc_lo, s2, v13
	s_wait_alu 0xfffd
	s_delay_alu instid0(VALU_DEP_2)
	v_add_co_ci_u32_e64 v26, null, s3, v14, vcc_lo
	s_clause 0x1
	global_load_b128 v[13:16], v[25:26], off
	global_load_b128 v[17:20], v[25:26], off offset:16
	v_mul_f32_e32 v24, v1, v11
	v_mul_f32_e64 v11, v10, -v2
	s_delay_alu instid0(VALU_DEP_1) | instskip(SKIP_1) | instid1(VALU_DEP_1)
	v_dual_fmac_f32 v22, v2, v8 :: v_dual_fmac_f32 v11, v1, v6
	s_wait_loadcnt 0x1
	v_dual_fmac_f32 v27, v1, v7 :: v_dual_fmac_f32 v22, v4, v13
	s_wait_loadcnt 0x0
	s_delay_alu instid0(VALU_DEP_1) | instskip(SKIP_3) | instid1(VALU_DEP_4)
	v_dual_mul_f32 v12, v1, v9 :: v_dual_fmac_f32 v27, v3, v19
	v_fmac_f32_e32 v23, v1, v0
	v_fmac_f32_e32 v11, v3, v17
	;; [unrolled: 1-line block ×4, first 2 shown]
	s_delay_alu instid0(VALU_DEP_4) | instskip(NEXT) | instid1(VALU_DEP_4)
	v_dual_mul_f32 v10, v1, v10 :: v_dual_fmac_f32 v23, v3, v15
	v_fma_f32 v9, -v4, v18, v11
	v_fma_f32 v11, -v4, v20, v27
	s_delay_alu instid0(VALU_DEP_4) | instskip(NEXT) | instid1(VALU_DEP_4)
	v_fmac_f32_e32 v12, v4, v19
	v_dual_fmac_f32 v10, v2, v6 :: v_dual_fmac_f32 v5, v3, v13
	v_fmac_f32_e32 v24, v2, v0
	v_fma_f32 v23, -v4, v16, v23
	s_delay_alu instid0(VALU_DEP_4) | instskip(NEXT) | instid1(VALU_DEP_4)
	v_fmac_f32_e32 v12, v3, v20
	v_fmac_f32_e32 v10, v4, v17
	v_fma_f32 v21, -v4, v14, v5
	v_fmac_f32_e32 v24, v4, v15
	s_delay_alu instid0(VALU_DEP_3) | instskip(NEXT) | instid1(VALU_DEP_2)
	v_fmac_f32_e32 v10, v3, v18
	v_fmac_f32_e32 v24, v3, v16
	s_clause 0x1
	global_store_b128 v[25:26], v[21:24], off
	global_store_b128 v[25:26], v[9:12], off offset:16
.LBB94_21:
	s_endpgm
	.section	.rodata,"a",@progbits
	.p2align	6, 0x0
	.amdhsa_kernel _ZN9rocsparseL19gebsrmvn_4xn_kernelILj128ELj6ELj4E21rocsparse_complex_numIfEEEvi20rocsparse_direction_NS_24const_host_device_scalarIT2_EEPKiS8_PKS5_SA_S6_PS5_21rocsparse_index_base_b
		.amdhsa_group_segment_fixed_size 0
		.amdhsa_private_segment_fixed_size 0
		.amdhsa_kernarg_size 72
		.amdhsa_user_sgpr_count 2
		.amdhsa_user_sgpr_dispatch_ptr 0
		.amdhsa_user_sgpr_queue_ptr 0
		.amdhsa_user_sgpr_kernarg_segment_ptr 1
		.amdhsa_user_sgpr_dispatch_id 0
		.amdhsa_user_sgpr_private_segment_size 0
		.amdhsa_wavefront_size32 1
		.amdhsa_uses_dynamic_stack 0
		.amdhsa_enable_private_segment 0
		.amdhsa_system_sgpr_workgroup_id_x 1
		.amdhsa_system_sgpr_workgroup_id_y 0
		.amdhsa_system_sgpr_workgroup_id_z 0
		.amdhsa_system_sgpr_workgroup_info 0
		.amdhsa_system_vgpr_workitem_id 0
		.amdhsa_next_free_vgpr 82
		.amdhsa_next_free_sgpr 14
		.amdhsa_reserve_vcc 1
		.amdhsa_float_round_mode_32 0
		.amdhsa_float_round_mode_16_64 0
		.amdhsa_float_denorm_mode_32 3
		.amdhsa_float_denorm_mode_16_64 3
		.amdhsa_fp16_overflow 0
		.amdhsa_workgroup_processor_mode 1
		.amdhsa_memory_ordered 1
		.amdhsa_forward_progress 1
		.amdhsa_inst_pref_size 32
		.amdhsa_round_robin_scheduling 0
		.amdhsa_exception_fp_ieee_invalid_op 0
		.amdhsa_exception_fp_denorm_src 0
		.amdhsa_exception_fp_ieee_div_zero 0
		.amdhsa_exception_fp_ieee_overflow 0
		.amdhsa_exception_fp_ieee_underflow 0
		.amdhsa_exception_fp_ieee_inexact 0
		.amdhsa_exception_int_div_zero 0
	.end_amdhsa_kernel
	.section	.text._ZN9rocsparseL19gebsrmvn_4xn_kernelILj128ELj6ELj4E21rocsparse_complex_numIfEEEvi20rocsparse_direction_NS_24const_host_device_scalarIT2_EEPKiS8_PKS5_SA_S6_PS5_21rocsparse_index_base_b,"axG",@progbits,_ZN9rocsparseL19gebsrmvn_4xn_kernelILj128ELj6ELj4E21rocsparse_complex_numIfEEEvi20rocsparse_direction_NS_24const_host_device_scalarIT2_EEPKiS8_PKS5_SA_S6_PS5_21rocsparse_index_base_b,comdat
.Lfunc_end94:
	.size	_ZN9rocsparseL19gebsrmvn_4xn_kernelILj128ELj6ELj4E21rocsparse_complex_numIfEEEvi20rocsparse_direction_NS_24const_host_device_scalarIT2_EEPKiS8_PKS5_SA_S6_PS5_21rocsparse_index_base_b, .Lfunc_end94-_ZN9rocsparseL19gebsrmvn_4xn_kernelILj128ELj6ELj4E21rocsparse_complex_numIfEEEvi20rocsparse_direction_NS_24const_host_device_scalarIT2_EEPKiS8_PKS5_SA_S6_PS5_21rocsparse_index_base_b
                                        ; -- End function
	.set _ZN9rocsparseL19gebsrmvn_4xn_kernelILj128ELj6ELj4E21rocsparse_complex_numIfEEEvi20rocsparse_direction_NS_24const_host_device_scalarIT2_EEPKiS8_PKS5_SA_S6_PS5_21rocsparse_index_base_b.num_vgpr, 82
	.set _ZN9rocsparseL19gebsrmvn_4xn_kernelILj128ELj6ELj4E21rocsparse_complex_numIfEEEvi20rocsparse_direction_NS_24const_host_device_scalarIT2_EEPKiS8_PKS5_SA_S6_PS5_21rocsparse_index_base_b.num_agpr, 0
	.set _ZN9rocsparseL19gebsrmvn_4xn_kernelILj128ELj6ELj4E21rocsparse_complex_numIfEEEvi20rocsparse_direction_NS_24const_host_device_scalarIT2_EEPKiS8_PKS5_SA_S6_PS5_21rocsparse_index_base_b.numbered_sgpr, 14
	.set _ZN9rocsparseL19gebsrmvn_4xn_kernelILj128ELj6ELj4E21rocsparse_complex_numIfEEEvi20rocsparse_direction_NS_24const_host_device_scalarIT2_EEPKiS8_PKS5_SA_S6_PS5_21rocsparse_index_base_b.num_named_barrier, 0
	.set _ZN9rocsparseL19gebsrmvn_4xn_kernelILj128ELj6ELj4E21rocsparse_complex_numIfEEEvi20rocsparse_direction_NS_24const_host_device_scalarIT2_EEPKiS8_PKS5_SA_S6_PS5_21rocsparse_index_base_b.private_seg_size, 0
	.set _ZN9rocsparseL19gebsrmvn_4xn_kernelILj128ELj6ELj4E21rocsparse_complex_numIfEEEvi20rocsparse_direction_NS_24const_host_device_scalarIT2_EEPKiS8_PKS5_SA_S6_PS5_21rocsparse_index_base_b.uses_vcc, 1
	.set _ZN9rocsparseL19gebsrmvn_4xn_kernelILj128ELj6ELj4E21rocsparse_complex_numIfEEEvi20rocsparse_direction_NS_24const_host_device_scalarIT2_EEPKiS8_PKS5_SA_S6_PS5_21rocsparse_index_base_b.uses_flat_scratch, 0
	.set _ZN9rocsparseL19gebsrmvn_4xn_kernelILj128ELj6ELj4E21rocsparse_complex_numIfEEEvi20rocsparse_direction_NS_24const_host_device_scalarIT2_EEPKiS8_PKS5_SA_S6_PS5_21rocsparse_index_base_b.has_dyn_sized_stack, 0
	.set _ZN9rocsparseL19gebsrmvn_4xn_kernelILj128ELj6ELj4E21rocsparse_complex_numIfEEEvi20rocsparse_direction_NS_24const_host_device_scalarIT2_EEPKiS8_PKS5_SA_S6_PS5_21rocsparse_index_base_b.has_recursion, 0
	.set _ZN9rocsparseL19gebsrmvn_4xn_kernelILj128ELj6ELj4E21rocsparse_complex_numIfEEEvi20rocsparse_direction_NS_24const_host_device_scalarIT2_EEPKiS8_PKS5_SA_S6_PS5_21rocsparse_index_base_b.has_indirect_call, 0
	.section	.AMDGPU.csdata,"",@progbits
; Kernel info:
; codeLenInByte = 4024
; TotalNumSgprs: 16
; NumVgprs: 82
; ScratchSize: 0
; MemoryBound: 0
; FloatMode: 240
; IeeeMode: 1
; LDSByteSize: 0 bytes/workgroup (compile time only)
; SGPRBlocks: 0
; VGPRBlocks: 10
; NumSGPRsForWavesPerEU: 16
; NumVGPRsForWavesPerEU: 82
; Occupancy: 16
; WaveLimiterHint : 1
; COMPUTE_PGM_RSRC2:SCRATCH_EN: 0
; COMPUTE_PGM_RSRC2:USER_SGPR: 2
; COMPUTE_PGM_RSRC2:TRAP_HANDLER: 0
; COMPUTE_PGM_RSRC2:TGID_X_EN: 1
; COMPUTE_PGM_RSRC2:TGID_Y_EN: 0
; COMPUTE_PGM_RSRC2:TGID_Z_EN: 0
; COMPUTE_PGM_RSRC2:TIDIG_COMP_CNT: 0
	.section	.text._ZN9rocsparseL19gebsrmvn_4xn_kernelILj128ELj6ELj8E21rocsparse_complex_numIfEEEvi20rocsparse_direction_NS_24const_host_device_scalarIT2_EEPKiS8_PKS5_SA_S6_PS5_21rocsparse_index_base_b,"axG",@progbits,_ZN9rocsparseL19gebsrmvn_4xn_kernelILj128ELj6ELj8E21rocsparse_complex_numIfEEEvi20rocsparse_direction_NS_24const_host_device_scalarIT2_EEPKiS8_PKS5_SA_S6_PS5_21rocsparse_index_base_b,comdat
	.globl	_ZN9rocsparseL19gebsrmvn_4xn_kernelILj128ELj6ELj8E21rocsparse_complex_numIfEEEvi20rocsparse_direction_NS_24const_host_device_scalarIT2_EEPKiS8_PKS5_SA_S6_PS5_21rocsparse_index_base_b ; -- Begin function _ZN9rocsparseL19gebsrmvn_4xn_kernelILj128ELj6ELj8E21rocsparse_complex_numIfEEEvi20rocsparse_direction_NS_24const_host_device_scalarIT2_EEPKiS8_PKS5_SA_S6_PS5_21rocsparse_index_base_b
	.p2align	8
	.type	_ZN9rocsparseL19gebsrmvn_4xn_kernelILj128ELj6ELj8E21rocsparse_complex_numIfEEEvi20rocsparse_direction_NS_24const_host_device_scalarIT2_EEPKiS8_PKS5_SA_S6_PS5_21rocsparse_index_base_b,@function
_ZN9rocsparseL19gebsrmvn_4xn_kernelILj128ELj6ELj8E21rocsparse_complex_numIfEEEvi20rocsparse_direction_NS_24const_host_device_scalarIT2_EEPKiS8_PKS5_SA_S6_PS5_21rocsparse_index_base_b: ; @_ZN9rocsparseL19gebsrmvn_4xn_kernelILj128ELj6ELj8E21rocsparse_complex_numIfEEEvi20rocsparse_direction_NS_24const_host_device_scalarIT2_EEPKiS8_PKS5_SA_S6_PS5_21rocsparse_index_base_b
; %bb.0:
	s_clause 0x2
	s_load_b64 s[12:13], s[0:1], 0x40
	s_load_b64 s[2:3], s[0:1], 0x8
	;; [unrolled: 1-line block ×3, first 2 shown]
	s_add_nc_u64 s[6:7], s[0:1], 8
	s_wait_kmcnt 0x0
	s_bitcmp1_b32 s13, 0
	s_cselect_b32 s2, s6, s2
	s_cselect_b32 s3, s7, s3
	s_delay_alu instid0(SALU_CYCLE_1)
	v_dual_mov_b32 v1, s2 :: v_dual_mov_b32 v2, s3
	s_add_nc_u64 s[2:3], s[0:1], 48
	s_wait_alu 0xfffe
	s_cselect_b32 s2, s2, s4
	s_cselect_b32 s3, s3, s5
	flat_load_b64 v[1:2], v[1:2]
	s_wait_alu 0xfffe
	v_dual_mov_b32 v3, s2 :: v_dual_mov_b32 v4, s3
	flat_load_b64 v[3:4], v[3:4]
	s_wait_loadcnt_dscnt 0x101
	v_cmp_eq_f32_e32 vcc_lo, 0, v1
	v_cmp_eq_f32_e64 s2, 0, v2
	s_and_b32 s4, vcc_lo, s2
	s_mov_b32 s2, -1
	s_and_saveexec_b32 s3, s4
	s_cbranch_execz .LBB95_2
; %bb.1:
	s_wait_loadcnt_dscnt 0x0
	v_cmp_neq_f32_e32 vcc_lo, 1.0, v3
	v_cmp_neq_f32_e64 s2, 0, v4
	s_wait_alu 0xfffe
	s_or_b32 s2, vcc_lo, s2
	s_wait_alu 0xfffe
	s_or_not1_b32 s2, s2, exec_lo
.LBB95_2:
	s_wait_alu 0xfffe
	s_or_b32 exec_lo, exec_lo, s3
	s_and_saveexec_b32 s3, s2
	s_cbranch_execz .LBB95_21
; %bb.3:
	s_load_b64 s[2:3], s[0:1], 0x0
	v_lshrrev_b32_e32 v5, 3, v0
	s_delay_alu instid0(VALU_DEP_1) | instskip(SKIP_1) | instid1(VALU_DEP_1)
	v_lshl_or_b32 v5, ttmp9, 4, v5
	s_wait_kmcnt 0x0
	v_cmp_gt_i32_e32 vcc_lo, s2, v5
	s_and_b32 exec_lo, exec_lo, vcc_lo
	s_cbranch_execz .LBB95_21
; %bb.4:
	s_load_b256 s[4:11], s[0:1], 0x10
	v_ashrrev_i32_e32 v6, 31, v5
	v_and_b32_e32 v0, 7, v0
	s_cmp_lg_u32 s3, 0
	s_delay_alu instid0(VALU_DEP_2) | instskip(SKIP_1) | instid1(VALU_DEP_1)
	v_lshlrev_b64_e32 v[6:7], 2, v[5:6]
	s_wait_kmcnt 0x0
	v_add_co_u32 v6, vcc_lo, s4, v6
	s_delay_alu instid0(VALU_DEP_1) | instskip(SKIP_4) | instid1(VALU_DEP_2)
	v_add_co_ci_u32_e64 v7, null, s5, v7, vcc_lo
	global_load_b64 v[6:7], v[6:7], off
	s_wait_loadcnt 0x0
	v_subrev_nc_u32_e32 v6, s12, v6
	v_subrev_nc_u32_e32 v17, s12, v7
	v_add_nc_u32_e32 v6, v6, v0
	s_delay_alu instid0(VALU_DEP_1)
	v_cmp_lt_i32_e64 s2, v6, v17
	s_cbranch_scc0 .LBB95_10
; %bb.5:
	v_dual_mov_b32 v13, 0 :: v_dual_mov_b32 v18, 0
	v_dual_mov_b32 v19, 0 :: v_dual_mov_b32 v14, 0
	v_dual_mov_b32 v20, 0 :: v_dual_mov_b32 v15, 0
	v_dual_mov_b32 v21, 0 :: v_dual_mov_b32 v16, 0
	s_and_saveexec_b32 s3, s2
	s_cbranch_execz .LBB95_9
; %bb.6:
	v_mad_co_u64_u32 v[7:8], null, v6, 24, 20
	v_dual_mov_b32 v10, 0 :: v_dual_mov_b32 v11, v6
	v_dual_mov_b32 v13, 0 :: v_dual_mov_b32 v18, 0
	;; [unrolled: 1-line block ×5, first 2 shown]
	s_mov_b32 s4, 0
.LBB95_7:                               ; =>This Inner Loop Header: Depth=1
	v_ashrrev_i32_e32 v12, 31, v11
	v_mov_b32_e32 v51, v10
	s_delay_alu instid0(VALU_DEP_2) | instskip(NEXT) | instid1(VALU_DEP_1)
	v_lshlrev_b64_e32 v[8:9], 2, v[11:12]
	v_add_co_u32 v8, vcc_lo, s6, v8
	s_wait_alu 0xfffd
	s_delay_alu instid0(VALU_DEP_2) | instskip(SKIP_3) | instid1(VALU_DEP_2)
	v_add_co_ci_u32_e64 v9, null, s7, v9, vcc_lo
	global_load_b32 v12, v[8:9], off
	v_subrev_nc_u32_e32 v9, 20, v7
	v_mov_b32_e32 v8, v10
	v_lshlrev_b64_e32 v[22:23], 3, v[9:10]
	v_add_nc_u32_e32 v9, -12, v7
	s_delay_alu instid0(VALU_DEP_3) | instskip(NEXT) | instid1(VALU_DEP_2)
	v_lshlrev_b64_e32 v[24:25], 3, v[7:8]
	v_lshlrev_b64_e32 v[8:9], 3, v[9:10]
	s_delay_alu instid0(VALU_DEP_4) | instskip(SKIP_2) | instid1(VALU_DEP_4)
	v_add_co_u32 v34, vcc_lo, s8, v22
	s_wait_alu 0xfffd
	v_add_co_ci_u32_e64 v35, null, s9, v23, vcc_lo
	v_add_co_u32 v78, vcc_lo, s8, v24
	s_wait_alu 0xfffd
	v_add_co_ci_u32_e64 v79, null, s9, v25, vcc_lo
	v_add_co_u32 v8, vcc_lo, s8, v8
	s_wait_alu 0xfffd
	v_add_co_ci_u32_e64 v9, null, s9, v9, vcc_lo
	s_clause 0x5
	global_load_b128 v[22:25], v[34:35], off offset:48
	global_load_b128 v[26:29], v[34:35], off offset:32
	;; [unrolled: 1-line block ×3, first 2 shown]
	global_load_b128 v[34:37], v[34:35], off
	global_load_b128 v[38:41], v[8:9], off offset:16
	global_load_b128 v[42:45], v[8:9], off
	s_wait_loadcnt 0x6
	v_subrev_nc_u32_e32 v8, s12, v12
	s_delay_alu instid0(VALU_DEP_1) | instskip(NEXT) | instid1(VALU_DEP_1)
	v_mul_lo_u32 v50, v8, 6
	v_lshlrev_b64_e32 v[46:47], 3, v[50:51]
	s_delay_alu instid0(VALU_DEP_1) | instskip(SKIP_1) | instid1(VALU_DEP_2)
	v_add_co_u32 v46, vcc_lo, s10, v46
	s_wait_alu 0xfffd
	v_add_co_ci_u32_e64 v47, null, s11, v47, vcc_lo
	global_load_b128 v[46:49], v[46:47], off
	v_add_nc_u32_e32 v9, 2, v50
	s_delay_alu instid0(VALU_DEP_1) | instskip(SKIP_1) | instid1(VALU_DEP_1)
	v_lshlrev_b64_e32 v[51:52], 3, v[9:10]
	v_add_nc_u32_e32 v9, -8, v7
	v_lshlrev_b64_e32 v[54:55], 3, v[9:10]
	s_delay_alu instid0(VALU_DEP_3) | instskip(SKIP_3) | instid1(VALU_DEP_4)
	v_add_co_u32 v51, vcc_lo, s10, v51
	v_add_nc_u32_e32 v9, -4, v7
	s_wait_alu 0xfffd
	v_add_co_ci_u32_e64 v52, null, s11, v52, vcc_lo
	v_add_co_u32 v58, vcc_lo, s8, v54
	s_delay_alu instid0(VALU_DEP_3)
	v_lshlrev_b64_e32 v[62:63], 3, v[9:10]
	v_add_nc_u32_e32 v9, 4, v50
	global_load_b128 v[50:53], v[51:52], off
	s_wait_alu 0xfffd
	v_add_co_ci_u32_e64 v59, null, s9, v55, vcc_lo
	v_add_nc_u32_e32 v11, 8, v11
	s_clause 0x1
	global_load_b128 v[54:57], v[58:59], off
	global_load_b128 v[58:61], v[58:59], off offset:16
	v_add_co_u32 v66, vcc_lo, s8, v62
	s_wait_alu 0xfffd
	v_add_co_ci_u32_e64 v67, null, s9, v63, vcc_lo
	s_wait_loadcnt 0x3
	v_fmac_f32_e32 v14, v33, v46
	v_fmac_f32_e32 v18, v34, v46
	;; [unrolled: 1-line block ×4, first 2 shown]
	s_delay_alu instid0(VALU_DEP_4)
	v_fmac_f32_e32 v14, v32, v47
	v_lshlrev_b64_e32 v[8:9], 3, v[9:10]
	v_fmac_f32_e32 v19, v32, v46
	v_dual_fmac_f32 v16, v36, v47 :: v_dual_fmac_f32 v13, v35, v46
	v_fma_f32 v12, -v31, v47, v20
	v_fmac_f32_e32 v21, v36, v46
	v_add_co_u32 v8, vcc_lo, s10, v8
	s_wait_alu 0xfffd
	v_add_co_ci_u32_e64 v9, null, s11, v9, vcc_lo
	s_clause 0x1
	global_load_b128 v[62:65], v[66:67], off offset:16
	global_load_b128 v[66:69], v[66:67], off
	global_load_b128 v[70:73], v[8:9], off
	s_clause 0x1
	global_load_b128 v[74:77], v[78:79], off
	global_load_b128 v[78:81], v[78:79], off offset:16
	v_fma_f32 v8, -v35, v47, v18
	v_dual_fmac_f32 v16, v29, v48 :: v_dual_add_nc_u32 v7, 0xc0, v7
	v_dual_fmac_f32 v13, v34, v47 :: v_dual_fmac_f32 v14, v25, v48
	v_fma_f32 v18, -v33, v47, v19
	s_delay_alu instid0(VALU_DEP_4) | instskip(SKIP_2) | instid1(VALU_DEP_3)
	v_dual_fmac_f32 v15, v31, v46 :: v_dual_fmac_f32 v8, v26, v48
	v_fmac_f32_e32 v12, v22, v48
	v_fma_f32 v9, -v37, v47, v21
	v_dual_fmac_f32 v18, v24, v48 :: v_dual_fmac_f32 v15, v30, v47
	v_fmac_f32_e32 v14, v24, v49
	v_fma_f32 v8, -v27, v49, v8
	;; [unrolled: 3-line block ×3, first 2 shown]
	v_fmac_f32_e32 v15, v23, v48
	v_fma_f32 v18, -v25, v49, v18
	s_wait_loadcnt 0x7
	v_fmac_f32_e32 v8, v42, v50
	v_dual_fmac_f32 v13, v26, v49 :: v_dual_fmac_f32 v16, v45, v50
	v_fma_f32 v9, -v29, v49, v9
	v_fmac_f32_e32 v12, v38, v50
	v_dual_fmac_f32 v15, v22, v49 :: v_dual_fmac_f32 v14, v41, v50
	v_fmac_f32_e32 v18, v40, v50
	v_dual_fmac_f32 v13, v43, v50 :: v_dual_fmac_f32 v16, v44, v51
	s_delay_alu instid0(VALU_DEP_3)
	v_dual_fmac_f32 v15, v39, v50 :: v_dual_fmac_f32 v14, v40, v51
	v_fma_f32 v8, -v43, v51, v8
	v_fmac_f32_e32 v9, v44, v50
	s_wait_loadcnt 0x6
	v_dual_fmac_f32 v13, v42, v51 :: v_dual_fmac_f32 v16, v57, v52
	v_fma_f32 v12, -v39, v51, v12
	v_fma_f32 v18, -v41, v51, v18
	v_fmac_f32_e32 v15, v38, v51
	v_fmac_f32_e32 v8, v54, v52
	v_fma_f32 v9, -v45, v51, v9
	v_dual_fmac_f32 v13, v55, v52 :: v_dual_fmac_f32 v16, v56, v53
	s_wait_loadcnt 0x5
	v_fmac_f32_e32 v18, v60, v52
	v_fmac_f32_e32 v14, v61, v52
	v_fma_f32 v8, -v55, v53, v8
	v_fmac_f32_e32 v9, v56, v52
	v_fmac_f32_e32 v13, v54, v53
	;; [unrolled: 1-line block ×3, first 2 shown]
	v_dual_fmac_f32 v15, v59, v52 :: v_dual_fmac_f32 v14, v60, v53
	v_fma_f32 v18, -v61, v53, v18
	v_cmp_ge_i32_e32 vcc_lo, v11, v17
	s_delay_alu instid0(VALU_DEP_3)
	v_fmac_f32_e32 v15, v58, v53
	s_wait_alu 0xfffe
	s_or_b32 s4, vcc_lo, s4
	s_wait_loadcnt 0x2
	v_fmac_f32_e32 v8, v66, v70
	v_fma_f32 v9, -v57, v53, v9
	v_fmac_f32_e32 v13, v67, v70
	v_fma_f32 v12, -v59, v53, v12
	v_fmac_f32_e32 v16, v69, v70
	v_fmac_f32_e32 v15, v63, v70
	s_delay_alu instid0(VALU_DEP_4) | instskip(NEXT) | instid1(VALU_DEP_4)
	v_dual_fmac_f32 v18, v64, v70 :: v_dual_fmac_f32 v13, v66, v71
	v_fmac_f32_e32 v12, v62, v70
	v_fma_f32 v8, -v67, v71, v8
	v_fmac_f32_e32 v9, v68, v70
	v_fmac_f32_e32 v16, v68, v71
	v_dual_fmac_f32 v14, v65, v70 :: v_dual_fmac_f32 v15, v62, v71
	v_fma_f32 v19, -v65, v71, v18
	s_wait_loadcnt 0x1
	v_fmac_f32_e32 v8, v74, v72
	v_fma_f32 v9, -v69, v71, v9
	s_wait_loadcnt 0x0
	v_dual_fmac_f32 v14, v64, v71 :: v_dual_fmac_f32 v15, v79, v72
	v_fmac_f32_e32 v13, v75, v72
	v_fma_f32 v12, -v63, v71, v12
	v_fmac_f32_e32 v9, v76, v72
	v_fmac_f32_e32 v16, v77, v72
	;; [unrolled: 1-line block ×3, first 2 shown]
	v_dual_fmac_f32 v14, v81, v72 :: v_dual_fmac_f32 v15, v78, v73
	v_fmac_f32_e32 v12, v78, v72
	v_fma_f32 v18, -v75, v73, v8
	v_fmac_f32_e32 v13, v74, v73
	v_fma_f32 v21, -v77, v73, v9
	;; [unrolled: 2-line block ×3, first 2 shown]
	v_fma_f32 v19, -v81, v73, v19
	v_fmac_f32_e32 v14, v80, v73
	s_wait_alu 0xfffe
	s_and_not1_b32 exec_lo, exec_lo, s4
	s_cbranch_execnz .LBB95_7
; %bb.8:
	s_or_b32 exec_lo, exec_lo, s4
.LBB95_9:
	s_wait_alu 0xfffe
	s_or_b32 exec_lo, exec_lo, s3
	s_cbranch_execz .LBB95_11
	s_branch .LBB95_16
.LBB95_10:
                                        ; implicit-def: $vgpr13
                                        ; implicit-def: $vgpr18
                                        ; implicit-def: $vgpr19
                                        ; implicit-def: $vgpr14
                                        ; implicit-def: $vgpr20
                                        ; implicit-def: $vgpr15
                                        ; implicit-def: $vgpr21
                                        ; implicit-def: $vgpr16
.LBB95_11:
	v_dual_mov_b32 v13, 0 :: v_dual_mov_b32 v18, 0
	v_dual_mov_b32 v19, 0 :: v_dual_mov_b32 v14, 0
	;; [unrolled: 1-line block ×4, first 2 shown]
	s_and_saveexec_b32 s3, s2
	s_cbranch_execz .LBB95_15
; %bb.12:
	v_mad_co_u64_u32 v[8:9], null, v6, 24, 23
	v_dual_mov_b32 v11, 0 :: v_dual_mov_b32 v18, 0
	v_dual_mov_b32 v13, 0 :: v_dual_mov_b32 v14, 0
	v_dual_mov_b32 v19, 0 :: v_dual_mov_b32 v20, 0
	v_dual_mov_b32 v15, 0 :: v_dual_mov_b32 v16, 0
	v_mov_b32_e32 v21, 0
	s_mov_b32 s2, 0
.LBB95_13:                              ; =>This Inner Loop Header: Depth=1
	v_ashrrev_i32_e32 v7, 31, v6
	v_dual_mov_b32 v47, v11 :: v_dual_add_nc_u32 v22, -11, v8
	v_dual_mov_b32 v23, v11 :: v_dual_add_nc_u32 v24, -5, v8
	s_delay_alu instid0(VALU_DEP_3) | instskip(SKIP_1) | instid1(VALU_DEP_3)
	v_lshlrev_b64_e32 v[9:10], 2, v[6:7]
	v_mov_b32_e32 v25, v11
	v_lshlrev_b64_e32 v[22:23], 3, v[22:23]
	s_delay_alu instid0(VALU_DEP_3) | instskip(SKIP_1) | instid1(VALU_DEP_4)
	v_add_co_u32 v9, vcc_lo, s6, v9
	s_wait_alu 0xfffd
	v_add_co_ci_u32_e64 v10, null, s7, v10, vcc_lo
	global_load_b32 v7, v[9:10], off
	v_subrev_nc_u32_e32 v10, 23, v8
	v_mov_b32_e32 v9, v11
	s_delay_alu instid0(VALU_DEP_2) | instskip(SKIP_2) | instid1(VALU_DEP_2)
	v_lshlrev_b64_e32 v[26:27], 3, v[10:11]
	v_add_nc_u32_e32 v10, -10, v8
	v_lshlrev_b64_e32 v[24:25], 3, v[24:25]
	v_lshlrev_b64_e32 v[38:39], 3, v[10:11]
	v_add_nc_u32_e32 v10, -4, v8
	v_lshlrev_b64_e32 v[28:29], 3, v[8:9]
	v_add_co_u32 v34, vcc_lo, s8, v26
	s_wait_alu 0xfffd
	v_add_co_ci_u32_e64 v35, null, s9, v27, vcc_lo
	v_add_co_u32 v40, vcc_lo, s8, v22
	s_wait_alu 0xfffd
	v_add_co_ci_u32_e64 v41, null, s9, v23, vcc_lo
	v_add_co_u32 v42, vcc_lo, s8, v24
	v_lshlrev_b64_e32 v[9:10], 3, v[10:11]
	s_wait_alu 0xfffd
	v_add_co_ci_u32_e64 v43, null, s9, v25, vcc_lo
	v_add_co_u32 v50, vcc_lo, s8, v28
	s_wait_alu 0xfffd
	v_add_co_ci_u32_e64 v51, null, s9, v29, vcc_lo
	v_add_co_u32 v38, vcc_lo, s8, v38
	;; [unrolled: 3-line block ×3, first 2 shown]
	s_wait_alu 0xfffd
	v_add_co_ci_u32_e64 v10, null, s9, v10, vcc_lo
	s_clause 0x7
	global_load_b128 v[22:25], v[34:35], off offset:32
	global_load_b128 v[26:29], v[34:35], off offset:48
	;; [unrolled: 1-line block ×3, first 2 shown]
	global_load_b128 v[34:37], v[34:35], off
	global_load_b64 v[52:53], v[40:41], off
	global_load_b64 v[54:55], v[42:43], off
	;; [unrolled: 1-line block ×4, first 2 shown]
	s_wait_loadcnt 0x8
	v_subrev_nc_u32_e32 v7, s12, v7
	s_delay_alu instid0(VALU_DEP_1) | instskip(NEXT) | instid1(VALU_DEP_1)
	v_mul_lo_u32 v46, v7, 6
	v_add_nc_u32_e32 v10, 2, v46
	v_lshlrev_b64_e32 v[38:39], 3, v[46:47]
	s_delay_alu instid0(VALU_DEP_2) | instskip(NEXT) | instid1(VALU_DEP_2)
	v_lshlrev_b64_e32 v[40:41], 3, v[10:11]
	v_add_co_u32 v38, vcc_lo, s10, v38
	s_wait_alu 0xfffd
	s_delay_alu instid0(VALU_DEP_3) | instskip(NEXT) | instid1(VALU_DEP_3)
	v_add_co_ci_u32_e64 v39, null, s11, v39, vcc_lo
	v_add_co_u32 v42, vcc_lo, s10, v40
	s_wait_alu 0xfffd
	v_add_co_ci_u32_e64 v43, null, s11, v41, vcc_lo
	s_clause 0x1
	global_load_b128 v[38:41], v[38:39], off
	global_load_b128 v[42:45], v[42:43], off
	s_wait_loadcnt 0x1
	v_dual_fmac_f32 v13, v35, v38 :: v_dual_add_nc_u32 v10, -15, v8
	s_delay_alu instid0(VALU_DEP_1) | instskip(SKIP_2) | instid1(VALU_DEP_4)
	v_lshlrev_b64_e32 v[47:48], 3, v[10:11]
	v_dual_fmac_f32 v21, v26, v38 :: v_dual_add_nc_u32 v10, -9, v8
	v_fmac_f32_e32 v15, v53, v38
	v_dual_fmac_f32 v13, v34, v39 :: v_dual_add_nc_u32 v6, 8, v6
	s_delay_alu instid0(VALU_DEP_3) | instskip(SKIP_4) | instid1(VALU_DEP_3)
	v_lshlrev_b64_e32 v[60:61], 3, v[10:11]
	v_add_nc_u32_e32 v10, -3, v8
	v_add_co_u32 v47, vcc_lo, s8, v47
	s_wait_alu 0xfffd
	v_add_co_ci_u32_e64 v48, null, s9, v48, vcc_lo
	v_lshlrev_b64_e32 v[62:63], 3, v[10:11]
	v_add_co_u32 v60, vcc_lo, s8, v60
	s_wait_alu 0xfffd
	v_add_co_ci_u32_e64 v61, null, s9, v61, vcc_lo
	global_load_b64 v[64:65], v[47:48], off
	v_add_co_u32 v62, vcc_lo, s8, v62
	global_load_b64 v[60:61], v[60:61], off
	s_wait_alu 0xfffd
	v_add_co_ci_u32_e64 v63, null, s9, v63, vcc_lo
	v_dual_fmac_f32 v19, v54, v38 :: v_dual_add_nc_u32 v10, -14, v8
	v_fmac_f32_e32 v15, v52, v39
	global_load_b64 v[62:63], v[62:63], off
	v_fmac_f32_e32 v13, v37, v40
	v_lshlrev_b64_e32 v[47:48], 3, v[10:11]
	v_add_nc_u32_e32 v10, -8, v8
	v_dual_fmac_f32 v18, v34, v38 :: v_dual_fmac_f32 v15, v57, v40
	s_delay_alu instid0(VALU_DEP_4) | instskip(SKIP_1) | instid1(VALU_DEP_4)
	v_fmac_f32_e32 v13, v36, v41
	v_fma_f32 v19, -v55, v39, v19
	v_lshlrev_b64_e32 v[66:67], 3, v[10:11]
	v_add_nc_u32_e32 v10, -2, v8
	v_add_co_u32 v47, vcc_lo, s8, v47
	s_wait_alu 0xfffd
	v_add_co_ci_u32_e64 v48, null, s9, v48, vcc_lo
	s_delay_alu instid0(VALU_DEP_3)
	v_lshlrev_b64_e32 v[68:69], 3, v[10:11]
	v_fma_f32 v7, -v35, v39, v18
	v_add_nc_u32_e32 v10, 4, v46
	v_add_co_u32 v46, vcc_lo, s8, v66
	global_load_b64 v[70:71], v[47:48], off
	s_wait_alu 0xfffd
	v_add_co_ci_u32_e64 v47, null, s9, v67, vcc_lo
	v_add_co_u32 v66, vcc_lo, s8, v68
	s_wait_alu 0xfffd
	v_add_co_ci_u32_e64 v67, null, s9, v69, vcc_lo
	v_fmac_f32_e32 v7, v36, v40
	v_lshlrev_b64_e32 v[48:49], 3, v[10:11]
	v_dual_fmac_f32 v15, v56, v41 :: v_dual_add_nc_u32 v10, -13, v8
	s_clause 0x1
	global_load_b64 v[66:67], v[66:67], off
	global_load_b64 v[68:69], v[46:47], off
	v_fma_f32 v7, -v37, v41, v7
	v_lshlrev_b64_e32 v[46:47], 3, v[10:11]
	v_add_nc_u32_e32 v10, -7, v8
	v_add_co_u32 v48, vcc_lo, s10, v48
	s_wait_loadcnt 0x6
	v_fmac_f32_e32 v7, v30, v42
	s_wait_alu 0xfffd
	v_add_co_ci_u32_e64 v49, null, s11, v49, vcc_lo
	v_lshlrev_b64_e32 v[72:73], 3, v[10:11]
	v_dual_fmac_f32 v13, v31, v42 :: v_dual_add_nc_u32 v10, -1, v8
	v_add_co_u32 v74, vcc_lo, s8, v46
	v_dual_fmac_f32 v16, v27, v38 :: v_dual_fmac_f32 v19, v58, v40
	s_delay_alu instid0(VALU_DEP_3)
	v_lshlrev_b64_e32 v[76:77], 3, v[10:11]
	v_add_nc_u32_e32 v10, -12, v8
	s_wait_alu 0xfffd
	v_add_co_ci_u32_e64 v75, null, s9, v47, vcc_lo
	global_load_b128 v[46:49], v[48:49], off
	v_add_co_u32 v72, vcc_lo, s8, v72
	s_wait_alu 0xfffd
	v_add_co_ci_u32_e64 v73, null, s9, v73, vcc_lo
	v_add_co_u32 v76, vcc_lo, s8, v76
	v_fma_f32 v19, -v59, v41, v19
	s_wait_alu 0xfffd
	v_add_co_ci_u32_e64 v77, null, s9, v77, vcc_lo
	global_load_b64 v[74:75], v[74:75], off
	v_fma_f32 v7, -v31, v43, v7
	v_fma_f32 v12, -v27, v39, v21
	s_clause 0x1
	global_load_b64 v[76:77], v[76:77], off
	global_load_b64 v[72:73], v[72:73], off
	v_dual_fmac_f32 v16, v26, v39 :: v_dual_fmac_f32 v7, v32, v44
	v_dual_fmac_f32 v13, v30, v43 :: v_dual_fmac_f32 v20, v52, v38
	s_delay_alu instid0(VALU_DEP_2) | instskip(SKIP_1) | instid1(VALU_DEP_3)
	v_fma_f32 v7, -v33, v45, v7
	v_fmac_f32_e32 v12, v28, v40
	v_fmac_f32_e32 v13, v33, v44
	s_delay_alu instid0(VALU_DEP_4) | instskip(NEXT) | instid1(VALU_DEP_2)
	v_fma_f32 v18, -v53, v39, v20
	v_dual_fmac_f32 v16, v29, v40 :: v_dual_fmac_f32 v13, v32, v45
	s_wait_loadcnt 0x8
	s_delay_alu instid0(VALU_DEP_2) | instskip(SKIP_3) | instid1(VALU_DEP_4)
	v_dual_fmac_f32 v18, v56, v40 :: v_dual_fmac_f32 v15, v61, v42
	v_lshlrev_b64_e32 v[78:79], 3, v[10:11]
	v_add_nc_u32_e32 v10, -6, v8
	v_add_nc_u32_e32 v8, 0xc0, v8
	v_dual_fmac_f32 v14, v55, v38 :: v_dual_fmac_f32 v15, v60, v43
	s_wait_loadcnt 0x7
	v_fmac_f32_e32 v19, v62, v42
	v_lshlrev_b64_e32 v[9:10], 3, v[10:11]
	v_add_co_u32 v78, vcc_lo, s8, v78
	s_wait_alu 0xfffd
	v_add_co_ci_u32_e64 v79, null, s9, v79, vcc_lo
	v_fmac_f32_e32 v14, v54, v39
	s_delay_alu instid0(VALU_DEP_4)
	v_add_co_u32 v9, vcc_lo, s8, v9
	s_wait_alu 0xfffd
	v_add_co_ci_u32_e64 v10, null, s9, v10, vcc_lo
	s_clause 0x2
	global_load_b64 v[78:79], v[78:79], off
	global_load_b64 v[9:10], v[9:10], off
	;; [unrolled: 1-line block ×3, first 2 shown]
	v_fma_f32 v19, -v63, v43, v19
	v_fmac_f32_e32 v16, v28, v41
	v_cmp_ge_i32_e32 vcc_lo, v6, v17
	s_wait_alu 0xfffe
	s_or_b32 s2, vcc_lo, s2
	s_wait_loadcnt 0x8
	v_fmac_f32_e32 v19, v66, v44
	s_wait_loadcnt 0x7
	v_fmac_f32_e32 v15, v69, v44
	v_fmac_f32_e32 v14, v59, v40
	s_delay_alu instid0(VALU_DEP_3) | instskip(NEXT) | instid1(VALU_DEP_3)
	v_fma_f32 v19, -v67, v45, v19
	v_fmac_f32_e32 v15, v68, v45
	s_delay_alu instid0(VALU_DEP_3)
	v_fmac_f32_e32 v14, v58, v41
	s_wait_loadcnt 0x6
	v_fmac_f32_e32 v7, v22, v46
	v_fma_f32 v12, -v29, v41, v12
	v_fmac_f32_e32 v13, v23, v46
	v_fma_f32 v18, -v57, v41, v18
	s_delay_alu instid0(VALU_DEP_4) | instskip(NEXT) | instid1(VALU_DEP_3)
	v_fma_f32 v7, -v23, v47, v7
	v_dual_fmac_f32 v12, v64, v42 :: v_dual_fmac_f32 v13, v22, v47
	s_delay_alu instid0(VALU_DEP_3) | instskip(NEXT) | instid1(VALU_DEP_3)
	v_fmac_f32_e32 v18, v60, v42
	v_dual_fmac_f32 v16, v65, v42 :: v_dual_fmac_f32 v7, v24, v48
	s_delay_alu instid0(VALU_DEP_3) | instskip(NEXT) | instid1(VALU_DEP_4)
	v_fma_f32 v12, -v65, v43, v12
	v_fmac_f32_e32 v13, v25, v48
	s_delay_alu instid0(VALU_DEP_4)
	v_fma_f32 v18, -v61, v43, v18
	s_wait_loadcnt 0x3
	v_fmac_f32_e32 v15, v73, v46
	v_fmac_f32_e32 v14, v63, v42
	v_dual_fmac_f32 v12, v70, v44 :: v_dual_fmac_f32 v13, v24, v49
	v_fmac_f32_e32 v18, v68, v44
	s_delay_alu instid0(VALU_DEP_4) | instskip(SKIP_2) | instid1(VALU_DEP_4)
	v_fmac_f32_e32 v15, v72, v47
	v_fmac_f32_e32 v16, v64, v43
	v_dual_fmac_f32 v14, v62, v43 :: v_dual_fmac_f32 v19, v76, v46
	v_fma_f32 v18, -v69, v45, v18
	v_fma_f32 v12, -v71, v45, v12
	s_delay_alu instid0(VALU_DEP_3) | instskip(NEXT) | instid1(VALU_DEP_3)
	v_fmac_f32_e32 v14, v67, v44
	v_fmac_f32_e32 v18, v72, v46
	s_delay_alu instid0(VALU_DEP_3) | instskip(NEXT) | instid1(VALU_DEP_3)
	v_fmac_f32_e32 v12, v74, v46
	v_fmac_f32_e32 v14, v66, v45
	s_delay_alu instid0(VALU_DEP_3) | instskip(SKIP_2) | instid1(VALU_DEP_4)
	v_fma_f32 v20, -v73, v47, v18
	v_fma_f32 v18, -v25, v49, v7
	v_fma_f32 v7, -v77, v47, v19
	v_fmac_f32_e32 v14, v77, v46
	v_fma_f32 v12, -v75, v47, v12
	s_delay_alu instid0(VALU_DEP_2) | instskip(SKIP_1) | instid1(VALU_DEP_2)
	v_fmac_f32_e32 v14, v76, v47
	s_wait_loadcnt 0x2
	v_fmac_f32_e32 v12, v78, v48
	s_wait_loadcnt 0x1
	v_fmac_f32_e32 v15, v10, v48
	v_fmac_f32_e32 v16, v71, v44
	;; [unrolled: 1-line block ×3, first 2 shown]
	s_wait_loadcnt 0x0
	v_fmac_f32_e32 v7, v50, v48
	v_dual_fmac_f32 v14, v51, v48 :: v_dual_fmac_f32 v15, v9, v49
	v_fmac_f32_e32 v16, v70, v45
	v_fma_f32 v21, -v79, v49, v12
	v_fma_f32 v20, -v10, v49, v20
	;; [unrolled: 1-line block ×3, first 2 shown]
	v_fmac_f32_e32 v14, v50, v49
	v_fmac_f32_e32 v16, v75, v46
	s_delay_alu instid0(VALU_DEP_1) | instskip(NEXT) | instid1(VALU_DEP_1)
	v_fmac_f32_e32 v16, v74, v47
	v_fmac_f32_e32 v16, v79, v48
	s_delay_alu instid0(VALU_DEP_1)
	v_fmac_f32_e32 v16, v78, v49
	s_wait_alu 0xfffe
	s_and_not1_b32 exec_lo, exec_lo, s2
	s_cbranch_execnz .LBB95_13
; %bb.14:
	s_or_b32 exec_lo, exec_lo, s2
.LBB95_15:
	s_wait_alu 0xfffe
	s_or_b32 exec_lo, exec_lo, s3
.LBB95_16:
	v_mbcnt_lo_u32_b32 v6, -1, 0
	s_delay_alu instid0(VALU_DEP_1) | instskip(SKIP_1) | instid1(VALU_DEP_2)
	v_xor_b32_e32 v7, 4, v6
	v_xor_b32_e32 v23, 2, v6
	v_cmp_gt_i32_e32 vcc_lo, 32, v7
	s_wait_alu 0xfffd
	v_cndmask_b32_e32 v7, v6, v7, vcc_lo
	s_delay_alu instid0(VALU_DEP_3) | instskip(NEXT) | instid1(VALU_DEP_2)
	v_cmp_gt_i32_e32 vcc_lo, 32, v23
	v_lshlrev_b32_e32 v7, 2, v7
	ds_bpermute_b32 v8, v7, v18
	s_wait_dscnt 0x0
	v_add_f32_e32 v8, v18, v8
	ds_bpermute_b32 v9, v7, v13
	ds_bpermute_b32 v11, v7, v16
	;; [unrolled: 1-line block ×7, first 2 shown]
	s_wait_dscnt 0x5
	v_dual_add_f32 v9, v13, v9 :: v_dual_add_f32 v16, v16, v11
	s_wait_alu 0xfffd
	v_cndmask_b32_e32 v23, v6, v23, vcc_lo
	s_wait_dscnt 0x3
	v_dual_add_f32 v13, v21, v10 :: v_dual_add_f32 v12, v20, v12
	s_wait_dscnt 0x0
	v_dual_add_f32 v15, v15, v17 :: v_dual_add_f32 v18, v14, v7
	v_lshlrev_b32_e32 v23, 2, v23
	ds_bpermute_b32 v7, v23, v8
	v_add_f32_e32 v17, v19, v22
	ds_bpermute_b32 v10, v23, v9
	ds_bpermute_b32 v11, v23, v13
	;; [unrolled: 1-line block ×7, first 2 shown]
	v_xor_b32_e32 v23, 1, v6
	s_delay_alu instid0(VALU_DEP_1)
	v_cmp_gt_i32_e32 vcc_lo, 32, v23
	s_wait_alu 0xfffd
	v_cndmask_b32_e32 v6, v6, v23, vcc_lo
	v_cmp_eq_u32_e32 vcc_lo, 7, v0
	s_wait_dscnt 0x6
	v_add_f32_e32 v10, v9, v10
	s_wait_dscnt 0x5
	v_add_f32_e32 v11, v13, v11
	v_dual_add_f32 v6, v8, v7 :: v_dual_lshlrev_b32 v23, 2, v6
	s_wait_dscnt 0x4
	v_add_f32_e32 v13, v16, v14
	s_wait_dscnt 0x2
	v_dual_add_f32 v14, v12, v19 :: v_dual_add_f32 v15, v15, v20
	s_wait_dscnt 0x1
	v_add_f32_e32 v7, v17, v21
	s_wait_dscnt 0x0
	v_add_f32_e32 v9, v18, v22
	ds_bpermute_b32 v8, v23, v6
	ds_bpermute_b32 v12, v23, v10
	;; [unrolled: 1-line block ×8, first 2 shown]
	s_and_b32 exec_lo, exec_lo, vcc_lo
	s_cbranch_execz .LBB95_21
; %bb.17:
	s_load_b64 s[2:3], s[0:1], 0x38
	v_cmp_eq_f32_e32 vcc_lo, 0, v3
	v_cmp_eq_f32_e64 s0, 0, v4
	s_wait_dscnt 0x7
	v_add_f32_e32 v8, v6, v8
	s_wait_dscnt 0x0
	v_dual_add_f32 v12, v10, v12 :: v_dual_add_f32 v9, v9, v17
	v_dual_add_f32 v0, v11, v18 :: v_dual_add_f32 v11, v13, v19
	v_add_f32_e32 v6, v14, v20
	v_add_f32_e32 v10, v15, v21
	;; [unrolled: 1-line block ×3, first 2 shown]
	s_and_b32 s0, vcc_lo, s0
	s_wait_alu 0xfffe
	s_and_saveexec_b32 s1, s0
	s_wait_alu 0xfffe
	s_xor_b32 s0, exec_lo, s1
	s_cbranch_execz .LBB95_19
; %bb.18:
	v_dual_mul_f32 v14, v1, v12 :: v_dual_lshlrev_b32 v3, 2, v5
	v_mul_f32_e64 v13, v12, -v2
	v_mul_f32_e64 v15, v11, -v2
	v_mul_f32_e32 v16, v1, v11
	s_delay_alu instid0(VALU_DEP_4)
	v_ashrrev_i32_e32 v4, 31, v3
	v_mul_f32_e64 v17, v10, -v2
	v_mul_f32_e32 v18, v1, v10
	v_mul_f32_e64 v19, v9, -v2
	v_mul_f32_e32 v20, v1, v9
	v_lshlrev_b64_e32 v[3:4], 3, v[3:4]
	s_delay_alu instid0(VALU_DEP_4) | instskip(SKIP_1) | instid1(VALU_DEP_4)
	v_dual_fmac_f32 v13, v1, v8 :: v_dual_fmac_f32 v18, v2, v6
	v_dual_fmac_f32 v14, v2, v8 :: v_dual_fmac_f32 v17, v1, v6
	v_dual_fmac_f32 v15, v1, v0 :: v_dual_fmac_f32 v20, v2, v7
	s_wait_kmcnt 0x0
	s_delay_alu instid0(VALU_DEP_4)
	v_add_co_u32 v3, vcc_lo, s2, v3
	s_wait_alu 0xfffd
	v_add_co_ci_u32_e64 v4, null, s3, v4, vcc_lo
	v_dual_fmac_f32 v16, v2, v0 :: v_dual_fmac_f32 v19, v1, v7
	s_clause 0x1
	global_store_b128 v[3:4], v[13:16], off
	global_store_b128 v[3:4], v[17:20], off offset:16
                                        ; implicit-def: $vgpr5
                                        ; implicit-def: $vgpr8
                                        ; implicit-def: $vgpr12
                                        ; implicit-def: $vgpr0
                                        ; implicit-def: $vgpr11
                                        ; implicit-def: $vgpr6
                                        ; implicit-def: $vgpr10
                                        ; implicit-def: $vgpr7
                                        ; implicit-def: $vgpr9
                                        ; implicit-def: $vgpr1_vgpr2
                                        ; implicit-def: $vgpr3_vgpr4
.LBB95_19:
	s_wait_alu 0xfffe
	s_and_not1_saveexec_b32 s0, s0
	s_cbranch_execz .LBB95_21
; %bb.20:
	v_dual_mul_f32 v22, v1, v12 :: v_dual_lshlrev_b32 v13, 2, v5
	v_mul_f32_e64 v5, v12, -v2
	v_mul_f32_e64 v23, v11, -v2
	;; [unrolled: 1-line block ×3, first 2 shown]
	s_delay_alu instid0(VALU_DEP_4) | instskip(NEXT) | instid1(VALU_DEP_4)
	v_ashrrev_i32_e32 v14, 31, v13
	v_fmac_f32_e32 v5, v1, v8
	s_delay_alu instid0(VALU_DEP_2) | instskip(SKIP_1) | instid1(VALU_DEP_1)
	v_lshlrev_b64_e32 v[13:14], 3, v[13:14]
	s_wait_kmcnt 0x0
	v_add_co_u32 v25, vcc_lo, s2, v13
	s_wait_alu 0xfffd
	s_delay_alu instid0(VALU_DEP_2)
	v_add_co_ci_u32_e64 v26, null, s3, v14, vcc_lo
	s_clause 0x1
	global_load_b128 v[13:16], v[25:26], off
	global_load_b128 v[17:20], v[25:26], off offset:16
	v_mul_f32_e32 v24, v1, v11
	v_mul_f32_e64 v11, v10, -v2
	s_delay_alu instid0(VALU_DEP_1) | instskip(SKIP_1) | instid1(VALU_DEP_1)
	v_dual_fmac_f32 v22, v2, v8 :: v_dual_fmac_f32 v11, v1, v6
	s_wait_loadcnt 0x1
	v_dual_fmac_f32 v27, v1, v7 :: v_dual_fmac_f32 v22, v4, v13
	s_wait_loadcnt 0x0
	s_delay_alu instid0(VALU_DEP_1) | instskip(SKIP_3) | instid1(VALU_DEP_4)
	v_dual_mul_f32 v12, v1, v9 :: v_dual_fmac_f32 v27, v3, v19
	v_fmac_f32_e32 v23, v1, v0
	v_fmac_f32_e32 v11, v3, v17
	;; [unrolled: 1-line block ×4, first 2 shown]
	s_delay_alu instid0(VALU_DEP_4) | instskip(NEXT) | instid1(VALU_DEP_4)
	v_dual_mul_f32 v10, v1, v10 :: v_dual_fmac_f32 v23, v3, v15
	v_fma_f32 v9, -v4, v18, v11
	v_fma_f32 v11, -v4, v20, v27
	s_delay_alu instid0(VALU_DEP_4) | instskip(NEXT) | instid1(VALU_DEP_4)
	v_fmac_f32_e32 v12, v4, v19
	v_dual_fmac_f32 v10, v2, v6 :: v_dual_fmac_f32 v5, v3, v13
	v_fmac_f32_e32 v24, v2, v0
	v_fma_f32 v23, -v4, v16, v23
	s_delay_alu instid0(VALU_DEP_4) | instskip(NEXT) | instid1(VALU_DEP_4)
	v_fmac_f32_e32 v12, v3, v20
	v_fmac_f32_e32 v10, v4, v17
	v_fma_f32 v21, -v4, v14, v5
	v_fmac_f32_e32 v24, v4, v15
	s_delay_alu instid0(VALU_DEP_3) | instskip(NEXT) | instid1(VALU_DEP_2)
	v_fmac_f32_e32 v10, v3, v18
	v_fmac_f32_e32 v24, v3, v16
	s_clause 0x1
	global_store_b128 v[25:26], v[21:24], off
	global_store_b128 v[25:26], v[9:12], off offset:16
.LBB95_21:
	s_endpgm
	.section	.rodata,"a",@progbits
	.p2align	6, 0x0
	.amdhsa_kernel _ZN9rocsparseL19gebsrmvn_4xn_kernelILj128ELj6ELj8E21rocsparse_complex_numIfEEEvi20rocsparse_direction_NS_24const_host_device_scalarIT2_EEPKiS8_PKS5_SA_S6_PS5_21rocsparse_index_base_b
		.amdhsa_group_segment_fixed_size 0
		.amdhsa_private_segment_fixed_size 0
		.amdhsa_kernarg_size 72
		.amdhsa_user_sgpr_count 2
		.amdhsa_user_sgpr_dispatch_ptr 0
		.amdhsa_user_sgpr_queue_ptr 0
		.amdhsa_user_sgpr_kernarg_segment_ptr 1
		.amdhsa_user_sgpr_dispatch_id 0
		.amdhsa_user_sgpr_private_segment_size 0
		.amdhsa_wavefront_size32 1
		.amdhsa_uses_dynamic_stack 0
		.amdhsa_enable_private_segment 0
		.amdhsa_system_sgpr_workgroup_id_x 1
		.amdhsa_system_sgpr_workgroup_id_y 0
		.amdhsa_system_sgpr_workgroup_id_z 0
		.amdhsa_system_sgpr_workgroup_info 0
		.amdhsa_system_vgpr_workitem_id 0
		.amdhsa_next_free_vgpr 82
		.amdhsa_next_free_sgpr 14
		.amdhsa_reserve_vcc 1
		.amdhsa_float_round_mode_32 0
		.amdhsa_float_round_mode_16_64 0
		.amdhsa_float_denorm_mode_32 3
		.amdhsa_float_denorm_mode_16_64 3
		.amdhsa_fp16_overflow 0
		.amdhsa_workgroup_processor_mode 1
		.amdhsa_memory_ordered 1
		.amdhsa_forward_progress 1
		.amdhsa_inst_pref_size 33
		.amdhsa_round_robin_scheduling 0
		.amdhsa_exception_fp_ieee_invalid_op 0
		.amdhsa_exception_fp_denorm_src 0
		.amdhsa_exception_fp_ieee_div_zero 0
		.amdhsa_exception_fp_ieee_overflow 0
		.amdhsa_exception_fp_ieee_underflow 0
		.amdhsa_exception_fp_ieee_inexact 0
		.amdhsa_exception_int_div_zero 0
	.end_amdhsa_kernel
	.section	.text._ZN9rocsparseL19gebsrmvn_4xn_kernelILj128ELj6ELj8E21rocsparse_complex_numIfEEEvi20rocsparse_direction_NS_24const_host_device_scalarIT2_EEPKiS8_PKS5_SA_S6_PS5_21rocsparse_index_base_b,"axG",@progbits,_ZN9rocsparseL19gebsrmvn_4xn_kernelILj128ELj6ELj8E21rocsparse_complex_numIfEEEvi20rocsparse_direction_NS_24const_host_device_scalarIT2_EEPKiS8_PKS5_SA_S6_PS5_21rocsparse_index_base_b,comdat
.Lfunc_end95:
	.size	_ZN9rocsparseL19gebsrmvn_4xn_kernelILj128ELj6ELj8E21rocsparse_complex_numIfEEEvi20rocsparse_direction_NS_24const_host_device_scalarIT2_EEPKiS8_PKS5_SA_S6_PS5_21rocsparse_index_base_b, .Lfunc_end95-_ZN9rocsparseL19gebsrmvn_4xn_kernelILj128ELj6ELj8E21rocsparse_complex_numIfEEEvi20rocsparse_direction_NS_24const_host_device_scalarIT2_EEPKiS8_PKS5_SA_S6_PS5_21rocsparse_index_base_b
                                        ; -- End function
	.set _ZN9rocsparseL19gebsrmvn_4xn_kernelILj128ELj6ELj8E21rocsparse_complex_numIfEEEvi20rocsparse_direction_NS_24const_host_device_scalarIT2_EEPKiS8_PKS5_SA_S6_PS5_21rocsparse_index_base_b.num_vgpr, 82
	.set _ZN9rocsparseL19gebsrmvn_4xn_kernelILj128ELj6ELj8E21rocsparse_complex_numIfEEEvi20rocsparse_direction_NS_24const_host_device_scalarIT2_EEPKiS8_PKS5_SA_S6_PS5_21rocsparse_index_base_b.num_agpr, 0
	.set _ZN9rocsparseL19gebsrmvn_4xn_kernelILj128ELj6ELj8E21rocsparse_complex_numIfEEEvi20rocsparse_direction_NS_24const_host_device_scalarIT2_EEPKiS8_PKS5_SA_S6_PS5_21rocsparse_index_base_b.numbered_sgpr, 14
	.set _ZN9rocsparseL19gebsrmvn_4xn_kernelILj128ELj6ELj8E21rocsparse_complex_numIfEEEvi20rocsparse_direction_NS_24const_host_device_scalarIT2_EEPKiS8_PKS5_SA_S6_PS5_21rocsparse_index_base_b.num_named_barrier, 0
	.set _ZN9rocsparseL19gebsrmvn_4xn_kernelILj128ELj6ELj8E21rocsparse_complex_numIfEEEvi20rocsparse_direction_NS_24const_host_device_scalarIT2_EEPKiS8_PKS5_SA_S6_PS5_21rocsparse_index_base_b.private_seg_size, 0
	.set _ZN9rocsparseL19gebsrmvn_4xn_kernelILj128ELj6ELj8E21rocsparse_complex_numIfEEEvi20rocsparse_direction_NS_24const_host_device_scalarIT2_EEPKiS8_PKS5_SA_S6_PS5_21rocsparse_index_base_b.uses_vcc, 1
	.set _ZN9rocsparseL19gebsrmvn_4xn_kernelILj128ELj6ELj8E21rocsparse_complex_numIfEEEvi20rocsparse_direction_NS_24const_host_device_scalarIT2_EEPKiS8_PKS5_SA_S6_PS5_21rocsparse_index_base_b.uses_flat_scratch, 0
	.set _ZN9rocsparseL19gebsrmvn_4xn_kernelILj128ELj6ELj8E21rocsparse_complex_numIfEEEvi20rocsparse_direction_NS_24const_host_device_scalarIT2_EEPKiS8_PKS5_SA_S6_PS5_21rocsparse_index_base_b.has_dyn_sized_stack, 0
	.set _ZN9rocsparseL19gebsrmvn_4xn_kernelILj128ELj6ELj8E21rocsparse_complex_numIfEEEvi20rocsparse_direction_NS_24const_host_device_scalarIT2_EEPKiS8_PKS5_SA_S6_PS5_21rocsparse_index_base_b.has_recursion, 0
	.set _ZN9rocsparseL19gebsrmvn_4xn_kernelILj128ELj6ELj8E21rocsparse_complex_numIfEEEvi20rocsparse_direction_NS_24const_host_device_scalarIT2_EEPKiS8_PKS5_SA_S6_PS5_21rocsparse_index_base_b.has_indirect_call, 0
	.section	.AMDGPU.csdata,"",@progbits
; Kernel info:
; codeLenInByte = 4148
; TotalNumSgprs: 16
; NumVgprs: 82
; ScratchSize: 0
; MemoryBound: 0
; FloatMode: 240
; IeeeMode: 1
; LDSByteSize: 0 bytes/workgroup (compile time only)
; SGPRBlocks: 0
; VGPRBlocks: 10
; NumSGPRsForWavesPerEU: 16
; NumVGPRsForWavesPerEU: 82
; Occupancy: 16
; WaveLimiterHint : 1
; COMPUTE_PGM_RSRC2:SCRATCH_EN: 0
; COMPUTE_PGM_RSRC2:USER_SGPR: 2
; COMPUTE_PGM_RSRC2:TRAP_HANDLER: 0
; COMPUTE_PGM_RSRC2:TGID_X_EN: 1
; COMPUTE_PGM_RSRC2:TGID_Y_EN: 0
; COMPUTE_PGM_RSRC2:TGID_Z_EN: 0
; COMPUTE_PGM_RSRC2:TIDIG_COMP_CNT: 0
	.section	.text._ZN9rocsparseL19gebsrmvn_4xn_kernelILj128ELj6ELj16E21rocsparse_complex_numIfEEEvi20rocsparse_direction_NS_24const_host_device_scalarIT2_EEPKiS8_PKS5_SA_S6_PS5_21rocsparse_index_base_b,"axG",@progbits,_ZN9rocsparseL19gebsrmvn_4xn_kernelILj128ELj6ELj16E21rocsparse_complex_numIfEEEvi20rocsparse_direction_NS_24const_host_device_scalarIT2_EEPKiS8_PKS5_SA_S6_PS5_21rocsparse_index_base_b,comdat
	.globl	_ZN9rocsparseL19gebsrmvn_4xn_kernelILj128ELj6ELj16E21rocsparse_complex_numIfEEEvi20rocsparse_direction_NS_24const_host_device_scalarIT2_EEPKiS8_PKS5_SA_S6_PS5_21rocsparse_index_base_b ; -- Begin function _ZN9rocsparseL19gebsrmvn_4xn_kernelILj128ELj6ELj16E21rocsparse_complex_numIfEEEvi20rocsparse_direction_NS_24const_host_device_scalarIT2_EEPKiS8_PKS5_SA_S6_PS5_21rocsparse_index_base_b
	.p2align	8
	.type	_ZN9rocsparseL19gebsrmvn_4xn_kernelILj128ELj6ELj16E21rocsparse_complex_numIfEEEvi20rocsparse_direction_NS_24const_host_device_scalarIT2_EEPKiS8_PKS5_SA_S6_PS5_21rocsparse_index_base_b,@function
_ZN9rocsparseL19gebsrmvn_4xn_kernelILj128ELj6ELj16E21rocsparse_complex_numIfEEEvi20rocsparse_direction_NS_24const_host_device_scalarIT2_EEPKiS8_PKS5_SA_S6_PS5_21rocsparse_index_base_b: ; @_ZN9rocsparseL19gebsrmvn_4xn_kernelILj128ELj6ELj16E21rocsparse_complex_numIfEEEvi20rocsparse_direction_NS_24const_host_device_scalarIT2_EEPKiS8_PKS5_SA_S6_PS5_21rocsparse_index_base_b
; %bb.0:
	s_clause 0x2
	s_load_b64 s[12:13], s[0:1], 0x40
	s_load_b64 s[2:3], s[0:1], 0x8
	;; [unrolled: 1-line block ×3, first 2 shown]
	s_add_nc_u64 s[6:7], s[0:1], 8
	s_wait_kmcnt 0x0
	s_bitcmp1_b32 s13, 0
	s_cselect_b32 s2, s6, s2
	s_cselect_b32 s3, s7, s3
	s_delay_alu instid0(SALU_CYCLE_1)
	v_dual_mov_b32 v1, s2 :: v_dual_mov_b32 v2, s3
	s_add_nc_u64 s[2:3], s[0:1], 48
	s_wait_alu 0xfffe
	s_cselect_b32 s2, s2, s4
	s_cselect_b32 s3, s3, s5
	flat_load_b64 v[1:2], v[1:2]
	s_wait_alu 0xfffe
	v_dual_mov_b32 v3, s2 :: v_dual_mov_b32 v4, s3
	flat_load_b64 v[3:4], v[3:4]
	s_wait_loadcnt_dscnt 0x101
	v_cmp_eq_f32_e32 vcc_lo, 0, v1
	v_cmp_eq_f32_e64 s2, 0, v2
	s_and_b32 s4, vcc_lo, s2
	s_mov_b32 s2, -1
	s_and_saveexec_b32 s3, s4
	s_cbranch_execz .LBB96_2
; %bb.1:
	s_wait_loadcnt_dscnt 0x0
	v_cmp_neq_f32_e32 vcc_lo, 1.0, v3
	v_cmp_neq_f32_e64 s2, 0, v4
	s_wait_alu 0xfffe
	s_or_b32 s2, vcc_lo, s2
	s_wait_alu 0xfffe
	s_or_not1_b32 s2, s2, exec_lo
.LBB96_2:
	s_wait_alu 0xfffe
	s_or_b32 exec_lo, exec_lo, s3
	s_and_saveexec_b32 s3, s2
	s_cbranch_execz .LBB96_21
; %bb.3:
	s_load_b64 s[2:3], s[0:1], 0x0
	v_lshrrev_b32_e32 v5, 4, v0
	s_delay_alu instid0(VALU_DEP_1) | instskip(SKIP_1) | instid1(VALU_DEP_1)
	v_lshl_or_b32 v5, ttmp9, 3, v5
	s_wait_kmcnt 0x0
	v_cmp_gt_i32_e32 vcc_lo, s2, v5
	s_and_b32 exec_lo, exec_lo, vcc_lo
	s_cbranch_execz .LBB96_21
; %bb.4:
	s_load_b256 s[4:11], s[0:1], 0x10
	v_ashrrev_i32_e32 v6, 31, v5
	v_and_b32_e32 v0, 15, v0
	s_cmp_lg_u32 s3, 0
	s_delay_alu instid0(VALU_DEP_2) | instskip(SKIP_1) | instid1(VALU_DEP_1)
	v_lshlrev_b64_e32 v[6:7], 2, v[5:6]
	s_wait_kmcnt 0x0
	v_add_co_u32 v6, vcc_lo, s4, v6
	s_delay_alu instid0(VALU_DEP_1) | instskip(SKIP_4) | instid1(VALU_DEP_2)
	v_add_co_ci_u32_e64 v7, null, s5, v7, vcc_lo
	global_load_b64 v[6:7], v[6:7], off
	s_wait_loadcnt 0x0
	v_subrev_nc_u32_e32 v6, s12, v6
	v_subrev_nc_u32_e32 v17, s12, v7
	v_add_nc_u32_e32 v6, v6, v0
	s_delay_alu instid0(VALU_DEP_1)
	v_cmp_lt_i32_e64 s2, v6, v17
	s_cbranch_scc0 .LBB96_10
; %bb.5:
	v_dual_mov_b32 v13, 0 :: v_dual_mov_b32 v18, 0
	v_dual_mov_b32 v19, 0 :: v_dual_mov_b32 v14, 0
	;; [unrolled: 1-line block ×4, first 2 shown]
	s_and_saveexec_b32 s3, s2
	s_cbranch_execz .LBB96_9
; %bb.6:
	v_mad_co_u64_u32 v[7:8], null, v6, 24, 20
	v_dual_mov_b32 v10, 0 :: v_dual_mov_b32 v11, v6
	v_dual_mov_b32 v13, 0 :: v_dual_mov_b32 v18, 0
	;; [unrolled: 1-line block ×5, first 2 shown]
	s_mov_b32 s4, 0
.LBB96_7:                               ; =>This Inner Loop Header: Depth=1
	v_ashrrev_i32_e32 v12, 31, v11
	v_mov_b32_e32 v51, v10
	s_delay_alu instid0(VALU_DEP_2) | instskip(NEXT) | instid1(VALU_DEP_1)
	v_lshlrev_b64_e32 v[8:9], 2, v[11:12]
	v_add_co_u32 v8, vcc_lo, s6, v8
	s_wait_alu 0xfffd
	s_delay_alu instid0(VALU_DEP_2) | instskip(SKIP_3) | instid1(VALU_DEP_2)
	v_add_co_ci_u32_e64 v9, null, s7, v9, vcc_lo
	global_load_b32 v12, v[8:9], off
	v_subrev_nc_u32_e32 v9, 20, v7
	v_mov_b32_e32 v8, v10
	v_lshlrev_b64_e32 v[22:23], 3, v[9:10]
	v_add_nc_u32_e32 v9, -12, v7
	s_delay_alu instid0(VALU_DEP_3) | instskip(NEXT) | instid1(VALU_DEP_2)
	v_lshlrev_b64_e32 v[24:25], 3, v[7:8]
	v_lshlrev_b64_e32 v[8:9], 3, v[9:10]
	s_delay_alu instid0(VALU_DEP_4) | instskip(SKIP_2) | instid1(VALU_DEP_4)
	v_add_co_u32 v34, vcc_lo, s8, v22
	s_wait_alu 0xfffd
	v_add_co_ci_u32_e64 v35, null, s9, v23, vcc_lo
	v_add_co_u32 v78, vcc_lo, s8, v24
	s_wait_alu 0xfffd
	v_add_co_ci_u32_e64 v79, null, s9, v25, vcc_lo
	;; [unrolled: 3-line block ×3, first 2 shown]
	s_clause 0x5
	global_load_b128 v[22:25], v[34:35], off offset:48
	global_load_b128 v[26:29], v[34:35], off offset:32
	;; [unrolled: 1-line block ×3, first 2 shown]
	global_load_b128 v[34:37], v[34:35], off
	global_load_b128 v[38:41], v[8:9], off offset:16
	global_load_b128 v[42:45], v[8:9], off
	s_wait_loadcnt 0x6
	v_subrev_nc_u32_e32 v8, s12, v12
	s_delay_alu instid0(VALU_DEP_1) | instskip(NEXT) | instid1(VALU_DEP_1)
	v_mul_lo_u32 v50, v8, 6
	v_lshlrev_b64_e32 v[46:47], 3, v[50:51]
	s_delay_alu instid0(VALU_DEP_1) | instskip(SKIP_1) | instid1(VALU_DEP_2)
	v_add_co_u32 v46, vcc_lo, s10, v46
	s_wait_alu 0xfffd
	v_add_co_ci_u32_e64 v47, null, s11, v47, vcc_lo
	global_load_b128 v[46:49], v[46:47], off
	v_add_nc_u32_e32 v9, 2, v50
	s_delay_alu instid0(VALU_DEP_1) | instskip(SKIP_1) | instid1(VALU_DEP_1)
	v_lshlrev_b64_e32 v[51:52], 3, v[9:10]
	v_add_nc_u32_e32 v9, -8, v7
	v_lshlrev_b64_e32 v[54:55], 3, v[9:10]
	s_delay_alu instid0(VALU_DEP_3) | instskip(SKIP_3) | instid1(VALU_DEP_4)
	v_add_co_u32 v51, vcc_lo, s10, v51
	v_add_nc_u32_e32 v9, -4, v7
	s_wait_alu 0xfffd
	v_add_co_ci_u32_e64 v52, null, s11, v52, vcc_lo
	v_add_co_u32 v58, vcc_lo, s8, v54
	s_delay_alu instid0(VALU_DEP_3)
	v_lshlrev_b64_e32 v[62:63], 3, v[9:10]
	v_add_nc_u32_e32 v9, 4, v50
	global_load_b128 v[50:53], v[51:52], off
	s_wait_alu 0xfffd
	v_add_co_ci_u32_e64 v59, null, s9, v55, vcc_lo
	v_add_nc_u32_e32 v11, 16, v11
	s_clause 0x1
	global_load_b128 v[54:57], v[58:59], off
	global_load_b128 v[58:61], v[58:59], off offset:16
	v_add_co_u32 v66, vcc_lo, s8, v62
	s_wait_alu 0xfffd
	v_add_co_ci_u32_e64 v67, null, s9, v63, vcc_lo
	s_wait_loadcnt 0x3
	v_fmac_f32_e32 v14, v33, v46
	v_fmac_f32_e32 v18, v34, v46
	;; [unrolled: 1-line block ×4, first 2 shown]
	s_delay_alu instid0(VALU_DEP_4)
	v_fmac_f32_e32 v14, v32, v47
	v_lshlrev_b64_e32 v[8:9], 3, v[9:10]
	v_fmac_f32_e32 v19, v32, v46
	v_dual_fmac_f32 v16, v36, v47 :: v_dual_fmac_f32 v13, v35, v46
	v_fma_f32 v12, -v31, v47, v20
	v_fmac_f32_e32 v21, v36, v46
	v_add_co_u32 v8, vcc_lo, s10, v8
	s_wait_alu 0xfffd
	v_add_co_ci_u32_e64 v9, null, s11, v9, vcc_lo
	s_clause 0x1
	global_load_b128 v[62:65], v[66:67], off offset:16
	global_load_b128 v[66:69], v[66:67], off
	global_load_b128 v[70:73], v[8:9], off
	s_clause 0x1
	global_load_b128 v[74:77], v[78:79], off
	global_load_b128 v[78:81], v[78:79], off offset:16
	v_fma_f32 v8, -v35, v47, v18
	v_dual_fmac_f32 v16, v29, v48 :: v_dual_add_nc_u32 v7, 0x180, v7
	v_dual_fmac_f32 v13, v34, v47 :: v_dual_fmac_f32 v14, v25, v48
	v_fma_f32 v18, -v33, v47, v19
	s_delay_alu instid0(VALU_DEP_4) | instskip(SKIP_2) | instid1(VALU_DEP_3)
	v_dual_fmac_f32 v15, v31, v46 :: v_dual_fmac_f32 v8, v26, v48
	v_fmac_f32_e32 v12, v22, v48
	v_fma_f32 v9, -v37, v47, v21
	v_dual_fmac_f32 v18, v24, v48 :: v_dual_fmac_f32 v15, v30, v47
	v_fmac_f32_e32 v14, v24, v49
	v_fma_f32 v8, -v27, v49, v8
	;; [unrolled: 3-line block ×3, first 2 shown]
	v_fmac_f32_e32 v15, v23, v48
	v_fma_f32 v18, -v25, v49, v18
	s_wait_loadcnt 0x7
	v_fmac_f32_e32 v8, v42, v50
	v_dual_fmac_f32 v13, v26, v49 :: v_dual_fmac_f32 v16, v45, v50
	v_fma_f32 v9, -v29, v49, v9
	v_fmac_f32_e32 v12, v38, v50
	v_dual_fmac_f32 v15, v22, v49 :: v_dual_fmac_f32 v14, v41, v50
	v_fmac_f32_e32 v18, v40, v50
	v_dual_fmac_f32 v13, v43, v50 :: v_dual_fmac_f32 v16, v44, v51
	s_delay_alu instid0(VALU_DEP_3)
	v_dual_fmac_f32 v15, v39, v50 :: v_dual_fmac_f32 v14, v40, v51
	v_fma_f32 v8, -v43, v51, v8
	v_fmac_f32_e32 v9, v44, v50
	s_wait_loadcnt 0x6
	v_dual_fmac_f32 v13, v42, v51 :: v_dual_fmac_f32 v16, v57, v52
	v_fma_f32 v12, -v39, v51, v12
	v_fma_f32 v18, -v41, v51, v18
	v_fmac_f32_e32 v15, v38, v51
	v_fmac_f32_e32 v8, v54, v52
	v_fma_f32 v9, -v45, v51, v9
	v_dual_fmac_f32 v13, v55, v52 :: v_dual_fmac_f32 v16, v56, v53
	s_wait_loadcnt 0x5
	v_fmac_f32_e32 v18, v60, v52
	v_fmac_f32_e32 v14, v61, v52
	v_fma_f32 v8, -v55, v53, v8
	v_fmac_f32_e32 v9, v56, v52
	v_fmac_f32_e32 v13, v54, v53
	;; [unrolled: 1-line block ×3, first 2 shown]
	v_dual_fmac_f32 v15, v59, v52 :: v_dual_fmac_f32 v14, v60, v53
	v_fma_f32 v18, -v61, v53, v18
	v_cmp_ge_i32_e32 vcc_lo, v11, v17
	s_delay_alu instid0(VALU_DEP_3)
	v_fmac_f32_e32 v15, v58, v53
	s_wait_alu 0xfffe
	s_or_b32 s4, vcc_lo, s4
	s_wait_loadcnt 0x2
	v_fmac_f32_e32 v8, v66, v70
	v_fma_f32 v9, -v57, v53, v9
	v_fmac_f32_e32 v13, v67, v70
	v_fma_f32 v12, -v59, v53, v12
	v_fmac_f32_e32 v16, v69, v70
	v_fmac_f32_e32 v15, v63, v70
	s_delay_alu instid0(VALU_DEP_4) | instskip(NEXT) | instid1(VALU_DEP_4)
	v_dual_fmac_f32 v18, v64, v70 :: v_dual_fmac_f32 v13, v66, v71
	v_fmac_f32_e32 v12, v62, v70
	v_fma_f32 v8, -v67, v71, v8
	v_fmac_f32_e32 v9, v68, v70
	v_fmac_f32_e32 v16, v68, v71
	v_dual_fmac_f32 v14, v65, v70 :: v_dual_fmac_f32 v15, v62, v71
	v_fma_f32 v19, -v65, v71, v18
	s_wait_loadcnt 0x1
	v_fmac_f32_e32 v8, v74, v72
	v_fma_f32 v9, -v69, v71, v9
	s_wait_loadcnt 0x0
	v_dual_fmac_f32 v14, v64, v71 :: v_dual_fmac_f32 v15, v79, v72
	v_fmac_f32_e32 v13, v75, v72
	v_fma_f32 v12, -v63, v71, v12
	v_fmac_f32_e32 v9, v76, v72
	v_fmac_f32_e32 v16, v77, v72
	;; [unrolled: 1-line block ×3, first 2 shown]
	v_dual_fmac_f32 v14, v81, v72 :: v_dual_fmac_f32 v15, v78, v73
	v_fmac_f32_e32 v12, v78, v72
	v_fma_f32 v18, -v75, v73, v8
	v_fmac_f32_e32 v13, v74, v73
	v_fma_f32 v21, -v77, v73, v9
	;; [unrolled: 2-line block ×3, first 2 shown]
	v_fma_f32 v19, -v81, v73, v19
	v_fmac_f32_e32 v14, v80, v73
	s_wait_alu 0xfffe
	s_and_not1_b32 exec_lo, exec_lo, s4
	s_cbranch_execnz .LBB96_7
; %bb.8:
	s_or_b32 exec_lo, exec_lo, s4
.LBB96_9:
	s_wait_alu 0xfffe
	s_or_b32 exec_lo, exec_lo, s3
	s_cbranch_execz .LBB96_11
	s_branch .LBB96_16
.LBB96_10:
                                        ; implicit-def: $vgpr13
                                        ; implicit-def: $vgpr18
                                        ; implicit-def: $vgpr19
                                        ; implicit-def: $vgpr14
                                        ; implicit-def: $vgpr20
                                        ; implicit-def: $vgpr15
                                        ; implicit-def: $vgpr21
                                        ; implicit-def: $vgpr16
.LBB96_11:
	v_dual_mov_b32 v13, 0 :: v_dual_mov_b32 v18, 0
	v_dual_mov_b32 v19, 0 :: v_dual_mov_b32 v14, 0
	;; [unrolled: 1-line block ×4, first 2 shown]
	s_and_saveexec_b32 s3, s2
	s_cbranch_execz .LBB96_15
; %bb.12:
	v_mad_co_u64_u32 v[8:9], null, v6, 24, 23
	v_dual_mov_b32 v11, 0 :: v_dual_mov_b32 v18, 0
	v_dual_mov_b32 v13, 0 :: v_dual_mov_b32 v14, 0
	;; [unrolled: 1-line block ×4, first 2 shown]
	v_mov_b32_e32 v21, 0
	s_mov_b32 s2, 0
.LBB96_13:                              ; =>This Inner Loop Header: Depth=1
	v_ashrrev_i32_e32 v7, 31, v6
	v_dual_mov_b32 v47, v11 :: v_dual_add_nc_u32 v22, -11, v8
	v_dual_mov_b32 v23, v11 :: v_dual_add_nc_u32 v24, -5, v8
	s_delay_alu instid0(VALU_DEP_3) | instskip(SKIP_1) | instid1(VALU_DEP_3)
	v_lshlrev_b64_e32 v[9:10], 2, v[6:7]
	v_mov_b32_e32 v25, v11
	v_lshlrev_b64_e32 v[22:23], 3, v[22:23]
	s_delay_alu instid0(VALU_DEP_3) | instskip(SKIP_1) | instid1(VALU_DEP_4)
	v_add_co_u32 v9, vcc_lo, s6, v9
	s_wait_alu 0xfffd
	v_add_co_ci_u32_e64 v10, null, s7, v10, vcc_lo
	global_load_b32 v7, v[9:10], off
	v_subrev_nc_u32_e32 v10, 23, v8
	v_mov_b32_e32 v9, v11
	s_delay_alu instid0(VALU_DEP_2) | instskip(SKIP_2) | instid1(VALU_DEP_2)
	v_lshlrev_b64_e32 v[26:27], 3, v[10:11]
	v_add_nc_u32_e32 v10, -10, v8
	v_lshlrev_b64_e32 v[24:25], 3, v[24:25]
	v_lshlrev_b64_e32 v[38:39], 3, v[10:11]
	v_add_nc_u32_e32 v10, -4, v8
	v_lshlrev_b64_e32 v[28:29], 3, v[8:9]
	v_add_co_u32 v34, vcc_lo, s8, v26
	s_wait_alu 0xfffd
	v_add_co_ci_u32_e64 v35, null, s9, v27, vcc_lo
	v_add_co_u32 v40, vcc_lo, s8, v22
	s_wait_alu 0xfffd
	v_add_co_ci_u32_e64 v41, null, s9, v23, vcc_lo
	v_add_co_u32 v42, vcc_lo, s8, v24
	v_lshlrev_b64_e32 v[9:10], 3, v[10:11]
	s_wait_alu 0xfffd
	v_add_co_ci_u32_e64 v43, null, s9, v25, vcc_lo
	v_add_co_u32 v50, vcc_lo, s8, v28
	s_wait_alu 0xfffd
	v_add_co_ci_u32_e64 v51, null, s9, v29, vcc_lo
	v_add_co_u32 v38, vcc_lo, s8, v38
	;; [unrolled: 3-line block ×3, first 2 shown]
	s_wait_alu 0xfffd
	v_add_co_ci_u32_e64 v10, null, s9, v10, vcc_lo
	s_clause 0x7
	global_load_b128 v[22:25], v[34:35], off offset:32
	global_load_b128 v[26:29], v[34:35], off offset:48
	;; [unrolled: 1-line block ×3, first 2 shown]
	global_load_b128 v[34:37], v[34:35], off
	global_load_b64 v[52:53], v[40:41], off
	global_load_b64 v[54:55], v[42:43], off
	;; [unrolled: 1-line block ×4, first 2 shown]
	s_wait_loadcnt 0x8
	v_subrev_nc_u32_e32 v7, s12, v7
	s_delay_alu instid0(VALU_DEP_1) | instskip(NEXT) | instid1(VALU_DEP_1)
	v_mul_lo_u32 v46, v7, 6
	v_add_nc_u32_e32 v10, 2, v46
	v_lshlrev_b64_e32 v[38:39], 3, v[46:47]
	s_delay_alu instid0(VALU_DEP_2) | instskip(NEXT) | instid1(VALU_DEP_2)
	v_lshlrev_b64_e32 v[40:41], 3, v[10:11]
	v_add_co_u32 v38, vcc_lo, s10, v38
	s_wait_alu 0xfffd
	s_delay_alu instid0(VALU_DEP_3) | instskip(NEXT) | instid1(VALU_DEP_3)
	v_add_co_ci_u32_e64 v39, null, s11, v39, vcc_lo
	v_add_co_u32 v42, vcc_lo, s10, v40
	s_wait_alu 0xfffd
	v_add_co_ci_u32_e64 v43, null, s11, v41, vcc_lo
	s_clause 0x1
	global_load_b128 v[38:41], v[38:39], off
	global_load_b128 v[42:45], v[42:43], off
	s_wait_loadcnt 0x1
	v_dual_fmac_f32 v13, v35, v38 :: v_dual_add_nc_u32 v10, -15, v8
	s_delay_alu instid0(VALU_DEP_1) | instskip(SKIP_2) | instid1(VALU_DEP_4)
	v_lshlrev_b64_e32 v[47:48], 3, v[10:11]
	v_dual_fmac_f32 v21, v26, v38 :: v_dual_add_nc_u32 v10, -9, v8
	v_fmac_f32_e32 v15, v53, v38
	v_dual_fmac_f32 v13, v34, v39 :: v_dual_add_nc_u32 v6, 16, v6
	s_delay_alu instid0(VALU_DEP_3) | instskip(SKIP_4) | instid1(VALU_DEP_3)
	v_lshlrev_b64_e32 v[60:61], 3, v[10:11]
	v_add_nc_u32_e32 v10, -3, v8
	v_add_co_u32 v47, vcc_lo, s8, v47
	s_wait_alu 0xfffd
	v_add_co_ci_u32_e64 v48, null, s9, v48, vcc_lo
	v_lshlrev_b64_e32 v[62:63], 3, v[10:11]
	v_add_co_u32 v60, vcc_lo, s8, v60
	s_wait_alu 0xfffd
	v_add_co_ci_u32_e64 v61, null, s9, v61, vcc_lo
	global_load_b64 v[64:65], v[47:48], off
	v_add_co_u32 v62, vcc_lo, s8, v62
	global_load_b64 v[60:61], v[60:61], off
	s_wait_alu 0xfffd
	v_add_co_ci_u32_e64 v63, null, s9, v63, vcc_lo
	v_dual_fmac_f32 v19, v54, v38 :: v_dual_add_nc_u32 v10, -14, v8
	v_fmac_f32_e32 v15, v52, v39
	global_load_b64 v[62:63], v[62:63], off
	v_fmac_f32_e32 v13, v37, v40
	v_lshlrev_b64_e32 v[47:48], 3, v[10:11]
	v_add_nc_u32_e32 v10, -8, v8
	v_dual_fmac_f32 v18, v34, v38 :: v_dual_fmac_f32 v15, v57, v40
	s_delay_alu instid0(VALU_DEP_4) | instskip(SKIP_1) | instid1(VALU_DEP_4)
	v_fmac_f32_e32 v13, v36, v41
	v_fma_f32 v19, -v55, v39, v19
	v_lshlrev_b64_e32 v[66:67], 3, v[10:11]
	v_add_nc_u32_e32 v10, -2, v8
	v_add_co_u32 v47, vcc_lo, s8, v47
	s_wait_alu 0xfffd
	v_add_co_ci_u32_e64 v48, null, s9, v48, vcc_lo
	s_delay_alu instid0(VALU_DEP_3)
	v_lshlrev_b64_e32 v[68:69], 3, v[10:11]
	v_fma_f32 v7, -v35, v39, v18
	v_add_nc_u32_e32 v10, 4, v46
	v_add_co_u32 v46, vcc_lo, s8, v66
	global_load_b64 v[70:71], v[47:48], off
	s_wait_alu 0xfffd
	v_add_co_ci_u32_e64 v47, null, s9, v67, vcc_lo
	v_add_co_u32 v66, vcc_lo, s8, v68
	s_wait_alu 0xfffd
	v_add_co_ci_u32_e64 v67, null, s9, v69, vcc_lo
	v_fmac_f32_e32 v7, v36, v40
	v_lshlrev_b64_e32 v[48:49], 3, v[10:11]
	v_dual_fmac_f32 v15, v56, v41 :: v_dual_add_nc_u32 v10, -13, v8
	s_clause 0x1
	global_load_b64 v[66:67], v[66:67], off
	global_load_b64 v[68:69], v[46:47], off
	v_fma_f32 v7, -v37, v41, v7
	v_lshlrev_b64_e32 v[46:47], 3, v[10:11]
	v_add_nc_u32_e32 v10, -7, v8
	v_add_co_u32 v48, vcc_lo, s10, v48
	s_wait_loadcnt 0x6
	v_fmac_f32_e32 v7, v30, v42
	s_wait_alu 0xfffd
	v_add_co_ci_u32_e64 v49, null, s11, v49, vcc_lo
	v_lshlrev_b64_e32 v[72:73], 3, v[10:11]
	v_dual_fmac_f32 v13, v31, v42 :: v_dual_add_nc_u32 v10, -1, v8
	v_add_co_u32 v74, vcc_lo, s8, v46
	v_dual_fmac_f32 v16, v27, v38 :: v_dual_fmac_f32 v19, v58, v40
	s_delay_alu instid0(VALU_DEP_3)
	v_lshlrev_b64_e32 v[76:77], 3, v[10:11]
	v_add_nc_u32_e32 v10, -12, v8
	s_wait_alu 0xfffd
	v_add_co_ci_u32_e64 v75, null, s9, v47, vcc_lo
	global_load_b128 v[46:49], v[48:49], off
	v_add_co_u32 v72, vcc_lo, s8, v72
	s_wait_alu 0xfffd
	v_add_co_ci_u32_e64 v73, null, s9, v73, vcc_lo
	v_add_co_u32 v76, vcc_lo, s8, v76
	v_fma_f32 v19, -v59, v41, v19
	s_wait_alu 0xfffd
	v_add_co_ci_u32_e64 v77, null, s9, v77, vcc_lo
	global_load_b64 v[74:75], v[74:75], off
	v_fma_f32 v7, -v31, v43, v7
	v_fma_f32 v12, -v27, v39, v21
	s_clause 0x1
	global_load_b64 v[76:77], v[76:77], off
	global_load_b64 v[72:73], v[72:73], off
	v_dual_fmac_f32 v16, v26, v39 :: v_dual_fmac_f32 v7, v32, v44
	v_dual_fmac_f32 v13, v30, v43 :: v_dual_fmac_f32 v20, v52, v38
	s_delay_alu instid0(VALU_DEP_2) | instskip(SKIP_1) | instid1(VALU_DEP_3)
	v_fma_f32 v7, -v33, v45, v7
	v_fmac_f32_e32 v12, v28, v40
	v_fmac_f32_e32 v13, v33, v44
	s_delay_alu instid0(VALU_DEP_4) | instskip(NEXT) | instid1(VALU_DEP_2)
	v_fma_f32 v18, -v53, v39, v20
	v_dual_fmac_f32 v16, v29, v40 :: v_dual_fmac_f32 v13, v32, v45
	s_wait_loadcnt 0x8
	s_delay_alu instid0(VALU_DEP_2) | instskip(SKIP_3) | instid1(VALU_DEP_4)
	v_dual_fmac_f32 v18, v56, v40 :: v_dual_fmac_f32 v15, v61, v42
	v_lshlrev_b64_e32 v[78:79], 3, v[10:11]
	v_add_nc_u32_e32 v10, -6, v8
	v_add_nc_u32_e32 v8, 0x180, v8
	v_dual_fmac_f32 v14, v55, v38 :: v_dual_fmac_f32 v15, v60, v43
	s_wait_loadcnt 0x7
	v_fmac_f32_e32 v19, v62, v42
	v_lshlrev_b64_e32 v[9:10], 3, v[10:11]
	v_add_co_u32 v78, vcc_lo, s8, v78
	s_wait_alu 0xfffd
	v_add_co_ci_u32_e64 v79, null, s9, v79, vcc_lo
	v_fmac_f32_e32 v14, v54, v39
	s_delay_alu instid0(VALU_DEP_4)
	v_add_co_u32 v9, vcc_lo, s8, v9
	s_wait_alu 0xfffd
	v_add_co_ci_u32_e64 v10, null, s9, v10, vcc_lo
	s_clause 0x2
	global_load_b64 v[78:79], v[78:79], off
	global_load_b64 v[9:10], v[9:10], off
	;; [unrolled: 1-line block ×3, first 2 shown]
	v_fma_f32 v19, -v63, v43, v19
	v_fmac_f32_e32 v16, v28, v41
	v_cmp_ge_i32_e32 vcc_lo, v6, v17
	s_wait_alu 0xfffe
	s_or_b32 s2, vcc_lo, s2
	s_wait_loadcnt 0x8
	v_fmac_f32_e32 v19, v66, v44
	s_wait_loadcnt 0x7
	v_fmac_f32_e32 v15, v69, v44
	v_fmac_f32_e32 v14, v59, v40
	s_delay_alu instid0(VALU_DEP_3) | instskip(NEXT) | instid1(VALU_DEP_3)
	v_fma_f32 v19, -v67, v45, v19
	v_fmac_f32_e32 v15, v68, v45
	s_delay_alu instid0(VALU_DEP_3)
	v_fmac_f32_e32 v14, v58, v41
	s_wait_loadcnt 0x6
	v_fmac_f32_e32 v7, v22, v46
	v_fma_f32 v12, -v29, v41, v12
	v_fmac_f32_e32 v13, v23, v46
	v_fma_f32 v18, -v57, v41, v18
	s_delay_alu instid0(VALU_DEP_4) | instskip(NEXT) | instid1(VALU_DEP_3)
	v_fma_f32 v7, -v23, v47, v7
	v_dual_fmac_f32 v12, v64, v42 :: v_dual_fmac_f32 v13, v22, v47
	s_delay_alu instid0(VALU_DEP_3) | instskip(NEXT) | instid1(VALU_DEP_3)
	v_fmac_f32_e32 v18, v60, v42
	v_dual_fmac_f32 v16, v65, v42 :: v_dual_fmac_f32 v7, v24, v48
	s_delay_alu instid0(VALU_DEP_3) | instskip(NEXT) | instid1(VALU_DEP_4)
	v_fma_f32 v12, -v65, v43, v12
	v_fmac_f32_e32 v13, v25, v48
	s_delay_alu instid0(VALU_DEP_4)
	v_fma_f32 v18, -v61, v43, v18
	s_wait_loadcnt 0x3
	v_fmac_f32_e32 v15, v73, v46
	v_fmac_f32_e32 v14, v63, v42
	v_dual_fmac_f32 v12, v70, v44 :: v_dual_fmac_f32 v13, v24, v49
	v_fmac_f32_e32 v18, v68, v44
	s_delay_alu instid0(VALU_DEP_4) | instskip(SKIP_2) | instid1(VALU_DEP_4)
	v_fmac_f32_e32 v15, v72, v47
	v_fmac_f32_e32 v16, v64, v43
	v_dual_fmac_f32 v14, v62, v43 :: v_dual_fmac_f32 v19, v76, v46
	v_fma_f32 v18, -v69, v45, v18
	v_fma_f32 v12, -v71, v45, v12
	s_delay_alu instid0(VALU_DEP_3) | instskip(NEXT) | instid1(VALU_DEP_3)
	v_fmac_f32_e32 v14, v67, v44
	v_fmac_f32_e32 v18, v72, v46
	s_delay_alu instid0(VALU_DEP_3) | instskip(NEXT) | instid1(VALU_DEP_3)
	v_fmac_f32_e32 v12, v74, v46
	v_fmac_f32_e32 v14, v66, v45
	s_delay_alu instid0(VALU_DEP_3) | instskip(SKIP_2) | instid1(VALU_DEP_4)
	v_fma_f32 v20, -v73, v47, v18
	v_fma_f32 v18, -v25, v49, v7
	;; [unrolled: 1-line block ×3, first 2 shown]
	v_fmac_f32_e32 v14, v77, v46
	v_fma_f32 v12, -v75, v47, v12
	s_delay_alu instid0(VALU_DEP_2) | instskip(SKIP_1) | instid1(VALU_DEP_2)
	v_fmac_f32_e32 v14, v76, v47
	s_wait_loadcnt 0x2
	v_fmac_f32_e32 v12, v78, v48
	s_wait_loadcnt 0x1
	v_fmac_f32_e32 v15, v10, v48
	v_fmac_f32_e32 v16, v71, v44
	;; [unrolled: 1-line block ×3, first 2 shown]
	s_wait_loadcnt 0x0
	v_fmac_f32_e32 v7, v50, v48
	v_dual_fmac_f32 v14, v51, v48 :: v_dual_fmac_f32 v15, v9, v49
	v_fmac_f32_e32 v16, v70, v45
	v_fma_f32 v21, -v79, v49, v12
	v_fma_f32 v20, -v10, v49, v20
	v_fma_f32 v19, -v51, v49, v7
	v_fmac_f32_e32 v14, v50, v49
	v_fmac_f32_e32 v16, v75, v46
	s_delay_alu instid0(VALU_DEP_1) | instskip(NEXT) | instid1(VALU_DEP_1)
	v_fmac_f32_e32 v16, v74, v47
	v_fmac_f32_e32 v16, v79, v48
	s_delay_alu instid0(VALU_DEP_1)
	v_fmac_f32_e32 v16, v78, v49
	s_wait_alu 0xfffe
	s_and_not1_b32 exec_lo, exec_lo, s2
	s_cbranch_execnz .LBB96_13
; %bb.14:
	s_or_b32 exec_lo, exec_lo, s2
.LBB96_15:
	s_wait_alu 0xfffe
	s_or_b32 exec_lo, exec_lo, s3
.LBB96_16:
	v_mbcnt_lo_u32_b32 v6, -1, 0
	s_delay_alu instid0(VALU_DEP_1) | instskip(SKIP_1) | instid1(VALU_DEP_2)
	v_xor_b32_e32 v7, 8, v6
	v_xor_b32_e32 v23, 4, v6
	v_cmp_gt_i32_e32 vcc_lo, 32, v7
	s_wait_alu 0xfffd
	v_cndmask_b32_e32 v7, v6, v7, vcc_lo
	s_delay_alu instid0(VALU_DEP_3) | instskip(NEXT) | instid1(VALU_DEP_2)
	v_cmp_gt_i32_e32 vcc_lo, 32, v23
	v_lshlrev_b32_e32 v7, 2, v7
	ds_bpermute_b32 v8, v7, v18
	s_wait_dscnt 0x0
	v_add_f32_e32 v8, v18, v8
	ds_bpermute_b32 v12, v7, v20
	ds_bpermute_b32 v9, v7, v13
	;; [unrolled: 1-line block ×7, first 2 shown]
	s_wait_dscnt 0x6
	s_wait_alu 0xfffd
	v_dual_cndmask_b32 v23, v6, v23 :: v_dual_add_f32 v12, v20, v12
	s_wait_dscnt 0x4
	s_delay_alu instid0(VALU_DEP_1)
	v_dual_add_f32 v10, v21, v10 :: v_dual_lshlrev_b32 v23, 2, v23
	s_wait_dscnt 0x3
	v_add_f32_e32 v11, v16, v11
	s_wait_dscnt 0x0
	v_add_f32_e32 v7, v14, v7
	ds_bpermute_b32 v14, v23, v8
	s_wait_dscnt 0x0
	v_add_f32_e32 v8, v8, v14
	ds_bpermute_b32 v18, v23, v11
	v_add_f32_e32 v9, v13, v9
	v_add_f32_e32 v13, v15, v17
	;; [unrolled: 1-line block ×3, first 2 shown]
	ds_bpermute_b32 v17, v23, v10
	ds_bpermute_b32 v19, v23, v12
	;; [unrolled: 1-line block ×4, first 2 shown]
	s_wait_dscnt 0x3
	v_add_f32_e32 v14, v10, v17
	s_wait_dscnt 0x2
	v_add_f32_e32 v12, v12, v19
	ds_bpermute_b32 v20, v23, v13
	s_wait_dscnt 0x2
	v_dual_add_f32 v9, v9, v16 :: v_dual_add_f32 v16, v11, v18
	s_wait_dscnt 0x1
	v_add_f32_e32 v18, v15, v21
	ds_bpermute_b32 v22, v23, v7
	v_xor_b32_e32 v23, 2, v6
	s_delay_alu instid0(VALU_DEP_1) | instskip(SKIP_2) | instid1(VALU_DEP_1)
	v_cmp_gt_i32_e32 vcc_lo, 32, v23
	s_wait_alu 0xfffd
	v_cndmask_b32_e32 v23, v6, v23, vcc_lo
	v_lshlrev_b32_e32 v23, 2, v23
	s_wait_dscnt 0x0
	v_add_f32_e32 v19, v7, v22
	ds_bpermute_b32 v11, v23, v14
	ds_bpermute_b32 v15, v23, v12
	v_add_f32_e32 v17, v13, v20
	ds_bpermute_b32 v7, v23, v8
	ds_bpermute_b32 v10, v23, v9
	ds_bpermute_b32 v13, v23, v16
	ds_bpermute_b32 v21, v23, v18
	ds_bpermute_b32 v22, v23, v19
	s_wait_dscnt 0x6
	v_add_f32_e32 v11, v14, v11
	s_wait_dscnt 0x5
	v_add_f32_e32 v14, v12, v15
	ds_bpermute_b32 v20, v23, v17
	v_xor_b32_e32 v23, 1, v6
	s_wait_dscnt 0x3
	v_add_f32_e32 v13, v16, v13
	s_delay_alu instid0(VALU_DEP_2) | instskip(SKIP_3) | instid1(VALU_DEP_2)
	v_cmp_gt_i32_e32 vcc_lo, 32, v23
	s_wait_alu 0xfffd
	v_cndmask_b32_e32 v6, v6, v23, vcc_lo
	v_cmp_eq_u32_e32 vcc_lo, 15, v0
	v_dual_add_f32 v6, v8, v7 :: v_dual_lshlrev_b32 v23, 2, v6
	s_wait_dscnt 0x2
	v_dual_add_f32 v10, v9, v10 :: v_dual_add_f32 v7, v18, v21
	s_wait_dscnt 0x0
	v_add_f32_e32 v15, v17, v20
	v_add_f32_e32 v9, v19, v22
	ds_bpermute_b32 v8, v23, v6
	ds_bpermute_b32 v12, v23, v10
	;; [unrolled: 1-line block ×8, first 2 shown]
	s_and_b32 exec_lo, exec_lo, vcc_lo
	s_cbranch_execz .LBB96_21
; %bb.17:
	s_load_b64 s[2:3], s[0:1], 0x38
	v_cmp_eq_f32_e32 vcc_lo, 0, v3
	v_cmp_eq_f32_e64 s0, 0, v4
	s_wait_dscnt 0x7
	v_add_f32_e32 v8, v6, v8
	s_wait_dscnt 0x0
	v_dual_add_f32 v12, v10, v12 :: v_dual_add_f32 v9, v9, v17
	v_dual_add_f32 v0, v11, v18 :: v_dual_add_f32 v11, v13, v19
	v_add_f32_e32 v6, v14, v20
	v_add_f32_e32 v10, v15, v21
	;; [unrolled: 1-line block ×3, first 2 shown]
	s_and_b32 s0, vcc_lo, s0
	s_wait_alu 0xfffe
	s_and_saveexec_b32 s1, s0
	s_wait_alu 0xfffe
	s_xor_b32 s0, exec_lo, s1
	s_cbranch_execz .LBB96_19
; %bb.18:
	v_dual_mul_f32 v14, v1, v12 :: v_dual_lshlrev_b32 v3, 2, v5
	v_mul_f32_e64 v13, v12, -v2
	v_mul_f32_e64 v15, v11, -v2
	v_mul_f32_e32 v16, v1, v11
	s_delay_alu instid0(VALU_DEP_4)
	v_ashrrev_i32_e32 v4, 31, v3
	v_mul_f32_e64 v17, v10, -v2
	v_mul_f32_e32 v18, v1, v10
	v_mul_f32_e64 v19, v9, -v2
	v_mul_f32_e32 v20, v1, v9
	v_lshlrev_b64_e32 v[3:4], 3, v[3:4]
	s_delay_alu instid0(VALU_DEP_4) | instskip(SKIP_1) | instid1(VALU_DEP_4)
	v_dual_fmac_f32 v13, v1, v8 :: v_dual_fmac_f32 v18, v2, v6
	v_dual_fmac_f32 v14, v2, v8 :: v_dual_fmac_f32 v17, v1, v6
	;; [unrolled: 1-line block ×3, first 2 shown]
	s_wait_kmcnt 0x0
	s_delay_alu instid0(VALU_DEP_4)
	v_add_co_u32 v3, vcc_lo, s2, v3
	s_wait_alu 0xfffd
	v_add_co_ci_u32_e64 v4, null, s3, v4, vcc_lo
	v_dual_fmac_f32 v16, v2, v0 :: v_dual_fmac_f32 v19, v1, v7
	s_clause 0x1
	global_store_b128 v[3:4], v[13:16], off
	global_store_b128 v[3:4], v[17:20], off offset:16
                                        ; implicit-def: $vgpr5
                                        ; implicit-def: $vgpr8
                                        ; implicit-def: $vgpr12
                                        ; implicit-def: $vgpr0
                                        ; implicit-def: $vgpr11
                                        ; implicit-def: $vgpr6
                                        ; implicit-def: $vgpr10
                                        ; implicit-def: $vgpr7
                                        ; implicit-def: $vgpr9
                                        ; implicit-def: $vgpr1_vgpr2
                                        ; implicit-def: $vgpr3_vgpr4
.LBB96_19:
	s_wait_alu 0xfffe
	s_and_not1_saveexec_b32 s0, s0
	s_cbranch_execz .LBB96_21
; %bb.20:
	v_dual_mul_f32 v22, v1, v12 :: v_dual_lshlrev_b32 v13, 2, v5
	v_mul_f32_e64 v5, v12, -v2
	v_mul_f32_e64 v23, v11, -v2
	;; [unrolled: 1-line block ×3, first 2 shown]
	s_delay_alu instid0(VALU_DEP_4) | instskip(NEXT) | instid1(VALU_DEP_4)
	v_ashrrev_i32_e32 v14, 31, v13
	v_fmac_f32_e32 v5, v1, v8
	s_delay_alu instid0(VALU_DEP_2) | instskip(SKIP_1) | instid1(VALU_DEP_1)
	v_lshlrev_b64_e32 v[13:14], 3, v[13:14]
	s_wait_kmcnt 0x0
	v_add_co_u32 v25, vcc_lo, s2, v13
	s_wait_alu 0xfffd
	s_delay_alu instid0(VALU_DEP_2)
	v_add_co_ci_u32_e64 v26, null, s3, v14, vcc_lo
	s_clause 0x1
	global_load_b128 v[13:16], v[25:26], off
	global_load_b128 v[17:20], v[25:26], off offset:16
	v_mul_f32_e32 v24, v1, v11
	v_mul_f32_e64 v11, v10, -v2
	s_delay_alu instid0(VALU_DEP_1) | instskip(SKIP_1) | instid1(VALU_DEP_1)
	v_dual_fmac_f32 v22, v2, v8 :: v_dual_fmac_f32 v11, v1, v6
	s_wait_loadcnt 0x1
	v_dual_fmac_f32 v27, v1, v7 :: v_dual_fmac_f32 v22, v4, v13
	s_wait_loadcnt 0x0
	s_delay_alu instid0(VALU_DEP_1) | instskip(SKIP_3) | instid1(VALU_DEP_4)
	v_dual_mul_f32 v12, v1, v9 :: v_dual_fmac_f32 v27, v3, v19
	v_fmac_f32_e32 v23, v1, v0
	v_fmac_f32_e32 v11, v3, v17
	;; [unrolled: 1-line block ×4, first 2 shown]
	s_delay_alu instid0(VALU_DEP_4) | instskip(NEXT) | instid1(VALU_DEP_4)
	v_dual_mul_f32 v10, v1, v10 :: v_dual_fmac_f32 v23, v3, v15
	v_fma_f32 v9, -v4, v18, v11
	v_fma_f32 v11, -v4, v20, v27
	s_delay_alu instid0(VALU_DEP_4) | instskip(NEXT) | instid1(VALU_DEP_4)
	v_fmac_f32_e32 v12, v4, v19
	v_dual_fmac_f32 v10, v2, v6 :: v_dual_fmac_f32 v5, v3, v13
	v_fmac_f32_e32 v24, v2, v0
	v_fma_f32 v23, -v4, v16, v23
	s_delay_alu instid0(VALU_DEP_4) | instskip(NEXT) | instid1(VALU_DEP_4)
	v_fmac_f32_e32 v12, v3, v20
	v_fmac_f32_e32 v10, v4, v17
	v_fma_f32 v21, -v4, v14, v5
	v_fmac_f32_e32 v24, v4, v15
	s_delay_alu instid0(VALU_DEP_3) | instskip(NEXT) | instid1(VALU_DEP_2)
	v_fmac_f32_e32 v10, v3, v18
	v_fmac_f32_e32 v24, v3, v16
	s_clause 0x1
	global_store_b128 v[25:26], v[21:24], off
	global_store_b128 v[25:26], v[9:12], off offset:16
.LBB96_21:
	s_endpgm
	.section	.rodata,"a",@progbits
	.p2align	6, 0x0
	.amdhsa_kernel _ZN9rocsparseL19gebsrmvn_4xn_kernelILj128ELj6ELj16E21rocsparse_complex_numIfEEEvi20rocsparse_direction_NS_24const_host_device_scalarIT2_EEPKiS8_PKS5_SA_S6_PS5_21rocsparse_index_base_b
		.amdhsa_group_segment_fixed_size 0
		.amdhsa_private_segment_fixed_size 0
		.amdhsa_kernarg_size 72
		.amdhsa_user_sgpr_count 2
		.amdhsa_user_sgpr_dispatch_ptr 0
		.amdhsa_user_sgpr_queue_ptr 0
		.amdhsa_user_sgpr_kernarg_segment_ptr 1
		.amdhsa_user_sgpr_dispatch_id 0
		.amdhsa_user_sgpr_private_segment_size 0
		.amdhsa_wavefront_size32 1
		.amdhsa_uses_dynamic_stack 0
		.amdhsa_enable_private_segment 0
		.amdhsa_system_sgpr_workgroup_id_x 1
		.amdhsa_system_sgpr_workgroup_id_y 0
		.amdhsa_system_sgpr_workgroup_id_z 0
		.amdhsa_system_sgpr_workgroup_info 0
		.amdhsa_system_vgpr_workitem_id 0
		.amdhsa_next_free_vgpr 82
		.amdhsa_next_free_sgpr 14
		.amdhsa_reserve_vcc 1
		.amdhsa_float_round_mode_32 0
		.amdhsa_float_round_mode_16_64 0
		.amdhsa_float_denorm_mode_32 3
		.amdhsa_float_denorm_mode_16_64 3
		.amdhsa_fp16_overflow 0
		.amdhsa_workgroup_processor_mode 1
		.amdhsa_memory_ordered 1
		.amdhsa_forward_progress 1
		.amdhsa_inst_pref_size 34
		.amdhsa_round_robin_scheduling 0
		.amdhsa_exception_fp_ieee_invalid_op 0
		.amdhsa_exception_fp_denorm_src 0
		.amdhsa_exception_fp_ieee_div_zero 0
		.amdhsa_exception_fp_ieee_overflow 0
		.amdhsa_exception_fp_ieee_underflow 0
		.amdhsa_exception_fp_ieee_inexact 0
		.amdhsa_exception_int_div_zero 0
	.end_amdhsa_kernel
	.section	.text._ZN9rocsparseL19gebsrmvn_4xn_kernelILj128ELj6ELj16E21rocsparse_complex_numIfEEEvi20rocsparse_direction_NS_24const_host_device_scalarIT2_EEPKiS8_PKS5_SA_S6_PS5_21rocsparse_index_base_b,"axG",@progbits,_ZN9rocsparseL19gebsrmvn_4xn_kernelILj128ELj6ELj16E21rocsparse_complex_numIfEEEvi20rocsparse_direction_NS_24const_host_device_scalarIT2_EEPKiS8_PKS5_SA_S6_PS5_21rocsparse_index_base_b,comdat
.Lfunc_end96:
	.size	_ZN9rocsparseL19gebsrmvn_4xn_kernelILj128ELj6ELj16E21rocsparse_complex_numIfEEEvi20rocsparse_direction_NS_24const_host_device_scalarIT2_EEPKiS8_PKS5_SA_S6_PS5_21rocsparse_index_base_b, .Lfunc_end96-_ZN9rocsparseL19gebsrmvn_4xn_kernelILj128ELj6ELj16E21rocsparse_complex_numIfEEEvi20rocsparse_direction_NS_24const_host_device_scalarIT2_EEPKiS8_PKS5_SA_S6_PS5_21rocsparse_index_base_b
                                        ; -- End function
	.set _ZN9rocsparseL19gebsrmvn_4xn_kernelILj128ELj6ELj16E21rocsparse_complex_numIfEEEvi20rocsparse_direction_NS_24const_host_device_scalarIT2_EEPKiS8_PKS5_SA_S6_PS5_21rocsparse_index_base_b.num_vgpr, 82
	.set _ZN9rocsparseL19gebsrmvn_4xn_kernelILj128ELj6ELj16E21rocsparse_complex_numIfEEEvi20rocsparse_direction_NS_24const_host_device_scalarIT2_EEPKiS8_PKS5_SA_S6_PS5_21rocsparse_index_base_b.num_agpr, 0
	.set _ZN9rocsparseL19gebsrmvn_4xn_kernelILj128ELj6ELj16E21rocsparse_complex_numIfEEEvi20rocsparse_direction_NS_24const_host_device_scalarIT2_EEPKiS8_PKS5_SA_S6_PS5_21rocsparse_index_base_b.numbered_sgpr, 14
	.set _ZN9rocsparseL19gebsrmvn_4xn_kernelILj128ELj6ELj16E21rocsparse_complex_numIfEEEvi20rocsparse_direction_NS_24const_host_device_scalarIT2_EEPKiS8_PKS5_SA_S6_PS5_21rocsparse_index_base_b.num_named_barrier, 0
	.set _ZN9rocsparseL19gebsrmvn_4xn_kernelILj128ELj6ELj16E21rocsparse_complex_numIfEEEvi20rocsparse_direction_NS_24const_host_device_scalarIT2_EEPKiS8_PKS5_SA_S6_PS5_21rocsparse_index_base_b.private_seg_size, 0
	.set _ZN9rocsparseL19gebsrmvn_4xn_kernelILj128ELj6ELj16E21rocsparse_complex_numIfEEEvi20rocsparse_direction_NS_24const_host_device_scalarIT2_EEPKiS8_PKS5_SA_S6_PS5_21rocsparse_index_base_b.uses_vcc, 1
	.set _ZN9rocsparseL19gebsrmvn_4xn_kernelILj128ELj6ELj16E21rocsparse_complex_numIfEEEvi20rocsparse_direction_NS_24const_host_device_scalarIT2_EEPKiS8_PKS5_SA_S6_PS5_21rocsparse_index_base_b.uses_flat_scratch, 0
	.set _ZN9rocsparseL19gebsrmvn_4xn_kernelILj128ELj6ELj16E21rocsparse_complex_numIfEEEvi20rocsparse_direction_NS_24const_host_device_scalarIT2_EEPKiS8_PKS5_SA_S6_PS5_21rocsparse_index_base_b.has_dyn_sized_stack, 0
	.set _ZN9rocsparseL19gebsrmvn_4xn_kernelILj128ELj6ELj16E21rocsparse_complex_numIfEEEvi20rocsparse_direction_NS_24const_host_device_scalarIT2_EEPKiS8_PKS5_SA_S6_PS5_21rocsparse_index_base_b.has_recursion, 0
	.set _ZN9rocsparseL19gebsrmvn_4xn_kernelILj128ELj6ELj16E21rocsparse_complex_numIfEEEvi20rocsparse_direction_NS_24const_host_device_scalarIT2_EEPKiS8_PKS5_SA_S6_PS5_21rocsparse_index_base_b.has_indirect_call, 0
	.section	.AMDGPU.csdata,"",@progbits
; Kernel info:
; codeLenInByte = 4296
; TotalNumSgprs: 16
; NumVgprs: 82
; ScratchSize: 0
; MemoryBound: 0
; FloatMode: 240
; IeeeMode: 1
; LDSByteSize: 0 bytes/workgroup (compile time only)
; SGPRBlocks: 0
; VGPRBlocks: 10
; NumSGPRsForWavesPerEU: 16
; NumVGPRsForWavesPerEU: 82
; Occupancy: 16
; WaveLimiterHint : 1
; COMPUTE_PGM_RSRC2:SCRATCH_EN: 0
; COMPUTE_PGM_RSRC2:USER_SGPR: 2
; COMPUTE_PGM_RSRC2:TRAP_HANDLER: 0
; COMPUTE_PGM_RSRC2:TGID_X_EN: 1
; COMPUTE_PGM_RSRC2:TGID_Y_EN: 0
; COMPUTE_PGM_RSRC2:TGID_Z_EN: 0
; COMPUTE_PGM_RSRC2:TIDIG_COMP_CNT: 0
	.section	.text._ZN9rocsparseL19gebsrmvn_4xn_kernelILj128ELj6ELj32E21rocsparse_complex_numIfEEEvi20rocsparse_direction_NS_24const_host_device_scalarIT2_EEPKiS8_PKS5_SA_S6_PS5_21rocsparse_index_base_b,"axG",@progbits,_ZN9rocsparseL19gebsrmvn_4xn_kernelILj128ELj6ELj32E21rocsparse_complex_numIfEEEvi20rocsparse_direction_NS_24const_host_device_scalarIT2_EEPKiS8_PKS5_SA_S6_PS5_21rocsparse_index_base_b,comdat
	.globl	_ZN9rocsparseL19gebsrmvn_4xn_kernelILj128ELj6ELj32E21rocsparse_complex_numIfEEEvi20rocsparse_direction_NS_24const_host_device_scalarIT2_EEPKiS8_PKS5_SA_S6_PS5_21rocsparse_index_base_b ; -- Begin function _ZN9rocsparseL19gebsrmvn_4xn_kernelILj128ELj6ELj32E21rocsparse_complex_numIfEEEvi20rocsparse_direction_NS_24const_host_device_scalarIT2_EEPKiS8_PKS5_SA_S6_PS5_21rocsparse_index_base_b
	.p2align	8
	.type	_ZN9rocsparseL19gebsrmvn_4xn_kernelILj128ELj6ELj32E21rocsparse_complex_numIfEEEvi20rocsparse_direction_NS_24const_host_device_scalarIT2_EEPKiS8_PKS5_SA_S6_PS5_21rocsparse_index_base_b,@function
_ZN9rocsparseL19gebsrmvn_4xn_kernelILj128ELj6ELj32E21rocsparse_complex_numIfEEEvi20rocsparse_direction_NS_24const_host_device_scalarIT2_EEPKiS8_PKS5_SA_S6_PS5_21rocsparse_index_base_b: ; @_ZN9rocsparseL19gebsrmvn_4xn_kernelILj128ELj6ELj32E21rocsparse_complex_numIfEEEvi20rocsparse_direction_NS_24const_host_device_scalarIT2_EEPKiS8_PKS5_SA_S6_PS5_21rocsparse_index_base_b
; %bb.0:
	s_clause 0x2
	s_load_b64 s[12:13], s[0:1], 0x40
	s_load_b64 s[2:3], s[0:1], 0x8
	;; [unrolled: 1-line block ×3, first 2 shown]
	s_add_nc_u64 s[6:7], s[0:1], 8
	s_wait_kmcnt 0x0
	s_bitcmp1_b32 s13, 0
	s_cselect_b32 s2, s6, s2
	s_cselect_b32 s3, s7, s3
	s_delay_alu instid0(SALU_CYCLE_1)
	v_dual_mov_b32 v1, s2 :: v_dual_mov_b32 v2, s3
	s_add_nc_u64 s[2:3], s[0:1], 48
	s_wait_alu 0xfffe
	s_cselect_b32 s2, s2, s4
	s_cselect_b32 s3, s3, s5
	flat_load_b64 v[1:2], v[1:2]
	s_wait_alu 0xfffe
	v_dual_mov_b32 v3, s2 :: v_dual_mov_b32 v4, s3
	flat_load_b64 v[3:4], v[3:4]
	s_wait_loadcnt_dscnt 0x101
	v_cmp_eq_f32_e32 vcc_lo, 0, v1
	v_cmp_eq_f32_e64 s2, 0, v2
	s_and_b32 s4, vcc_lo, s2
	s_mov_b32 s2, -1
	s_and_saveexec_b32 s3, s4
	s_cbranch_execz .LBB97_2
; %bb.1:
	s_wait_loadcnt_dscnt 0x0
	v_cmp_neq_f32_e32 vcc_lo, 1.0, v3
	v_cmp_neq_f32_e64 s2, 0, v4
	s_wait_alu 0xfffe
	s_or_b32 s2, vcc_lo, s2
	s_wait_alu 0xfffe
	s_or_not1_b32 s2, s2, exec_lo
.LBB97_2:
	s_wait_alu 0xfffe
	s_or_b32 exec_lo, exec_lo, s3
	s_and_saveexec_b32 s3, s2
	s_cbranch_execz .LBB97_21
; %bb.3:
	s_load_b64 s[2:3], s[0:1], 0x0
	v_lshrrev_b32_e32 v5, 5, v0
	s_delay_alu instid0(VALU_DEP_1) | instskip(SKIP_1) | instid1(VALU_DEP_1)
	v_lshl_or_b32 v5, ttmp9, 2, v5
	s_wait_kmcnt 0x0
	v_cmp_gt_i32_e32 vcc_lo, s2, v5
	s_and_b32 exec_lo, exec_lo, vcc_lo
	s_cbranch_execz .LBB97_21
; %bb.4:
	s_load_b256 s[4:11], s[0:1], 0x10
	v_ashrrev_i32_e32 v6, 31, v5
	v_and_b32_e32 v0, 31, v0
	s_cmp_lg_u32 s3, 0
	s_delay_alu instid0(VALU_DEP_2) | instskip(SKIP_1) | instid1(VALU_DEP_1)
	v_lshlrev_b64_e32 v[6:7], 2, v[5:6]
	s_wait_kmcnt 0x0
	v_add_co_u32 v6, vcc_lo, s4, v6
	s_delay_alu instid0(VALU_DEP_1) | instskip(SKIP_4) | instid1(VALU_DEP_2)
	v_add_co_ci_u32_e64 v7, null, s5, v7, vcc_lo
	global_load_b64 v[6:7], v[6:7], off
	s_wait_loadcnt 0x0
	v_subrev_nc_u32_e32 v6, s12, v6
	v_subrev_nc_u32_e32 v17, s12, v7
	v_add_nc_u32_e32 v6, v6, v0
	s_delay_alu instid0(VALU_DEP_1)
	v_cmp_lt_i32_e64 s2, v6, v17
	s_cbranch_scc0 .LBB97_10
; %bb.5:
	v_dual_mov_b32 v13, 0 :: v_dual_mov_b32 v18, 0
	v_dual_mov_b32 v19, 0 :: v_dual_mov_b32 v14, 0
	;; [unrolled: 1-line block ×4, first 2 shown]
	s_and_saveexec_b32 s3, s2
	s_cbranch_execz .LBB97_9
; %bb.6:
	v_mad_co_u64_u32 v[7:8], null, v6, 24, 20
	v_dual_mov_b32 v10, 0 :: v_dual_mov_b32 v11, v6
	v_dual_mov_b32 v13, 0 :: v_dual_mov_b32 v18, 0
	;; [unrolled: 1-line block ×5, first 2 shown]
	s_mov_b32 s4, 0
.LBB97_7:                               ; =>This Inner Loop Header: Depth=1
	v_ashrrev_i32_e32 v12, 31, v11
	v_mov_b32_e32 v51, v10
	s_delay_alu instid0(VALU_DEP_2) | instskip(NEXT) | instid1(VALU_DEP_1)
	v_lshlrev_b64_e32 v[8:9], 2, v[11:12]
	v_add_co_u32 v8, vcc_lo, s6, v8
	s_wait_alu 0xfffd
	s_delay_alu instid0(VALU_DEP_2) | instskip(SKIP_3) | instid1(VALU_DEP_2)
	v_add_co_ci_u32_e64 v9, null, s7, v9, vcc_lo
	global_load_b32 v12, v[8:9], off
	v_subrev_nc_u32_e32 v9, 20, v7
	v_mov_b32_e32 v8, v10
	v_lshlrev_b64_e32 v[22:23], 3, v[9:10]
	v_add_nc_u32_e32 v9, -12, v7
	s_delay_alu instid0(VALU_DEP_3) | instskip(NEXT) | instid1(VALU_DEP_2)
	v_lshlrev_b64_e32 v[24:25], 3, v[7:8]
	v_lshlrev_b64_e32 v[8:9], 3, v[9:10]
	s_delay_alu instid0(VALU_DEP_4) | instskip(SKIP_2) | instid1(VALU_DEP_4)
	v_add_co_u32 v34, vcc_lo, s8, v22
	s_wait_alu 0xfffd
	v_add_co_ci_u32_e64 v35, null, s9, v23, vcc_lo
	v_add_co_u32 v78, vcc_lo, s8, v24
	s_wait_alu 0xfffd
	v_add_co_ci_u32_e64 v79, null, s9, v25, vcc_lo
	;; [unrolled: 3-line block ×3, first 2 shown]
	s_clause 0x5
	global_load_b128 v[22:25], v[34:35], off offset:48
	global_load_b128 v[26:29], v[34:35], off offset:32
	;; [unrolled: 1-line block ×3, first 2 shown]
	global_load_b128 v[34:37], v[34:35], off
	global_load_b128 v[38:41], v[8:9], off offset:16
	global_load_b128 v[42:45], v[8:9], off
	s_wait_loadcnt 0x6
	v_subrev_nc_u32_e32 v8, s12, v12
	s_delay_alu instid0(VALU_DEP_1) | instskip(NEXT) | instid1(VALU_DEP_1)
	v_mul_lo_u32 v50, v8, 6
	v_lshlrev_b64_e32 v[46:47], 3, v[50:51]
	s_delay_alu instid0(VALU_DEP_1) | instskip(SKIP_1) | instid1(VALU_DEP_2)
	v_add_co_u32 v46, vcc_lo, s10, v46
	s_wait_alu 0xfffd
	v_add_co_ci_u32_e64 v47, null, s11, v47, vcc_lo
	global_load_b128 v[46:49], v[46:47], off
	v_add_nc_u32_e32 v9, 2, v50
	s_delay_alu instid0(VALU_DEP_1) | instskip(SKIP_1) | instid1(VALU_DEP_1)
	v_lshlrev_b64_e32 v[51:52], 3, v[9:10]
	v_add_nc_u32_e32 v9, -8, v7
	v_lshlrev_b64_e32 v[54:55], 3, v[9:10]
	s_delay_alu instid0(VALU_DEP_3) | instskip(SKIP_3) | instid1(VALU_DEP_4)
	v_add_co_u32 v51, vcc_lo, s10, v51
	v_add_nc_u32_e32 v9, -4, v7
	s_wait_alu 0xfffd
	v_add_co_ci_u32_e64 v52, null, s11, v52, vcc_lo
	v_add_co_u32 v58, vcc_lo, s8, v54
	s_delay_alu instid0(VALU_DEP_3)
	v_lshlrev_b64_e32 v[62:63], 3, v[9:10]
	v_add_nc_u32_e32 v9, 4, v50
	global_load_b128 v[50:53], v[51:52], off
	s_wait_alu 0xfffd
	v_add_co_ci_u32_e64 v59, null, s9, v55, vcc_lo
	v_add_nc_u32_e32 v11, 32, v11
	s_clause 0x1
	global_load_b128 v[54:57], v[58:59], off
	global_load_b128 v[58:61], v[58:59], off offset:16
	v_add_co_u32 v66, vcc_lo, s8, v62
	s_wait_alu 0xfffd
	v_add_co_ci_u32_e64 v67, null, s9, v63, vcc_lo
	s_wait_loadcnt 0x3
	v_fmac_f32_e32 v14, v33, v46
	v_fmac_f32_e32 v18, v34, v46
	;; [unrolled: 1-line block ×4, first 2 shown]
	s_delay_alu instid0(VALU_DEP_4)
	v_fmac_f32_e32 v14, v32, v47
	v_lshlrev_b64_e32 v[8:9], 3, v[9:10]
	v_fmac_f32_e32 v19, v32, v46
	v_dual_fmac_f32 v16, v36, v47 :: v_dual_fmac_f32 v13, v35, v46
	v_fma_f32 v12, -v31, v47, v20
	v_fmac_f32_e32 v21, v36, v46
	v_add_co_u32 v8, vcc_lo, s10, v8
	s_wait_alu 0xfffd
	v_add_co_ci_u32_e64 v9, null, s11, v9, vcc_lo
	s_clause 0x1
	global_load_b128 v[62:65], v[66:67], off offset:16
	global_load_b128 v[66:69], v[66:67], off
	global_load_b128 v[70:73], v[8:9], off
	s_clause 0x1
	global_load_b128 v[74:77], v[78:79], off
	global_load_b128 v[78:81], v[78:79], off offset:16
	v_fma_f32 v8, -v35, v47, v18
	v_dual_fmac_f32 v16, v29, v48 :: v_dual_add_nc_u32 v7, 0x300, v7
	v_dual_fmac_f32 v13, v34, v47 :: v_dual_fmac_f32 v14, v25, v48
	v_fma_f32 v18, -v33, v47, v19
	s_delay_alu instid0(VALU_DEP_4) | instskip(SKIP_2) | instid1(VALU_DEP_3)
	v_dual_fmac_f32 v15, v31, v46 :: v_dual_fmac_f32 v8, v26, v48
	v_fmac_f32_e32 v12, v22, v48
	v_fma_f32 v9, -v37, v47, v21
	v_dual_fmac_f32 v18, v24, v48 :: v_dual_fmac_f32 v15, v30, v47
	v_fmac_f32_e32 v14, v24, v49
	v_fma_f32 v8, -v27, v49, v8
	;; [unrolled: 3-line block ×3, first 2 shown]
	v_fmac_f32_e32 v15, v23, v48
	v_fma_f32 v18, -v25, v49, v18
	s_wait_loadcnt 0x7
	v_fmac_f32_e32 v8, v42, v50
	v_dual_fmac_f32 v13, v26, v49 :: v_dual_fmac_f32 v16, v45, v50
	v_fma_f32 v9, -v29, v49, v9
	v_fmac_f32_e32 v12, v38, v50
	v_dual_fmac_f32 v15, v22, v49 :: v_dual_fmac_f32 v14, v41, v50
	v_fmac_f32_e32 v18, v40, v50
	v_dual_fmac_f32 v13, v43, v50 :: v_dual_fmac_f32 v16, v44, v51
	s_delay_alu instid0(VALU_DEP_3)
	v_dual_fmac_f32 v15, v39, v50 :: v_dual_fmac_f32 v14, v40, v51
	v_fma_f32 v8, -v43, v51, v8
	v_fmac_f32_e32 v9, v44, v50
	s_wait_loadcnt 0x6
	v_dual_fmac_f32 v13, v42, v51 :: v_dual_fmac_f32 v16, v57, v52
	v_fma_f32 v12, -v39, v51, v12
	v_fma_f32 v18, -v41, v51, v18
	v_fmac_f32_e32 v15, v38, v51
	v_fmac_f32_e32 v8, v54, v52
	v_fma_f32 v9, -v45, v51, v9
	v_dual_fmac_f32 v13, v55, v52 :: v_dual_fmac_f32 v16, v56, v53
	s_wait_loadcnt 0x5
	v_fmac_f32_e32 v18, v60, v52
	v_fmac_f32_e32 v14, v61, v52
	v_fma_f32 v8, -v55, v53, v8
	v_fmac_f32_e32 v9, v56, v52
	v_fmac_f32_e32 v13, v54, v53
	;; [unrolled: 1-line block ×3, first 2 shown]
	v_dual_fmac_f32 v15, v59, v52 :: v_dual_fmac_f32 v14, v60, v53
	v_fma_f32 v18, -v61, v53, v18
	v_cmp_ge_i32_e32 vcc_lo, v11, v17
	s_delay_alu instid0(VALU_DEP_3)
	v_fmac_f32_e32 v15, v58, v53
	s_wait_alu 0xfffe
	s_or_b32 s4, vcc_lo, s4
	s_wait_loadcnt 0x2
	v_fmac_f32_e32 v8, v66, v70
	v_fma_f32 v9, -v57, v53, v9
	v_fmac_f32_e32 v13, v67, v70
	v_fma_f32 v12, -v59, v53, v12
	v_fmac_f32_e32 v16, v69, v70
	v_fmac_f32_e32 v15, v63, v70
	s_delay_alu instid0(VALU_DEP_4) | instskip(NEXT) | instid1(VALU_DEP_4)
	v_dual_fmac_f32 v18, v64, v70 :: v_dual_fmac_f32 v13, v66, v71
	v_fmac_f32_e32 v12, v62, v70
	v_fma_f32 v8, -v67, v71, v8
	v_fmac_f32_e32 v9, v68, v70
	v_fmac_f32_e32 v16, v68, v71
	v_dual_fmac_f32 v14, v65, v70 :: v_dual_fmac_f32 v15, v62, v71
	v_fma_f32 v19, -v65, v71, v18
	s_wait_loadcnt 0x1
	v_fmac_f32_e32 v8, v74, v72
	v_fma_f32 v9, -v69, v71, v9
	s_wait_loadcnt 0x0
	v_dual_fmac_f32 v14, v64, v71 :: v_dual_fmac_f32 v15, v79, v72
	v_fmac_f32_e32 v13, v75, v72
	v_fma_f32 v12, -v63, v71, v12
	v_fmac_f32_e32 v9, v76, v72
	v_fmac_f32_e32 v16, v77, v72
	;; [unrolled: 1-line block ×3, first 2 shown]
	v_dual_fmac_f32 v14, v81, v72 :: v_dual_fmac_f32 v15, v78, v73
	v_fmac_f32_e32 v12, v78, v72
	v_fma_f32 v18, -v75, v73, v8
	v_fmac_f32_e32 v13, v74, v73
	v_fma_f32 v21, -v77, v73, v9
	;; [unrolled: 2-line block ×3, first 2 shown]
	v_fma_f32 v19, -v81, v73, v19
	v_fmac_f32_e32 v14, v80, v73
	s_wait_alu 0xfffe
	s_and_not1_b32 exec_lo, exec_lo, s4
	s_cbranch_execnz .LBB97_7
; %bb.8:
	s_or_b32 exec_lo, exec_lo, s4
.LBB97_9:
	s_wait_alu 0xfffe
	s_or_b32 exec_lo, exec_lo, s3
	s_cbranch_execz .LBB97_11
	s_branch .LBB97_16
.LBB97_10:
                                        ; implicit-def: $vgpr13
                                        ; implicit-def: $vgpr18
                                        ; implicit-def: $vgpr19
                                        ; implicit-def: $vgpr14
                                        ; implicit-def: $vgpr20
                                        ; implicit-def: $vgpr15
                                        ; implicit-def: $vgpr21
                                        ; implicit-def: $vgpr16
.LBB97_11:
	v_dual_mov_b32 v13, 0 :: v_dual_mov_b32 v18, 0
	v_dual_mov_b32 v19, 0 :: v_dual_mov_b32 v14, 0
	;; [unrolled: 1-line block ×4, first 2 shown]
	s_and_saveexec_b32 s3, s2
	s_cbranch_execz .LBB97_15
; %bb.12:
	v_mad_co_u64_u32 v[8:9], null, v6, 24, 23
	v_dual_mov_b32 v11, 0 :: v_dual_mov_b32 v18, 0
	v_dual_mov_b32 v13, 0 :: v_dual_mov_b32 v14, 0
	;; [unrolled: 1-line block ×4, first 2 shown]
	v_mov_b32_e32 v21, 0
	s_mov_b32 s2, 0
.LBB97_13:                              ; =>This Inner Loop Header: Depth=1
	v_ashrrev_i32_e32 v7, 31, v6
	v_dual_mov_b32 v47, v11 :: v_dual_add_nc_u32 v22, -11, v8
	v_dual_mov_b32 v23, v11 :: v_dual_add_nc_u32 v24, -5, v8
	s_delay_alu instid0(VALU_DEP_3) | instskip(SKIP_1) | instid1(VALU_DEP_3)
	v_lshlrev_b64_e32 v[9:10], 2, v[6:7]
	v_mov_b32_e32 v25, v11
	v_lshlrev_b64_e32 v[22:23], 3, v[22:23]
	s_delay_alu instid0(VALU_DEP_3) | instskip(SKIP_1) | instid1(VALU_DEP_4)
	v_add_co_u32 v9, vcc_lo, s6, v9
	s_wait_alu 0xfffd
	v_add_co_ci_u32_e64 v10, null, s7, v10, vcc_lo
	global_load_b32 v7, v[9:10], off
	v_subrev_nc_u32_e32 v10, 23, v8
	v_mov_b32_e32 v9, v11
	s_delay_alu instid0(VALU_DEP_2) | instskip(SKIP_2) | instid1(VALU_DEP_2)
	v_lshlrev_b64_e32 v[26:27], 3, v[10:11]
	v_add_nc_u32_e32 v10, -10, v8
	v_lshlrev_b64_e32 v[24:25], 3, v[24:25]
	v_lshlrev_b64_e32 v[38:39], 3, v[10:11]
	v_add_nc_u32_e32 v10, -4, v8
	v_lshlrev_b64_e32 v[28:29], 3, v[8:9]
	v_add_co_u32 v34, vcc_lo, s8, v26
	s_wait_alu 0xfffd
	v_add_co_ci_u32_e64 v35, null, s9, v27, vcc_lo
	v_add_co_u32 v40, vcc_lo, s8, v22
	s_wait_alu 0xfffd
	v_add_co_ci_u32_e64 v41, null, s9, v23, vcc_lo
	v_add_co_u32 v42, vcc_lo, s8, v24
	v_lshlrev_b64_e32 v[9:10], 3, v[10:11]
	s_wait_alu 0xfffd
	v_add_co_ci_u32_e64 v43, null, s9, v25, vcc_lo
	v_add_co_u32 v50, vcc_lo, s8, v28
	s_wait_alu 0xfffd
	v_add_co_ci_u32_e64 v51, null, s9, v29, vcc_lo
	v_add_co_u32 v38, vcc_lo, s8, v38
	;; [unrolled: 3-line block ×3, first 2 shown]
	s_wait_alu 0xfffd
	v_add_co_ci_u32_e64 v10, null, s9, v10, vcc_lo
	s_clause 0x7
	global_load_b128 v[22:25], v[34:35], off offset:32
	global_load_b128 v[26:29], v[34:35], off offset:48
	;; [unrolled: 1-line block ×3, first 2 shown]
	global_load_b128 v[34:37], v[34:35], off
	global_load_b64 v[52:53], v[40:41], off
	global_load_b64 v[54:55], v[42:43], off
	global_load_b64 v[56:57], v[38:39], off
	global_load_b64 v[58:59], v[9:10], off
	s_wait_loadcnt 0x8
	v_subrev_nc_u32_e32 v7, s12, v7
	s_delay_alu instid0(VALU_DEP_1) | instskip(NEXT) | instid1(VALU_DEP_1)
	v_mul_lo_u32 v46, v7, 6
	v_add_nc_u32_e32 v10, 2, v46
	v_lshlrev_b64_e32 v[38:39], 3, v[46:47]
	s_delay_alu instid0(VALU_DEP_2) | instskip(NEXT) | instid1(VALU_DEP_2)
	v_lshlrev_b64_e32 v[40:41], 3, v[10:11]
	v_add_co_u32 v38, vcc_lo, s10, v38
	s_wait_alu 0xfffd
	s_delay_alu instid0(VALU_DEP_3) | instskip(NEXT) | instid1(VALU_DEP_3)
	v_add_co_ci_u32_e64 v39, null, s11, v39, vcc_lo
	v_add_co_u32 v42, vcc_lo, s10, v40
	s_wait_alu 0xfffd
	v_add_co_ci_u32_e64 v43, null, s11, v41, vcc_lo
	s_clause 0x1
	global_load_b128 v[38:41], v[38:39], off
	global_load_b128 v[42:45], v[42:43], off
	s_wait_loadcnt 0x1
	v_dual_fmac_f32 v13, v35, v38 :: v_dual_add_nc_u32 v10, -15, v8
	s_delay_alu instid0(VALU_DEP_1) | instskip(SKIP_2) | instid1(VALU_DEP_4)
	v_lshlrev_b64_e32 v[47:48], 3, v[10:11]
	v_dual_fmac_f32 v21, v26, v38 :: v_dual_add_nc_u32 v10, -9, v8
	v_fmac_f32_e32 v15, v53, v38
	v_dual_fmac_f32 v13, v34, v39 :: v_dual_add_nc_u32 v6, 32, v6
	s_delay_alu instid0(VALU_DEP_3) | instskip(SKIP_4) | instid1(VALU_DEP_3)
	v_lshlrev_b64_e32 v[60:61], 3, v[10:11]
	v_add_nc_u32_e32 v10, -3, v8
	v_add_co_u32 v47, vcc_lo, s8, v47
	s_wait_alu 0xfffd
	v_add_co_ci_u32_e64 v48, null, s9, v48, vcc_lo
	v_lshlrev_b64_e32 v[62:63], 3, v[10:11]
	v_add_co_u32 v60, vcc_lo, s8, v60
	s_wait_alu 0xfffd
	v_add_co_ci_u32_e64 v61, null, s9, v61, vcc_lo
	global_load_b64 v[64:65], v[47:48], off
	v_add_co_u32 v62, vcc_lo, s8, v62
	global_load_b64 v[60:61], v[60:61], off
	s_wait_alu 0xfffd
	v_add_co_ci_u32_e64 v63, null, s9, v63, vcc_lo
	v_dual_fmac_f32 v19, v54, v38 :: v_dual_add_nc_u32 v10, -14, v8
	v_fmac_f32_e32 v15, v52, v39
	global_load_b64 v[62:63], v[62:63], off
	v_fmac_f32_e32 v13, v37, v40
	v_lshlrev_b64_e32 v[47:48], 3, v[10:11]
	v_add_nc_u32_e32 v10, -8, v8
	v_dual_fmac_f32 v18, v34, v38 :: v_dual_fmac_f32 v15, v57, v40
	s_delay_alu instid0(VALU_DEP_4) | instskip(SKIP_1) | instid1(VALU_DEP_4)
	v_fmac_f32_e32 v13, v36, v41
	v_fma_f32 v19, -v55, v39, v19
	v_lshlrev_b64_e32 v[66:67], 3, v[10:11]
	v_add_nc_u32_e32 v10, -2, v8
	v_add_co_u32 v47, vcc_lo, s8, v47
	s_wait_alu 0xfffd
	v_add_co_ci_u32_e64 v48, null, s9, v48, vcc_lo
	s_delay_alu instid0(VALU_DEP_3)
	v_lshlrev_b64_e32 v[68:69], 3, v[10:11]
	v_fma_f32 v7, -v35, v39, v18
	v_add_nc_u32_e32 v10, 4, v46
	v_add_co_u32 v46, vcc_lo, s8, v66
	global_load_b64 v[70:71], v[47:48], off
	s_wait_alu 0xfffd
	v_add_co_ci_u32_e64 v47, null, s9, v67, vcc_lo
	v_add_co_u32 v66, vcc_lo, s8, v68
	s_wait_alu 0xfffd
	v_add_co_ci_u32_e64 v67, null, s9, v69, vcc_lo
	v_fmac_f32_e32 v7, v36, v40
	v_lshlrev_b64_e32 v[48:49], 3, v[10:11]
	v_dual_fmac_f32 v15, v56, v41 :: v_dual_add_nc_u32 v10, -13, v8
	s_clause 0x1
	global_load_b64 v[66:67], v[66:67], off
	global_load_b64 v[68:69], v[46:47], off
	v_fma_f32 v7, -v37, v41, v7
	v_lshlrev_b64_e32 v[46:47], 3, v[10:11]
	v_add_nc_u32_e32 v10, -7, v8
	v_add_co_u32 v48, vcc_lo, s10, v48
	s_wait_loadcnt 0x6
	v_fmac_f32_e32 v7, v30, v42
	s_wait_alu 0xfffd
	v_add_co_ci_u32_e64 v49, null, s11, v49, vcc_lo
	v_lshlrev_b64_e32 v[72:73], 3, v[10:11]
	v_dual_fmac_f32 v13, v31, v42 :: v_dual_add_nc_u32 v10, -1, v8
	v_add_co_u32 v74, vcc_lo, s8, v46
	v_dual_fmac_f32 v16, v27, v38 :: v_dual_fmac_f32 v19, v58, v40
	s_delay_alu instid0(VALU_DEP_3)
	v_lshlrev_b64_e32 v[76:77], 3, v[10:11]
	v_add_nc_u32_e32 v10, -12, v8
	s_wait_alu 0xfffd
	v_add_co_ci_u32_e64 v75, null, s9, v47, vcc_lo
	global_load_b128 v[46:49], v[48:49], off
	v_add_co_u32 v72, vcc_lo, s8, v72
	s_wait_alu 0xfffd
	v_add_co_ci_u32_e64 v73, null, s9, v73, vcc_lo
	v_add_co_u32 v76, vcc_lo, s8, v76
	v_fma_f32 v19, -v59, v41, v19
	s_wait_alu 0xfffd
	v_add_co_ci_u32_e64 v77, null, s9, v77, vcc_lo
	global_load_b64 v[74:75], v[74:75], off
	v_fma_f32 v7, -v31, v43, v7
	v_fma_f32 v12, -v27, v39, v21
	s_clause 0x1
	global_load_b64 v[76:77], v[76:77], off
	global_load_b64 v[72:73], v[72:73], off
	v_dual_fmac_f32 v16, v26, v39 :: v_dual_fmac_f32 v7, v32, v44
	v_dual_fmac_f32 v13, v30, v43 :: v_dual_fmac_f32 v20, v52, v38
	s_delay_alu instid0(VALU_DEP_2) | instskip(SKIP_1) | instid1(VALU_DEP_3)
	v_fma_f32 v7, -v33, v45, v7
	v_fmac_f32_e32 v12, v28, v40
	v_fmac_f32_e32 v13, v33, v44
	s_delay_alu instid0(VALU_DEP_4) | instskip(NEXT) | instid1(VALU_DEP_2)
	v_fma_f32 v18, -v53, v39, v20
	v_dual_fmac_f32 v16, v29, v40 :: v_dual_fmac_f32 v13, v32, v45
	s_wait_loadcnt 0x8
	s_delay_alu instid0(VALU_DEP_2) | instskip(SKIP_3) | instid1(VALU_DEP_4)
	v_dual_fmac_f32 v18, v56, v40 :: v_dual_fmac_f32 v15, v61, v42
	v_lshlrev_b64_e32 v[78:79], 3, v[10:11]
	v_add_nc_u32_e32 v10, -6, v8
	v_add_nc_u32_e32 v8, 0x300, v8
	v_dual_fmac_f32 v14, v55, v38 :: v_dual_fmac_f32 v15, v60, v43
	s_wait_loadcnt 0x7
	v_fmac_f32_e32 v19, v62, v42
	v_lshlrev_b64_e32 v[9:10], 3, v[10:11]
	v_add_co_u32 v78, vcc_lo, s8, v78
	s_wait_alu 0xfffd
	v_add_co_ci_u32_e64 v79, null, s9, v79, vcc_lo
	v_fmac_f32_e32 v14, v54, v39
	s_delay_alu instid0(VALU_DEP_4)
	v_add_co_u32 v9, vcc_lo, s8, v9
	s_wait_alu 0xfffd
	v_add_co_ci_u32_e64 v10, null, s9, v10, vcc_lo
	s_clause 0x2
	global_load_b64 v[78:79], v[78:79], off
	global_load_b64 v[9:10], v[9:10], off
	;; [unrolled: 1-line block ×3, first 2 shown]
	v_fma_f32 v19, -v63, v43, v19
	v_fmac_f32_e32 v16, v28, v41
	v_cmp_ge_i32_e32 vcc_lo, v6, v17
	s_wait_alu 0xfffe
	s_or_b32 s2, vcc_lo, s2
	s_wait_loadcnt 0x8
	v_fmac_f32_e32 v19, v66, v44
	s_wait_loadcnt 0x7
	v_fmac_f32_e32 v15, v69, v44
	v_fmac_f32_e32 v14, v59, v40
	s_delay_alu instid0(VALU_DEP_3) | instskip(NEXT) | instid1(VALU_DEP_3)
	v_fma_f32 v19, -v67, v45, v19
	v_fmac_f32_e32 v15, v68, v45
	s_delay_alu instid0(VALU_DEP_3)
	v_fmac_f32_e32 v14, v58, v41
	s_wait_loadcnt 0x6
	v_fmac_f32_e32 v7, v22, v46
	v_fma_f32 v12, -v29, v41, v12
	v_fmac_f32_e32 v13, v23, v46
	v_fma_f32 v18, -v57, v41, v18
	s_delay_alu instid0(VALU_DEP_4) | instskip(NEXT) | instid1(VALU_DEP_3)
	v_fma_f32 v7, -v23, v47, v7
	v_dual_fmac_f32 v12, v64, v42 :: v_dual_fmac_f32 v13, v22, v47
	s_delay_alu instid0(VALU_DEP_3) | instskip(NEXT) | instid1(VALU_DEP_3)
	v_fmac_f32_e32 v18, v60, v42
	v_dual_fmac_f32 v16, v65, v42 :: v_dual_fmac_f32 v7, v24, v48
	s_delay_alu instid0(VALU_DEP_3) | instskip(NEXT) | instid1(VALU_DEP_4)
	v_fma_f32 v12, -v65, v43, v12
	v_fmac_f32_e32 v13, v25, v48
	s_delay_alu instid0(VALU_DEP_4)
	v_fma_f32 v18, -v61, v43, v18
	s_wait_loadcnt 0x3
	v_fmac_f32_e32 v15, v73, v46
	v_fmac_f32_e32 v14, v63, v42
	v_dual_fmac_f32 v12, v70, v44 :: v_dual_fmac_f32 v13, v24, v49
	v_fmac_f32_e32 v18, v68, v44
	s_delay_alu instid0(VALU_DEP_4) | instskip(SKIP_2) | instid1(VALU_DEP_4)
	v_fmac_f32_e32 v15, v72, v47
	v_fmac_f32_e32 v16, v64, v43
	v_dual_fmac_f32 v14, v62, v43 :: v_dual_fmac_f32 v19, v76, v46
	v_fma_f32 v18, -v69, v45, v18
	v_fma_f32 v12, -v71, v45, v12
	s_delay_alu instid0(VALU_DEP_3) | instskip(NEXT) | instid1(VALU_DEP_3)
	v_fmac_f32_e32 v14, v67, v44
	v_fmac_f32_e32 v18, v72, v46
	s_delay_alu instid0(VALU_DEP_3) | instskip(NEXT) | instid1(VALU_DEP_3)
	v_fmac_f32_e32 v12, v74, v46
	v_fmac_f32_e32 v14, v66, v45
	s_delay_alu instid0(VALU_DEP_3) | instskip(SKIP_2) | instid1(VALU_DEP_4)
	v_fma_f32 v20, -v73, v47, v18
	v_fma_f32 v18, -v25, v49, v7
	;; [unrolled: 1-line block ×3, first 2 shown]
	v_fmac_f32_e32 v14, v77, v46
	v_fma_f32 v12, -v75, v47, v12
	s_delay_alu instid0(VALU_DEP_2) | instskip(SKIP_1) | instid1(VALU_DEP_2)
	v_fmac_f32_e32 v14, v76, v47
	s_wait_loadcnt 0x2
	v_fmac_f32_e32 v12, v78, v48
	s_wait_loadcnt 0x1
	v_fmac_f32_e32 v15, v10, v48
	v_fmac_f32_e32 v16, v71, v44
	v_fmac_f32_e32 v20, v9, v48
	s_wait_loadcnt 0x0
	v_fmac_f32_e32 v7, v50, v48
	v_dual_fmac_f32 v14, v51, v48 :: v_dual_fmac_f32 v15, v9, v49
	v_fmac_f32_e32 v16, v70, v45
	v_fma_f32 v21, -v79, v49, v12
	v_fma_f32 v20, -v10, v49, v20
	;; [unrolled: 1-line block ×3, first 2 shown]
	v_fmac_f32_e32 v14, v50, v49
	v_fmac_f32_e32 v16, v75, v46
	s_delay_alu instid0(VALU_DEP_1) | instskip(NEXT) | instid1(VALU_DEP_1)
	v_fmac_f32_e32 v16, v74, v47
	v_fmac_f32_e32 v16, v79, v48
	s_delay_alu instid0(VALU_DEP_1)
	v_fmac_f32_e32 v16, v78, v49
	s_wait_alu 0xfffe
	s_and_not1_b32 exec_lo, exec_lo, s2
	s_cbranch_execnz .LBB97_13
; %bb.14:
	s_or_b32 exec_lo, exec_lo, s2
.LBB97_15:
	s_wait_alu 0xfffe
	s_or_b32 exec_lo, exec_lo, s3
.LBB97_16:
	v_mbcnt_lo_u32_b32 v6, -1, 0
	s_delay_alu instid0(VALU_DEP_1) | instskip(SKIP_1) | instid1(VALU_DEP_2)
	v_xor_b32_e32 v7, 16, v6
	v_xor_b32_e32 v23, 8, v6
	v_cmp_gt_i32_e32 vcc_lo, 32, v7
	s_wait_alu 0xfffd
	v_cndmask_b32_e32 v7, v6, v7, vcc_lo
	s_delay_alu instid0(VALU_DEP_3) | instskip(NEXT) | instid1(VALU_DEP_2)
	v_cmp_gt_i32_e32 vcc_lo, 32, v23
	v_lshlrev_b32_e32 v7, 2, v7
	ds_bpermute_b32 v8, v7, v18
	s_wait_dscnt 0x0
	v_add_f32_e32 v8, v18, v8
	ds_bpermute_b32 v12, v7, v20
	ds_bpermute_b32 v9, v7, v13
	;; [unrolled: 1-line block ×7, first 2 shown]
	s_wait_dscnt 0x6
	s_wait_alu 0xfffd
	v_dual_cndmask_b32 v23, v6, v23 :: v_dual_add_f32 v12, v20, v12
	s_wait_dscnt 0x4
	s_delay_alu instid0(VALU_DEP_1)
	v_dual_add_f32 v10, v21, v10 :: v_dual_lshlrev_b32 v23, 2, v23
	v_add_f32_e32 v9, v13, v9
	s_wait_dscnt 0x0
	v_add_f32_e32 v7, v14, v7
	ds_bpermute_b32 v14, v23, v8
	s_wait_dscnt 0x0
	v_dual_add_f32 v8, v8, v14 :: v_dual_add_f32 v13, v15, v17
	ds_bpermute_b32 v17, v23, v10
	v_add_f32_e32 v15, v19, v22
	ds_bpermute_b32 v19, v23, v12
	v_add_f32_e32 v11, v16, v11
	ds_bpermute_b32 v20, v23, v13
	ds_bpermute_b32 v22, v23, v7
	;; [unrolled: 1-line block ×3, first 2 shown]
	s_wait_dscnt 0x4
	v_add_f32_e32 v10, v10, v17
	ds_bpermute_b32 v18, v23, v11
	s_wait_dscnt 0x4
	v_add_f32_e32 v12, v12, v19
	ds_bpermute_b32 v16, v23, v9
	v_xor_b32_e32 v23, 4, v6
	s_delay_alu instid0(VALU_DEP_1)
	v_cmp_gt_i32_e32 vcc_lo, 32, v23
	s_wait_dscnt 0x1
	v_add_f32_e32 v11, v11, v18
	s_wait_alu 0xfffd
	v_cndmask_b32_e32 v23, v6, v23, vcc_lo
	s_wait_dscnt 0x0
	v_add_f32_e32 v9, v9, v16
	s_delay_alu instid0(VALU_DEP_2)
	v_lshlrev_b32_e32 v23, 2, v23
	ds_bpermute_b32 v19, v23, v12
	ds_bpermute_b32 v16, v23, v9
	ds_bpermute_b32 v18, v23, v11
	s_wait_dscnt 0x2
	v_add_f32_e32 v12, v12, v19
	s_wait_dscnt 0x1
	v_dual_add_f32 v14, v15, v21 :: v_dual_add_f32 v9, v9, v16
	s_wait_dscnt 0x0
	v_add_f32_e32 v16, v11, v18
	v_add_f32_e32 v7, v7, v22
	ds_bpermute_b32 v21, v23, v14
	s_wait_dscnt 0x0
	v_add_f32_e32 v18, v14, v21
	ds_bpermute_b32 v15, v23, v8
	ds_bpermute_b32 v17, v23, v10
	;; [unrolled: 1-line block ×3, first 2 shown]
	s_wait_dscnt 0x2
	v_dual_add_f32 v8, v8, v15 :: v_dual_add_f32 v13, v13, v20
	s_wait_dscnt 0x1
	v_add_f32_e32 v15, v10, v17
	s_wait_dscnt 0x0
	v_add_f32_e32 v19, v7, v22
	ds_bpermute_b32 v20, v23, v13
	v_xor_b32_e32 v23, 2, v6
	s_delay_alu instid0(VALU_DEP_1) | instskip(SKIP_2) | instid1(VALU_DEP_1)
	v_cmp_gt_i32_e32 vcc_lo, 32, v23
	s_wait_alu 0xfffd
	v_cndmask_b32_e32 v23, v6, v23, vcc_lo
	v_lshlrev_b32_e32 v23, 2, v23
	ds_bpermute_b32 v14, v23, v12
	ds_bpermute_b32 v7, v23, v8
	;; [unrolled: 1-line block ×6, first 2 shown]
	s_wait_dscnt 0x5
	v_dual_add_f32 v14, v12, v14 :: v_dual_add_f32 v17, v13, v20
	ds_bpermute_b32 v13, v23, v16
	s_wait_dscnt 0x3
	v_dual_add_f32 v10, v9, v10 :: v_dual_add_f32 v11, v15, v11
	s_wait_dscnt 0x1
	v_add_f32_e32 v9, v19, v22
	ds_bpermute_b32 v20, v23, v17
	v_xor_b32_e32 v23, 1, v6
	s_delay_alu instid0(VALU_DEP_1) | instskip(SKIP_3) | instid1(VALU_DEP_2)
	v_cmp_gt_i32_e32 vcc_lo, 32, v23
	s_wait_alu 0xfffd
	v_cndmask_b32_e32 v6, v6, v23, vcc_lo
	v_cmp_eq_u32_e32 vcc_lo, 31, v0
	v_dual_add_f32 v6, v8, v7 :: v_dual_lshlrev_b32 v23, 2, v6
	s_wait_dscnt 0x1
	v_add_f32_e32 v13, v16, v13
	v_add_f32_e32 v7, v18, v21
	s_wait_dscnt 0x0
	v_add_f32_e32 v15, v17, v20
	ds_bpermute_b32 v12, v23, v10
	ds_bpermute_b32 v8, v23, v6
	;; [unrolled: 1-line block ×8, first 2 shown]
	s_and_b32 exec_lo, exec_lo, vcc_lo
	s_cbranch_execz .LBB97_21
; %bb.17:
	s_load_b64 s[2:3], s[0:1], 0x38
	v_cmp_eq_f32_e32 vcc_lo, 0, v3
	v_cmp_eq_f32_e64 s0, 0, v4
	s_wait_dscnt 0x6
	v_add_f32_e32 v8, v6, v8
	s_wait_dscnt 0x0
	v_dual_add_f32 v12, v10, v12 :: v_dual_add_f32 v9, v9, v17
	v_dual_add_f32 v0, v11, v18 :: v_dual_add_f32 v11, v13, v19
	v_add_f32_e32 v6, v14, v20
	v_add_f32_e32 v10, v15, v21
	;; [unrolled: 1-line block ×3, first 2 shown]
	s_and_b32 s0, vcc_lo, s0
	s_wait_alu 0xfffe
	s_and_saveexec_b32 s1, s0
	s_wait_alu 0xfffe
	s_xor_b32 s0, exec_lo, s1
	s_cbranch_execz .LBB97_19
; %bb.18:
	v_dual_mul_f32 v14, v1, v12 :: v_dual_lshlrev_b32 v3, 2, v5
	v_mul_f32_e64 v13, v12, -v2
	v_mul_f32_e64 v15, v11, -v2
	v_mul_f32_e32 v16, v1, v11
	s_delay_alu instid0(VALU_DEP_4)
	v_ashrrev_i32_e32 v4, 31, v3
	v_mul_f32_e64 v17, v10, -v2
	v_mul_f32_e32 v18, v1, v10
	v_mul_f32_e64 v19, v9, -v2
	v_mul_f32_e32 v20, v1, v9
	v_lshlrev_b64_e32 v[3:4], 3, v[3:4]
	s_delay_alu instid0(VALU_DEP_4) | instskip(SKIP_1) | instid1(VALU_DEP_4)
	v_dual_fmac_f32 v13, v1, v8 :: v_dual_fmac_f32 v18, v2, v6
	v_dual_fmac_f32 v14, v2, v8 :: v_dual_fmac_f32 v17, v1, v6
	;; [unrolled: 1-line block ×3, first 2 shown]
	s_wait_kmcnt 0x0
	s_delay_alu instid0(VALU_DEP_4)
	v_add_co_u32 v3, vcc_lo, s2, v3
	s_wait_alu 0xfffd
	v_add_co_ci_u32_e64 v4, null, s3, v4, vcc_lo
	v_dual_fmac_f32 v16, v2, v0 :: v_dual_fmac_f32 v19, v1, v7
	s_clause 0x1
	global_store_b128 v[3:4], v[13:16], off
	global_store_b128 v[3:4], v[17:20], off offset:16
                                        ; implicit-def: $vgpr5
                                        ; implicit-def: $vgpr8
                                        ; implicit-def: $vgpr12
                                        ; implicit-def: $vgpr0
                                        ; implicit-def: $vgpr11
                                        ; implicit-def: $vgpr6
                                        ; implicit-def: $vgpr10
                                        ; implicit-def: $vgpr7
                                        ; implicit-def: $vgpr9
                                        ; implicit-def: $vgpr1_vgpr2
                                        ; implicit-def: $vgpr3_vgpr4
.LBB97_19:
	s_wait_alu 0xfffe
	s_and_not1_saveexec_b32 s0, s0
	s_cbranch_execz .LBB97_21
; %bb.20:
	v_dual_mul_f32 v22, v1, v12 :: v_dual_lshlrev_b32 v13, 2, v5
	v_mul_f32_e64 v5, v12, -v2
	v_mul_f32_e64 v23, v11, -v2
	;; [unrolled: 1-line block ×3, first 2 shown]
	s_delay_alu instid0(VALU_DEP_4) | instskip(NEXT) | instid1(VALU_DEP_4)
	v_ashrrev_i32_e32 v14, 31, v13
	v_fmac_f32_e32 v5, v1, v8
	s_delay_alu instid0(VALU_DEP_2) | instskip(SKIP_1) | instid1(VALU_DEP_1)
	v_lshlrev_b64_e32 v[13:14], 3, v[13:14]
	s_wait_kmcnt 0x0
	v_add_co_u32 v25, vcc_lo, s2, v13
	s_wait_alu 0xfffd
	s_delay_alu instid0(VALU_DEP_2)
	v_add_co_ci_u32_e64 v26, null, s3, v14, vcc_lo
	s_clause 0x1
	global_load_b128 v[13:16], v[25:26], off
	global_load_b128 v[17:20], v[25:26], off offset:16
	v_mul_f32_e32 v24, v1, v11
	v_mul_f32_e64 v11, v10, -v2
	s_delay_alu instid0(VALU_DEP_1) | instskip(SKIP_1) | instid1(VALU_DEP_1)
	v_dual_fmac_f32 v22, v2, v8 :: v_dual_fmac_f32 v11, v1, v6
	s_wait_loadcnt 0x1
	v_dual_fmac_f32 v27, v1, v7 :: v_dual_fmac_f32 v22, v4, v13
	s_wait_loadcnt 0x0
	s_delay_alu instid0(VALU_DEP_1) | instskip(SKIP_3) | instid1(VALU_DEP_4)
	v_dual_mul_f32 v12, v1, v9 :: v_dual_fmac_f32 v27, v3, v19
	v_fmac_f32_e32 v23, v1, v0
	v_fmac_f32_e32 v11, v3, v17
	;; [unrolled: 1-line block ×4, first 2 shown]
	s_delay_alu instid0(VALU_DEP_4) | instskip(NEXT) | instid1(VALU_DEP_4)
	v_dual_mul_f32 v10, v1, v10 :: v_dual_fmac_f32 v23, v3, v15
	v_fma_f32 v9, -v4, v18, v11
	v_fma_f32 v11, -v4, v20, v27
	s_delay_alu instid0(VALU_DEP_4) | instskip(NEXT) | instid1(VALU_DEP_4)
	v_fmac_f32_e32 v12, v4, v19
	v_dual_fmac_f32 v10, v2, v6 :: v_dual_fmac_f32 v5, v3, v13
	v_fmac_f32_e32 v24, v2, v0
	v_fma_f32 v23, -v4, v16, v23
	s_delay_alu instid0(VALU_DEP_4) | instskip(NEXT) | instid1(VALU_DEP_4)
	v_fmac_f32_e32 v12, v3, v20
	v_fmac_f32_e32 v10, v4, v17
	v_fma_f32 v21, -v4, v14, v5
	v_fmac_f32_e32 v24, v4, v15
	s_delay_alu instid0(VALU_DEP_3) | instskip(NEXT) | instid1(VALU_DEP_2)
	v_fmac_f32_e32 v10, v3, v18
	v_fmac_f32_e32 v24, v3, v16
	s_clause 0x1
	global_store_b128 v[25:26], v[21:24], off
	global_store_b128 v[25:26], v[9:12], off offset:16
.LBB97_21:
	s_endpgm
	.section	.rodata,"a",@progbits
	.p2align	6, 0x0
	.amdhsa_kernel _ZN9rocsparseL19gebsrmvn_4xn_kernelILj128ELj6ELj32E21rocsparse_complex_numIfEEEvi20rocsparse_direction_NS_24const_host_device_scalarIT2_EEPKiS8_PKS5_SA_S6_PS5_21rocsparse_index_base_b
		.amdhsa_group_segment_fixed_size 0
		.amdhsa_private_segment_fixed_size 0
		.amdhsa_kernarg_size 72
		.amdhsa_user_sgpr_count 2
		.amdhsa_user_sgpr_dispatch_ptr 0
		.amdhsa_user_sgpr_queue_ptr 0
		.amdhsa_user_sgpr_kernarg_segment_ptr 1
		.amdhsa_user_sgpr_dispatch_id 0
		.amdhsa_user_sgpr_private_segment_size 0
		.amdhsa_wavefront_size32 1
		.amdhsa_uses_dynamic_stack 0
		.amdhsa_enable_private_segment 0
		.amdhsa_system_sgpr_workgroup_id_x 1
		.amdhsa_system_sgpr_workgroup_id_y 0
		.amdhsa_system_sgpr_workgroup_id_z 0
		.amdhsa_system_sgpr_workgroup_info 0
		.amdhsa_system_vgpr_workitem_id 0
		.amdhsa_next_free_vgpr 82
		.amdhsa_next_free_sgpr 14
		.amdhsa_reserve_vcc 1
		.amdhsa_float_round_mode_32 0
		.amdhsa_float_round_mode_16_64 0
		.amdhsa_float_denorm_mode_32 3
		.amdhsa_float_denorm_mode_16_64 3
		.amdhsa_fp16_overflow 0
		.amdhsa_workgroup_processor_mode 1
		.amdhsa_memory_ordered 1
		.amdhsa_forward_progress 1
		.amdhsa_inst_pref_size 35
		.amdhsa_round_robin_scheduling 0
		.amdhsa_exception_fp_ieee_invalid_op 0
		.amdhsa_exception_fp_denorm_src 0
		.amdhsa_exception_fp_ieee_div_zero 0
		.amdhsa_exception_fp_ieee_overflow 0
		.amdhsa_exception_fp_ieee_underflow 0
		.amdhsa_exception_fp_ieee_inexact 0
		.amdhsa_exception_int_div_zero 0
	.end_amdhsa_kernel
	.section	.text._ZN9rocsparseL19gebsrmvn_4xn_kernelILj128ELj6ELj32E21rocsparse_complex_numIfEEEvi20rocsparse_direction_NS_24const_host_device_scalarIT2_EEPKiS8_PKS5_SA_S6_PS5_21rocsparse_index_base_b,"axG",@progbits,_ZN9rocsparseL19gebsrmvn_4xn_kernelILj128ELj6ELj32E21rocsparse_complex_numIfEEEvi20rocsparse_direction_NS_24const_host_device_scalarIT2_EEPKiS8_PKS5_SA_S6_PS5_21rocsparse_index_base_b,comdat
.Lfunc_end97:
	.size	_ZN9rocsparseL19gebsrmvn_4xn_kernelILj128ELj6ELj32E21rocsparse_complex_numIfEEEvi20rocsparse_direction_NS_24const_host_device_scalarIT2_EEPKiS8_PKS5_SA_S6_PS5_21rocsparse_index_base_b, .Lfunc_end97-_ZN9rocsparseL19gebsrmvn_4xn_kernelILj128ELj6ELj32E21rocsparse_complex_numIfEEEvi20rocsparse_direction_NS_24const_host_device_scalarIT2_EEPKiS8_PKS5_SA_S6_PS5_21rocsparse_index_base_b
                                        ; -- End function
	.set _ZN9rocsparseL19gebsrmvn_4xn_kernelILj128ELj6ELj32E21rocsparse_complex_numIfEEEvi20rocsparse_direction_NS_24const_host_device_scalarIT2_EEPKiS8_PKS5_SA_S6_PS5_21rocsparse_index_base_b.num_vgpr, 82
	.set _ZN9rocsparseL19gebsrmvn_4xn_kernelILj128ELj6ELj32E21rocsparse_complex_numIfEEEvi20rocsparse_direction_NS_24const_host_device_scalarIT2_EEPKiS8_PKS5_SA_S6_PS5_21rocsparse_index_base_b.num_agpr, 0
	.set _ZN9rocsparseL19gebsrmvn_4xn_kernelILj128ELj6ELj32E21rocsparse_complex_numIfEEEvi20rocsparse_direction_NS_24const_host_device_scalarIT2_EEPKiS8_PKS5_SA_S6_PS5_21rocsparse_index_base_b.numbered_sgpr, 14
	.set _ZN9rocsparseL19gebsrmvn_4xn_kernelILj128ELj6ELj32E21rocsparse_complex_numIfEEEvi20rocsparse_direction_NS_24const_host_device_scalarIT2_EEPKiS8_PKS5_SA_S6_PS5_21rocsparse_index_base_b.num_named_barrier, 0
	.set _ZN9rocsparseL19gebsrmvn_4xn_kernelILj128ELj6ELj32E21rocsparse_complex_numIfEEEvi20rocsparse_direction_NS_24const_host_device_scalarIT2_EEPKiS8_PKS5_SA_S6_PS5_21rocsparse_index_base_b.private_seg_size, 0
	.set _ZN9rocsparseL19gebsrmvn_4xn_kernelILj128ELj6ELj32E21rocsparse_complex_numIfEEEvi20rocsparse_direction_NS_24const_host_device_scalarIT2_EEPKiS8_PKS5_SA_S6_PS5_21rocsparse_index_base_b.uses_vcc, 1
	.set _ZN9rocsparseL19gebsrmvn_4xn_kernelILj128ELj6ELj32E21rocsparse_complex_numIfEEEvi20rocsparse_direction_NS_24const_host_device_scalarIT2_EEPKiS8_PKS5_SA_S6_PS5_21rocsparse_index_base_b.uses_flat_scratch, 0
	.set _ZN9rocsparseL19gebsrmvn_4xn_kernelILj128ELj6ELj32E21rocsparse_complex_numIfEEEvi20rocsparse_direction_NS_24const_host_device_scalarIT2_EEPKiS8_PKS5_SA_S6_PS5_21rocsparse_index_base_b.has_dyn_sized_stack, 0
	.set _ZN9rocsparseL19gebsrmvn_4xn_kernelILj128ELj6ELj32E21rocsparse_complex_numIfEEEvi20rocsparse_direction_NS_24const_host_device_scalarIT2_EEPKiS8_PKS5_SA_S6_PS5_21rocsparse_index_base_b.has_recursion, 0
	.set _ZN9rocsparseL19gebsrmvn_4xn_kernelILj128ELj6ELj32E21rocsparse_complex_numIfEEEvi20rocsparse_direction_NS_24const_host_device_scalarIT2_EEPKiS8_PKS5_SA_S6_PS5_21rocsparse_index_base_b.has_indirect_call, 0
	.section	.AMDGPU.csdata,"",@progbits
; Kernel info:
; codeLenInByte = 4440
; TotalNumSgprs: 16
; NumVgprs: 82
; ScratchSize: 0
; MemoryBound: 0
; FloatMode: 240
; IeeeMode: 1
; LDSByteSize: 0 bytes/workgroup (compile time only)
; SGPRBlocks: 0
; VGPRBlocks: 10
; NumSGPRsForWavesPerEU: 16
; NumVGPRsForWavesPerEU: 82
; Occupancy: 16
; WaveLimiterHint : 1
; COMPUTE_PGM_RSRC2:SCRATCH_EN: 0
; COMPUTE_PGM_RSRC2:USER_SGPR: 2
; COMPUTE_PGM_RSRC2:TRAP_HANDLER: 0
; COMPUTE_PGM_RSRC2:TGID_X_EN: 1
; COMPUTE_PGM_RSRC2:TGID_Y_EN: 0
; COMPUTE_PGM_RSRC2:TGID_Z_EN: 0
; COMPUTE_PGM_RSRC2:TIDIG_COMP_CNT: 0
	.section	.text._ZN9rocsparseL19gebsrmvn_4xn_kernelILj128ELj6ELj64E21rocsparse_complex_numIfEEEvi20rocsparse_direction_NS_24const_host_device_scalarIT2_EEPKiS8_PKS5_SA_S6_PS5_21rocsparse_index_base_b,"axG",@progbits,_ZN9rocsparseL19gebsrmvn_4xn_kernelILj128ELj6ELj64E21rocsparse_complex_numIfEEEvi20rocsparse_direction_NS_24const_host_device_scalarIT2_EEPKiS8_PKS5_SA_S6_PS5_21rocsparse_index_base_b,comdat
	.globl	_ZN9rocsparseL19gebsrmvn_4xn_kernelILj128ELj6ELj64E21rocsparse_complex_numIfEEEvi20rocsparse_direction_NS_24const_host_device_scalarIT2_EEPKiS8_PKS5_SA_S6_PS5_21rocsparse_index_base_b ; -- Begin function _ZN9rocsparseL19gebsrmvn_4xn_kernelILj128ELj6ELj64E21rocsparse_complex_numIfEEEvi20rocsparse_direction_NS_24const_host_device_scalarIT2_EEPKiS8_PKS5_SA_S6_PS5_21rocsparse_index_base_b
	.p2align	8
	.type	_ZN9rocsparseL19gebsrmvn_4xn_kernelILj128ELj6ELj64E21rocsparse_complex_numIfEEEvi20rocsparse_direction_NS_24const_host_device_scalarIT2_EEPKiS8_PKS5_SA_S6_PS5_21rocsparse_index_base_b,@function
_ZN9rocsparseL19gebsrmvn_4xn_kernelILj128ELj6ELj64E21rocsparse_complex_numIfEEEvi20rocsparse_direction_NS_24const_host_device_scalarIT2_EEPKiS8_PKS5_SA_S6_PS5_21rocsparse_index_base_b: ; @_ZN9rocsparseL19gebsrmvn_4xn_kernelILj128ELj6ELj64E21rocsparse_complex_numIfEEEvi20rocsparse_direction_NS_24const_host_device_scalarIT2_EEPKiS8_PKS5_SA_S6_PS5_21rocsparse_index_base_b
; %bb.0:
	s_clause 0x2
	s_load_b64 s[12:13], s[0:1], 0x40
	s_load_b64 s[2:3], s[0:1], 0x8
	;; [unrolled: 1-line block ×3, first 2 shown]
	s_add_nc_u64 s[6:7], s[0:1], 8
	s_wait_kmcnt 0x0
	s_bitcmp1_b32 s13, 0
	s_cselect_b32 s2, s6, s2
	s_cselect_b32 s3, s7, s3
	s_delay_alu instid0(SALU_CYCLE_1)
	v_dual_mov_b32 v1, s2 :: v_dual_mov_b32 v2, s3
	s_add_nc_u64 s[2:3], s[0:1], 48
	s_wait_alu 0xfffe
	s_cselect_b32 s2, s2, s4
	s_cselect_b32 s3, s3, s5
	flat_load_b64 v[1:2], v[1:2]
	s_wait_alu 0xfffe
	v_dual_mov_b32 v3, s2 :: v_dual_mov_b32 v4, s3
	flat_load_b64 v[3:4], v[3:4]
	s_wait_loadcnt_dscnt 0x101
	v_cmp_eq_f32_e32 vcc_lo, 0, v1
	v_cmp_eq_f32_e64 s2, 0, v2
	s_and_b32 s4, vcc_lo, s2
	s_mov_b32 s2, -1
	s_and_saveexec_b32 s3, s4
	s_cbranch_execz .LBB98_2
; %bb.1:
	s_wait_loadcnt_dscnt 0x0
	v_cmp_neq_f32_e32 vcc_lo, 1.0, v3
	v_cmp_neq_f32_e64 s2, 0, v4
	s_wait_alu 0xfffe
	s_or_b32 s2, vcc_lo, s2
	s_wait_alu 0xfffe
	s_or_not1_b32 s2, s2, exec_lo
.LBB98_2:
	s_wait_alu 0xfffe
	s_or_b32 exec_lo, exec_lo, s3
	s_and_saveexec_b32 s3, s2
	s_cbranch_execz .LBB98_21
; %bb.3:
	s_load_b64 s[2:3], s[0:1], 0x0
	v_lshrrev_b32_e32 v5, 6, v0
	s_delay_alu instid0(VALU_DEP_1) | instskip(SKIP_1) | instid1(VALU_DEP_1)
	v_lshl_or_b32 v5, ttmp9, 1, v5
	s_wait_kmcnt 0x0
	v_cmp_gt_i32_e32 vcc_lo, s2, v5
	s_and_b32 exec_lo, exec_lo, vcc_lo
	s_cbranch_execz .LBB98_21
; %bb.4:
	s_load_b256 s[4:11], s[0:1], 0x10
	v_ashrrev_i32_e32 v6, 31, v5
	v_and_b32_e32 v0, 63, v0
	s_cmp_lg_u32 s3, 0
	s_delay_alu instid0(VALU_DEP_2) | instskip(SKIP_1) | instid1(VALU_DEP_1)
	v_lshlrev_b64_e32 v[6:7], 2, v[5:6]
	s_wait_kmcnt 0x0
	v_add_co_u32 v6, vcc_lo, s4, v6
	s_delay_alu instid0(VALU_DEP_1) | instskip(SKIP_4) | instid1(VALU_DEP_2)
	v_add_co_ci_u32_e64 v7, null, s5, v7, vcc_lo
	global_load_b64 v[6:7], v[6:7], off
	s_wait_loadcnt 0x0
	v_subrev_nc_u32_e32 v6, s12, v6
	v_subrev_nc_u32_e32 v17, s12, v7
	v_add_nc_u32_e32 v6, v6, v0
	s_delay_alu instid0(VALU_DEP_1)
	v_cmp_lt_i32_e64 s2, v6, v17
	s_cbranch_scc0 .LBB98_10
; %bb.5:
	v_dual_mov_b32 v13, 0 :: v_dual_mov_b32 v18, 0
	v_dual_mov_b32 v19, 0 :: v_dual_mov_b32 v14, 0
	;; [unrolled: 1-line block ×4, first 2 shown]
	s_and_saveexec_b32 s3, s2
	s_cbranch_execz .LBB98_9
; %bb.6:
	v_mad_co_u64_u32 v[7:8], null, v6, 24, 20
	v_dual_mov_b32 v10, 0 :: v_dual_mov_b32 v11, v6
	v_dual_mov_b32 v13, 0 :: v_dual_mov_b32 v18, 0
	;; [unrolled: 1-line block ×5, first 2 shown]
	s_mov_b32 s4, 0
.LBB98_7:                               ; =>This Inner Loop Header: Depth=1
	v_ashrrev_i32_e32 v12, 31, v11
	v_mov_b32_e32 v51, v10
	s_delay_alu instid0(VALU_DEP_2) | instskip(NEXT) | instid1(VALU_DEP_1)
	v_lshlrev_b64_e32 v[8:9], 2, v[11:12]
	v_add_co_u32 v8, vcc_lo, s6, v8
	s_wait_alu 0xfffd
	s_delay_alu instid0(VALU_DEP_2) | instskip(SKIP_3) | instid1(VALU_DEP_2)
	v_add_co_ci_u32_e64 v9, null, s7, v9, vcc_lo
	global_load_b32 v12, v[8:9], off
	v_subrev_nc_u32_e32 v9, 20, v7
	v_mov_b32_e32 v8, v10
	v_lshlrev_b64_e32 v[22:23], 3, v[9:10]
	v_add_nc_u32_e32 v9, -12, v7
	s_delay_alu instid0(VALU_DEP_3) | instskip(NEXT) | instid1(VALU_DEP_2)
	v_lshlrev_b64_e32 v[24:25], 3, v[7:8]
	v_lshlrev_b64_e32 v[8:9], 3, v[9:10]
	s_delay_alu instid0(VALU_DEP_4) | instskip(SKIP_2) | instid1(VALU_DEP_4)
	v_add_co_u32 v34, vcc_lo, s8, v22
	s_wait_alu 0xfffd
	v_add_co_ci_u32_e64 v35, null, s9, v23, vcc_lo
	v_add_co_u32 v78, vcc_lo, s8, v24
	s_wait_alu 0xfffd
	v_add_co_ci_u32_e64 v79, null, s9, v25, vcc_lo
	;; [unrolled: 3-line block ×3, first 2 shown]
	s_clause 0x5
	global_load_b128 v[22:25], v[34:35], off offset:48
	global_load_b128 v[26:29], v[34:35], off offset:32
	global_load_b128 v[30:33], v[34:35], off offset:16
	global_load_b128 v[34:37], v[34:35], off
	global_load_b128 v[38:41], v[8:9], off offset:16
	global_load_b128 v[42:45], v[8:9], off
	s_wait_loadcnt 0x6
	v_subrev_nc_u32_e32 v8, s12, v12
	s_delay_alu instid0(VALU_DEP_1) | instskip(NEXT) | instid1(VALU_DEP_1)
	v_mul_lo_u32 v50, v8, 6
	v_lshlrev_b64_e32 v[46:47], 3, v[50:51]
	s_delay_alu instid0(VALU_DEP_1) | instskip(SKIP_1) | instid1(VALU_DEP_2)
	v_add_co_u32 v46, vcc_lo, s10, v46
	s_wait_alu 0xfffd
	v_add_co_ci_u32_e64 v47, null, s11, v47, vcc_lo
	global_load_b128 v[46:49], v[46:47], off
	v_add_nc_u32_e32 v9, 2, v50
	s_delay_alu instid0(VALU_DEP_1) | instskip(SKIP_1) | instid1(VALU_DEP_1)
	v_lshlrev_b64_e32 v[51:52], 3, v[9:10]
	v_add_nc_u32_e32 v9, -8, v7
	v_lshlrev_b64_e32 v[54:55], 3, v[9:10]
	s_delay_alu instid0(VALU_DEP_3) | instskip(SKIP_3) | instid1(VALU_DEP_4)
	v_add_co_u32 v51, vcc_lo, s10, v51
	v_add_nc_u32_e32 v9, -4, v7
	s_wait_alu 0xfffd
	v_add_co_ci_u32_e64 v52, null, s11, v52, vcc_lo
	v_add_co_u32 v58, vcc_lo, s8, v54
	s_delay_alu instid0(VALU_DEP_3)
	v_lshlrev_b64_e32 v[62:63], 3, v[9:10]
	v_add_nc_u32_e32 v9, 4, v50
	global_load_b128 v[50:53], v[51:52], off
	s_wait_alu 0xfffd
	v_add_co_ci_u32_e64 v59, null, s9, v55, vcc_lo
	v_add_nc_u32_e32 v11, 64, v11
	s_clause 0x1
	global_load_b128 v[54:57], v[58:59], off
	global_load_b128 v[58:61], v[58:59], off offset:16
	v_add_co_u32 v66, vcc_lo, s8, v62
	s_wait_alu 0xfffd
	v_add_co_ci_u32_e64 v67, null, s9, v63, vcc_lo
	s_wait_loadcnt 0x3
	v_fmac_f32_e32 v14, v33, v46
	v_fmac_f32_e32 v18, v34, v46
	;; [unrolled: 1-line block ×4, first 2 shown]
	s_delay_alu instid0(VALU_DEP_4)
	v_fmac_f32_e32 v14, v32, v47
	v_lshlrev_b64_e32 v[8:9], 3, v[9:10]
	v_fmac_f32_e32 v19, v32, v46
	v_dual_fmac_f32 v16, v36, v47 :: v_dual_fmac_f32 v13, v35, v46
	v_fma_f32 v12, -v31, v47, v20
	v_fmac_f32_e32 v21, v36, v46
	v_add_co_u32 v8, vcc_lo, s10, v8
	s_wait_alu 0xfffd
	v_add_co_ci_u32_e64 v9, null, s11, v9, vcc_lo
	s_clause 0x1
	global_load_b128 v[62:65], v[66:67], off offset:16
	global_load_b128 v[66:69], v[66:67], off
	global_load_b128 v[70:73], v[8:9], off
	s_clause 0x1
	global_load_b128 v[74:77], v[78:79], off
	global_load_b128 v[78:81], v[78:79], off offset:16
	v_fma_f32 v8, -v35, v47, v18
	v_dual_fmac_f32 v16, v29, v48 :: v_dual_add_nc_u32 v7, 0x600, v7
	v_dual_fmac_f32 v13, v34, v47 :: v_dual_fmac_f32 v14, v25, v48
	v_fma_f32 v18, -v33, v47, v19
	s_delay_alu instid0(VALU_DEP_4) | instskip(SKIP_2) | instid1(VALU_DEP_3)
	v_dual_fmac_f32 v15, v31, v46 :: v_dual_fmac_f32 v8, v26, v48
	v_fmac_f32_e32 v12, v22, v48
	v_fma_f32 v9, -v37, v47, v21
	v_dual_fmac_f32 v18, v24, v48 :: v_dual_fmac_f32 v15, v30, v47
	v_fmac_f32_e32 v14, v24, v49
	v_fma_f32 v8, -v27, v49, v8
	;; [unrolled: 3-line block ×3, first 2 shown]
	v_fmac_f32_e32 v15, v23, v48
	v_fma_f32 v18, -v25, v49, v18
	s_wait_loadcnt 0x7
	v_fmac_f32_e32 v8, v42, v50
	v_dual_fmac_f32 v13, v26, v49 :: v_dual_fmac_f32 v16, v45, v50
	v_fma_f32 v9, -v29, v49, v9
	v_fmac_f32_e32 v12, v38, v50
	v_dual_fmac_f32 v15, v22, v49 :: v_dual_fmac_f32 v14, v41, v50
	v_fmac_f32_e32 v18, v40, v50
	v_dual_fmac_f32 v13, v43, v50 :: v_dual_fmac_f32 v16, v44, v51
	s_delay_alu instid0(VALU_DEP_3)
	v_dual_fmac_f32 v15, v39, v50 :: v_dual_fmac_f32 v14, v40, v51
	v_fma_f32 v8, -v43, v51, v8
	v_fmac_f32_e32 v9, v44, v50
	s_wait_loadcnt 0x6
	v_dual_fmac_f32 v13, v42, v51 :: v_dual_fmac_f32 v16, v57, v52
	v_fma_f32 v12, -v39, v51, v12
	v_fma_f32 v18, -v41, v51, v18
	v_fmac_f32_e32 v15, v38, v51
	v_fmac_f32_e32 v8, v54, v52
	v_fma_f32 v9, -v45, v51, v9
	v_dual_fmac_f32 v13, v55, v52 :: v_dual_fmac_f32 v16, v56, v53
	s_wait_loadcnt 0x5
	v_fmac_f32_e32 v18, v60, v52
	v_fmac_f32_e32 v14, v61, v52
	v_fma_f32 v8, -v55, v53, v8
	v_fmac_f32_e32 v9, v56, v52
	v_fmac_f32_e32 v13, v54, v53
	;; [unrolled: 1-line block ×3, first 2 shown]
	v_dual_fmac_f32 v15, v59, v52 :: v_dual_fmac_f32 v14, v60, v53
	v_fma_f32 v18, -v61, v53, v18
	v_cmp_ge_i32_e32 vcc_lo, v11, v17
	s_delay_alu instid0(VALU_DEP_3)
	v_fmac_f32_e32 v15, v58, v53
	s_wait_alu 0xfffe
	s_or_b32 s4, vcc_lo, s4
	s_wait_loadcnt 0x2
	v_fmac_f32_e32 v8, v66, v70
	v_fma_f32 v9, -v57, v53, v9
	v_fmac_f32_e32 v13, v67, v70
	v_fma_f32 v12, -v59, v53, v12
	v_fmac_f32_e32 v16, v69, v70
	v_fmac_f32_e32 v15, v63, v70
	s_delay_alu instid0(VALU_DEP_4) | instskip(NEXT) | instid1(VALU_DEP_4)
	v_dual_fmac_f32 v18, v64, v70 :: v_dual_fmac_f32 v13, v66, v71
	v_fmac_f32_e32 v12, v62, v70
	v_fma_f32 v8, -v67, v71, v8
	v_fmac_f32_e32 v9, v68, v70
	v_fmac_f32_e32 v16, v68, v71
	v_dual_fmac_f32 v14, v65, v70 :: v_dual_fmac_f32 v15, v62, v71
	v_fma_f32 v19, -v65, v71, v18
	s_wait_loadcnt 0x1
	v_fmac_f32_e32 v8, v74, v72
	v_fma_f32 v9, -v69, v71, v9
	s_wait_loadcnt 0x0
	v_dual_fmac_f32 v14, v64, v71 :: v_dual_fmac_f32 v15, v79, v72
	v_fmac_f32_e32 v13, v75, v72
	v_fma_f32 v12, -v63, v71, v12
	v_fmac_f32_e32 v9, v76, v72
	v_fmac_f32_e32 v16, v77, v72
	;; [unrolled: 1-line block ×3, first 2 shown]
	v_dual_fmac_f32 v14, v81, v72 :: v_dual_fmac_f32 v15, v78, v73
	v_fmac_f32_e32 v12, v78, v72
	v_fma_f32 v18, -v75, v73, v8
	v_fmac_f32_e32 v13, v74, v73
	v_fma_f32 v21, -v77, v73, v9
	;; [unrolled: 2-line block ×3, first 2 shown]
	v_fma_f32 v19, -v81, v73, v19
	v_fmac_f32_e32 v14, v80, v73
	s_wait_alu 0xfffe
	s_and_not1_b32 exec_lo, exec_lo, s4
	s_cbranch_execnz .LBB98_7
; %bb.8:
	s_or_b32 exec_lo, exec_lo, s4
.LBB98_9:
	s_wait_alu 0xfffe
	s_or_b32 exec_lo, exec_lo, s3
	s_cbranch_execz .LBB98_11
	s_branch .LBB98_16
.LBB98_10:
                                        ; implicit-def: $vgpr13
                                        ; implicit-def: $vgpr18
                                        ; implicit-def: $vgpr19
                                        ; implicit-def: $vgpr14
                                        ; implicit-def: $vgpr20
                                        ; implicit-def: $vgpr15
                                        ; implicit-def: $vgpr21
                                        ; implicit-def: $vgpr16
.LBB98_11:
	v_dual_mov_b32 v13, 0 :: v_dual_mov_b32 v18, 0
	v_dual_mov_b32 v19, 0 :: v_dual_mov_b32 v14, 0
	;; [unrolled: 1-line block ×4, first 2 shown]
	s_and_saveexec_b32 s3, s2
	s_cbranch_execz .LBB98_15
; %bb.12:
	v_mad_co_u64_u32 v[8:9], null, v6, 24, 23
	v_dual_mov_b32 v11, 0 :: v_dual_mov_b32 v18, 0
	v_dual_mov_b32 v13, 0 :: v_dual_mov_b32 v14, 0
	;; [unrolled: 1-line block ×4, first 2 shown]
	v_mov_b32_e32 v21, 0
	s_mov_b32 s2, 0
.LBB98_13:                              ; =>This Inner Loop Header: Depth=1
	v_ashrrev_i32_e32 v7, 31, v6
	v_dual_mov_b32 v47, v11 :: v_dual_add_nc_u32 v22, -11, v8
	v_dual_mov_b32 v23, v11 :: v_dual_add_nc_u32 v24, -5, v8
	s_delay_alu instid0(VALU_DEP_3) | instskip(SKIP_1) | instid1(VALU_DEP_3)
	v_lshlrev_b64_e32 v[9:10], 2, v[6:7]
	v_mov_b32_e32 v25, v11
	v_lshlrev_b64_e32 v[22:23], 3, v[22:23]
	s_delay_alu instid0(VALU_DEP_3) | instskip(SKIP_1) | instid1(VALU_DEP_4)
	v_add_co_u32 v9, vcc_lo, s6, v9
	s_wait_alu 0xfffd
	v_add_co_ci_u32_e64 v10, null, s7, v10, vcc_lo
	global_load_b32 v7, v[9:10], off
	v_subrev_nc_u32_e32 v10, 23, v8
	v_mov_b32_e32 v9, v11
	s_delay_alu instid0(VALU_DEP_2) | instskip(SKIP_2) | instid1(VALU_DEP_2)
	v_lshlrev_b64_e32 v[26:27], 3, v[10:11]
	v_add_nc_u32_e32 v10, -10, v8
	v_lshlrev_b64_e32 v[24:25], 3, v[24:25]
	v_lshlrev_b64_e32 v[38:39], 3, v[10:11]
	v_add_nc_u32_e32 v10, -4, v8
	v_lshlrev_b64_e32 v[28:29], 3, v[8:9]
	v_add_co_u32 v34, vcc_lo, s8, v26
	s_wait_alu 0xfffd
	v_add_co_ci_u32_e64 v35, null, s9, v27, vcc_lo
	v_add_co_u32 v40, vcc_lo, s8, v22
	s_wait_alu 0xfffd
	v_add_co_ci_u32_e64 v41, null, s9, v23, vcc_lo
	v_add_co_u32 v42, vcc_lo, s8, v24
	v_lshlrev_b64_e32 v[9:10], 3, v[10:11]
	s_wait_alu 0xfffd
	v_add_co_ci_u32_e64 v43, null, s9, v25, vcc_lo
	v_add_co_u32 v50, vcc_lo, s8, v28
	s_wait_alu 0xfffd
	v_add_co_ci_u32_e64 v51, null, s9, v29, vcc_lo
	v_add_co_u32 v38, vcc_lo, s8, v38
	;; [unrolled: 3-line block ×3, first 2 shown]
	s_wait_alu 0xfffd
	v_add_co_ci_u32_e64 v10, null, s9, v10, vcc_lo
	s_clause 0x7
	global_load_b128 v[22:25], v[34:35], off offset:32
	global_load_b128 v[26:29], v[34:35], off offset:48
	;; [unrolled: 1-line block ×3, first 2 shown]
	global_load_b128 v[34:37], v[34:35], off
	global_load_b64 v[52:53], v[40:41], off
	global_load_b64 v[54:55], v[42:43], off
	;; [unrolled: 1-line block ×4, first 2 shown]
	s_wait_loadcnt 0x8
	v_subrev_nc_u32_e32 v7, s12, v7
	s_delay_alu instid0(VALU_DEP_1) | instskip(NEXT) | instid1(VALU_DEP_1)
	v_mul_lo_u32 v46, v7, 6
	v_add_nc_u32_e32 v10, 2, v46
	v_lshlrev_b64_e32 v[38:39], 3, v[46:47]
	s_delay_alu instid0(VALU_DEP_2) | instskip(NEXT) | instid1(VALU_DEP_2)
	v_lshlrev_b64_e32 v[40:41], 3, v[10:11]
	v_add_co_u32 v38, vcc_lo, s10, v38
	s_wait_alu 0xfffd
	s_delay_alu instid0(VALU_DEP_3) | instskip(NEXT) | instid1(VALU_DEP_3)
	v_add_co_ci_u32_e64 v39, null, s11, v39, vcc_lo
	v_add_co_u32 v42, vcc_lo, s10, v40
	s_wait_alu 0xfffd
	v_add_co_ci_u32_e64 v43, null, s11, v41, vcc_lo
	s_clause 0x1
	global_load_b128 v[38:41], v[38:39], off
	global_load_b128 v[42:45], v[42:43], off
	s_wait_loadcnt 0x1
	v_dual_fmac_f32 v13, v35, v38 :: v_dual_add_nc_u32 v10, -15, v8
	s_delay_alu instid0(VALU_DEP_1) | instskip(SKIP_2) | instid1(VALU_DEP_4)
	v_lshlrev_b64_e32 v[47:48], 3, v[10:11]
	v_dual_fmac_f32 v21, v26, v38 :: v_dual_add_nc_u32 v10, -9, v8
	v_fmac_f32_e32 v15, v53, v38
	v_dual_fmac_f32 v13, v34, v39 :: v_dual_add_nc_u32 v6, 64, v6
	s_delay_alu instid0(VALU_DEP_3) | instskip(SKIP_4) | instid1(VALU_DEP_3)
	v_lshlrev_b64_e32 v[60:61], 3, v[10:11]
	v_add_nc_u32_e32 v10, -3, v8
	v_add_co_u32 v47, vcc_lo, s8, v47
	s_wait_alu 0xfffd
	v_add_co_ci_u32_e64 v48, null, s9, v48, vcc_lo
	v_lshlrev_b64_e32 v[62:63], 3, v[10:11]
	v_add_co_u32 v60, vcc_lo, s8, v60
	s_wait_alu 0xfffd
	v_add_co_ci_u32_e64 v61, null, s9, v61, vcc_lo
	global_load_b64 v[64:65], v[47:48], off
	v_add_co_u32 v62, vcc_lo, s8, v62
	global_load_b64 v[60:61], v[60:61], off
	s_wait_alu 0xfffd
	v_add_co_ci_u32_e64 v63, null, s9, v63, vcc_lo
	v_dual_fmac_f32 v19, v54, v38 :: v_dual_add_nc_u32 v10, -14, v8
	v_fmac_f32_e32 v15, v52, v39
	global_load_b64 v[62:63], v[62:63], off
	v_fmac_f32_e32 v13, v37, v40
	v_lshlrev_b64_e32 v[47:48], 3, v[10:11]
	v_add_nc_u32_e32 v10, -8, v8
	v_dual_fmac_f32 v18, v34, v38 :: v_dual_fmac_f32 v15, v57, v40
	s_delay_alu instid0(VALU_DEP_4) | instskip(SKIP_1) | instid1(VALU_DEP_4)
	v_fmac_f32_e32 v13, v36, v41
	v_fma_f32 v19, -v55, v39, v19
	v_lshlrev_b64_e32 v[66:67], 3, v[10:11]
	v_add_nc_u32_e32 v10, -2, v8
	v_add_co_u32 v47, vcc_lo, s8, v47
	s_wait_alu 0xfffd
	v_add_co_ci_u32_e64 v48, null, s9, v48, vcc_lo
	s_delay_alu instid0(VALU_DEP_3)
	v_lshlrev_b64_e32 v[68:69], 3, v[10:11]
	v_fma_f32 v7, -v35, v39, v18
	v_add_nc_u32_e32 v10, 4, v46
	v_add_co_u32 v46, vcc_lo, s8, v66
	global_load_b64 v[70:71], v[47:48], off
	s_wait_alu 0xfffd
	v_add_co_ci_u32_e64 v47, null, s9, v67, vcc_lo
	v_add_co_u32 v66, vcc_lo, s8, v68
	s_wait_alu 0xfffd
	v_add_co_ci_u32_e64 v67, null, s9, v69, vcc_lo
	v_fmac_f32_e32 v7, v36, v40
	v_lshlrev_b64_e32 v[48:49], 3, v[10:11]
	v_dual_fmac_f32 v15, v56, v41 :: v_dual_add_nc_u32 v10, -13, v8
	s_clause 0x1
	global_load_b64 v[66:67], v[66:67], off
	global_load_b64 v[68:69], v[46:47], off
	v_fma_f32 v7, -v37, v41, v7
	v_lshlrev_b64_e32 v[46:47], 3, v[10:11]
	v_add_nc_u32_e32 v10, -7, v8
	v_add_co_u32 v48, vcc_lo, s10, v48
	s_wait_loadcnt 0x6
	v_fmac_f32_e32 v7, v30, v42
	s_wait_alu 0xfffd
	v_add_co_ci_u32_e64 v49, null, s11, v49, vcc_lo
	v_lshlrev_b64_e32 v[72:73], 3, v[10:11]
	v_dual_fmac_f32 v13, v31, v42 :: v_dual_add_nc_u32 v10, -1, v8
	v_add_co_u32 v74, vcc_lo, s8, v46
	v_dual_fmac_f32 v16, v27, v38 :: v_dual_fmac_f32 v19, v58, v40
	s_delay_alu instid0(VALU_DEP_3)
	v_lshlrev_b64_e32 v[76:77], 3, v[10:11]
	v_add_nc_u32_e32 v10, -12, v8
	s_wait_alu 0xfffd
	v_add_co_ci_u32_e64 v75, null, s9, v47, vcc_lo
	global_load_b128 v[46:49], v[48:49], off
	v_add_co_u32 v72, vcc_lo, s8, v72
	s_wait_alu 0xfffd
	v_add_co_ci_u32_e64 v73, null, s9, v73, vcc_lo
	v_add_co_u32 v76, vcc_lo, s8, v76
	v_fma_f32 v19, -v59, v41, v19
	s_wait_alu 0xfffd
	v_add_co_ci_u32_e64 v77, null, s9, v77, vcc_lo
	global_load_b64 v[74:75], v[74:75], off
	v_fma_f32 v7, -v31, v43, v7
	v_fma_f32 v12, -v27, v39, v21
	s_clause 0x1
	global_load_b64 v[76:77], v[76:77], off
	global_load_b64 v[72:73], v[72:73], off
	v_dual_fmac_f32 v16, v26, v39 :: v_dual_fmac_f32 v7, v32, v44
	v_dual_fmac_f32 v13, v30, v43 :: v_dual_fmac_f32 v20, v52, v38
	s_delay_alu instid0(VALU_DEP_2) | instskip(SKIP_1) | instid1(VALU_DEP_3)
	v_fma_f32 v7, -v33, v45, v7
	v_fmac_f32_e32 v12, v28, v40
	v_fmac_f32_e32 v13, v33, v44
	s_delay_alu instid0(VALU_DEP_4) | instskip(NEXT) | instid1(VALU_DEP_2)
	v_fma_f32 v18, -v53, v39, v20
	v_dual_fmac_f32 v16, v29, v40 :: v_dual_fmac_f32 v13, v32, v45
	s_wait_loadcnt 0x8
	s_delay_alu instid0(VALU_DEP_2) | instskip(SKIP_3) | instid1(VALU_DEP_4)
	v_dual_fmac_f32 v18, v56, v40 :: v_dual_fmac_f32 v15, v61, v42
	v_lshlrev_b64_e32 v[78:79], 3, v[10:11]
	v_add_nc_u32_e32 v10, -6, v8
	v_add_nc_u32_e32 v8, 0x600, v8
	v_dual_fmac_f32 v14, v55, v38 :: v_dual_fmac_f32 v15, v60, v43
	s_wait_loadcnt 0x7
	v_fmac_f32_e32 v19, v62, v42
	v_lshlrev_b64_e32 v[9:10], 3, v[10:11]
	v_add_co_u32 v78, vcc_lo, s8, v78
	s_wait_alu 0xfffd
	v_add_co_ci_u32_e64 v79, null, s9, v79, vcc_lo
	v_fmac_f32_e32 v14, v54, v39
	s_delay_alu instid0(VALU_DEP_4)
	v_add_co_u32 v9, vcc_lo, s8, v9
	s_wait_alu 0xfffd
	v_add_co_ci_u32_e64 v10, null, s9, v10, vcc_lo
	s_clause 0x2
	global_load_b64 v[78:79], v[78:79], off
	global_load_b64 v[9:10], v[9:10], off
	;; [unrolled: 1-line block ×3, first 2 shown]
	v_fma_f32 v19, -v63, v43, v19
	v_fmac_f32_e32 v16, v28, v41
	v_cmp_ge_i32_e32 vcc_lo, v6, v17
	s_wait_alu 0xfffe
	s_or_b32 s2, vcc_lo, s2
	s_wait_loadcnt 0x8
	v_fmac_f32_e32 v19, v66, v44
	s_wait_loadcnt 0x7
	v_fmac_f32_e32 v15, v69, v44
	v_fmac_f32_e32 v14, v59, v40
	s_delay_alu instid0(VALU_DEP_3) | instskip(NEXT) | instid1(VALU_DEP_3)
	v_fma_f32 v19, -v67, v45, v19
	v_fmac_f32_e32 v15, v68, v45
	s_delay_alu instid0(VALU_DEP_3)
	v_fmac_f32_e32 v14, v58, v41
	s_wait_loadcnt 0x6
	v_fmac_f32_e32 v7, v22, v46
	v_fma_f32 v12, -v29, v41, v12
	v_fmac_f32_e32 v13, v23, v46
	v_fma_f32 v18, -v57, v41, v18
	s_delay_alu instid0(VALU_DEP_4) | instskip(NEXT) | instid1(VALU_DEP_3)
	v_fma_f32 v7, -v23, v47, v7
	v_dual_fmac_f32 v12, v64, v42 :: v_dual_fmac_f32 v13, v22, v47
	s_delay_alu instid0(VALU_DEP_3) | instskip(NEXT) | instid1(VALU_DEP_3)
	v_fmac_f32_e32 v18, v60, v42
	v_dual_fmac_f32 v16, v65, v42 :: v_dual_fmac_f32 v7, v24, v48
	s_delay_alu instid0(VALU_DEP_3) | instskip(NEXT) | instid1(VALU_DEP_4)
	v_fma_f32 v12, -v65, v43, v12
	v_fmac_f32_e32 v13, v25, v48
	s_delay_alu instid0(VALU_DEP_4)
	v_fma_f32 v18, -v61, v43, v18
	s_wait_loadcnt 0x3
	v_fmac_f32_e32 v15, v73, v46
	v_fmac_f32_e32 v14, v63, v42
	v_dual_fmac_f32 v12, v70, v44 :: v_dual_fmac_f32 v13, v24, v49
	v_fmac_f32_e32 v18, v68, v44
	s_delay_alu instid0(VALU_DEP_4) | instskip(SKIP_2) | instid1(VALU_DEP_4)
	v_fmac_f32_e32 v15, v72, v47
	v_fmac_f32_e32 v16, v64, v43
	v_dual_fmac_f32 v14, v62, v43 :: v_dual_fmac_f32 v19, v76, v46
	v_fma_f32 v18, -v69, v45, v18
	v_fma_f32 v12, -v71, v45, v12
	s_delay_alu instid0(VALU_DEP_3) | instskip(NEXT) | instid1(VALU_DEP_3)
	v_fmac_f32_e32 v14, v67, v44
	v_fmac_f32_e32 v18, v72, v46
	s_delay_alu instid0(VALU_DEP_3) | instskip(NEXT) | instid1(VALU_DEP_3)
	v_fmac_f32_e32 v12, v74, v46
	v_fmac_f32_e32 v14, v66, v45
	s_delay_alu instid0(VALU_DEP_3) | instskip(SKIP_2) | instid1(VALU_DEP_4)
	v_fma_f32 v20, -v73, v47, v18
	v_fma_f32 v18, -v25, v49, v7
	;; [unrolled: 1-line block ×3, first 2 shown]
	v_fmac_f32_e32 v14, v77, v46
	v_fma_f32 v12, -v75, v47, v12
	s_delay_alu instid0(VALU_DEP_2) | instskip(SKIP_1) | instid1(VALU_DEP_2)
	v_fmac_f32_e32 v14, v76, v47
	s_wait_loadcnt 0x2
	v_fmac_f32_e32 v12, v78, v48
	s_wait_loadcnt 0x1
	v_fmac_f32_e32 v15, v10, v48
	v_fmac_f32_e32 v16, v71, v44
	;; [unrolled: 1-line block ×3, first 2 shown]
	s_wait_loadcnt 0x0
	v_fmac_f32_e32 v7, v50, v48
	v_dual_fmac_f32 v14, v51, v48 :: v_dual_fmac_f32 v15, v9, v49
	v_fmac_f32_e32 v16, v70, v45
	v_fma_f32 v21, -v79, v49, v12
	v_fma_f32 v20, -v10, v49, v20
	;; [unrolled: 1-line block ×3, first 2 shown]
	v_fmac_f32_e32 v14, v50, v49
	v_fmac_f32_e32 v16, v75, v46
	s_delay_alu instid0(VALU_DEP_1) | instskip(NEXT) | instid1(VALU_DEP_1)
	v_fmac_f32_e32 v16, v74, v47
	v_fmac_f32_e32 v16, v79, v48
	s_delay_alu instid0(VALU_DEP_1)
	v_fmac_f32_e32 v16, v78, v49
	s_wait_alu 0xfffe
	s_and_not1_b32 exec_lo, exec_lo, s2
	s_cbranch_execnz .LBB98_13
; %bb.14:
	s_or_b32 exec_lo, exec_lo, s2
.LBB98_15:
	s_wait_alu 0xfffe
	s_or_b32 exec_lo, exec_lo, s3
.LBB98_16:
	v_mbcnt_lo_u32_b32 v6, -1, 0
	s_delay_alu instid0(VALU_DEP_1) | instskip(SKIP_1) | instid1(VALU_DEP_2)
	v_or_b32_e32 v7, 32, v6
	v_xor_b32_e32 v23, 16, v6
	v_cmp_gt_i32_e32 vcc_lo, 32, v7
	s_wait_alu 0xfffd
	v_cndmask_b32_e32 v7, v6, v7, vcc_lo
	s_delay_alu instid0(VALU_DEP_3) | instskip(NEXT) | instid1(VALU_DEP_2)
	v_cmp_gt_i32_e32 vcc_lo, 32, v23
	v_lshlrev_b32_e32 v7, 2, v7
	ds_bpermute_b32 v8, v7, v18
	s_wait_dscnt 0x0
	v_add_f32_e32 v8, v18, v8
	ds_bpermute_b32 v12, v7, v20
	ds_bpermute_b32 v9, v7, v13
	;; [unrolled: 1-line block ×7, first 2 shown]
	s_wait_dscnt 0x6
	s_wait_alu 0xfffd
	v_dual_cndmask_b32 v23, v6, v23 :: v_dual_add_f32 v12, v20, v12
	s_wait_dscnt 0x4
	s_delay_alu instid0(VALU_DEP_1)
	v_dual_add_f32 v10, v21, v10 :: v_dual_lshlrev_b32 v23, 2, v23
	v_add_f32_e32 v9, v13, v9
	s_wait_dscnt 0x0
	v_add_f32_e32 v7, v14, v7
	ds_bpermute_b32 v14, v23, v8
	s_wait_dscnt 0x0
	v_dual_add_f32 v8, v8, v14 :: v_dual_add_f32 v13, v15, v17
	ds_bpermute_b32 v17, v23, v10
	v_add_f32_e32 v11, v16, v11
	ds_bpermute_b32 v20, v23, v13
	s_wait_dscnt 0x1
	v_dual_add_f32 v10, v10, v17 :: v_dual_add_f32 v15, v19, v22
	ds_bpermute_b32 v19, v23, v12
	ds_bpermute_b32 v18, v23, v11
	;; [unrolled: 1-line block ×4, first 2 shown]
	s_wait_dscnt 0x3
	v_add_f32_e32 v12, v12, v19
	ds_bpermute_b32 v16, v23, v9
	v_xor_b32_e32 v23, 8, v6
	s_delay_alu instid0(VALU_DEP_1) | instskip(SKIP_2) | instid1(VALU_DEP_1)
	v_cmp_gt_i32_e32 vcc_lo, 32, v23
	s_wait_alu 0xfffd
	v_cndmask_b32_e32 v23, v6, v23, vcc_lo
	v_lshlrev_b32_e32 v23, 2, v23
	ds_bpermute_b32 v17, v23, v10
	s_wait_dscnt 0x0
	v_add_f32_e32 v10, v10, v17
	v_add_f32_e32 v14, v15, v21
	ds_bpermute_b32 v21, v23, v14
	s_wait_dscnt 0x0
	v_add_f32_e32 v14, v14, v21
	ds_bpermute_b32 v15, v23, v8
	ds_bpermute_b32 v19, v23, v12
	v_add_f32_e32 v9, v9, v16
	v_add_f32_e32 v7, v7, v22
	ds_bpermute_b32 v22, v23, v7
	s_wait_dscnt 0x2
	v_dual_add_f32 v8, v8, v15 :: v_dual_add_f32 v11, v11, v18
	s_wait_dscnt 0x1
	v_dual_add_f32 v12, v12, v19 :: v_dual_add_f32 v13, v13, v20
	ds_bpermute_b32 v16, v23, v9
	ds_bpermute_b32 v18, v23, v11
	;; [unrolled: 1-line block ×3, first 2 shown]
	v_xor_b32_e32 v23, 4, v6
	s_delay_alu instid0(VALU_DEP_1) | instskip(SKIP_2) | instid1(VALU_DEP_1)
	v_cmp_gt_i32_e32 vcc_lo, 32, v23
	s_wait_alu 0xfffd
	v_cndmask_b32_e32 v23, v6, v23, vcc_lo
	v_lshlrev_b32_e32 v23, 2, v23
	s_wait_dscnt 0x2
	v_add_f32_e32 v9, v9, v16
	ds_bpermute_b32 v15, v23, v8
	ds_bpermute_b32 v16, v23, v9
	;; [unrolled: 1-line block ×5, first 2 shown]
	s_wait_dscnt 0x4
	v_dual_add_f32 v8, v8, v15 :: v_dual_add_f32 v11, v11, v18
	s_wait_dscnt 0x2
	v_dual_add_f32 v9, v9, v16 :: v_dual_add_f32 v12, v12, v19
	v_add_f32_e32 v13, v13, v20
	s_wait_dscnt 0x0
	v_add_f32_e32 v15, v10, v17
	ds_bpermute_b32 v18, v23, v11
	ds_bpermute_b32 v20, v23, v13
	s_wait_dscnt 0x1
	v_add_f32_e32 v16, v11, v18
	v_dual_add_f32 v18, v14, v21 :: v_dual_add_f32 v7, v7, v22
	s_wait_dscnt 0x0
	v_add_f32_e32 v17, v13, v20
	ds_bpermute_b32 v22, v23, v7
	v_xor_b32_e32 v23, 2, v6
	s_delay_alu instid0(VALU_DEP_1) | instskip(SKIP_2) | instid1(VALU_DEP_1)
	v_cmp_gt_i32_e32 vcc_lo, 32, v23
	s_wait_alu 0xfffd
	v_cndmask_b32_e32 v23, v6, v23, vcc_lo
	v_lshlrev_b32_e32 v23, 2, v23
	s_wait_dscnt 0x0
	v_add_f32_e32 v19, v7, v22
	ds_bpermute_b32 v7, v23, v8
	ds_bpermute_b32 v10, v23, v9
	;; [unrolled: 1-line block ×8, first 2 shown]
	v_xor_b32_e32 v23, 1, v6
	s_delay_alu instid0(VALU_DEP_1)
	v_cmp_gt_i32_e32 vcc_lo, 32, v23
	s_wait_alu 0xfffd
	v_cndmask_b32_e32 v6, v6, v23, vcc_lo
	v_cmp_eq_u32_e32 vcc_lo, 63, v0
	s_wait_dscnt 0x5
	v_dual_add_f32 v10, v9, v10 :: v_dual_add_f32 v11, v15, v11
	s_delay_alu instid0(VALU_DEP_3)
	v_dual_add_f32 v6, v8, v7 :: v_dual_lshlrev_b32 v23, 2, v6
	s_wait_dscnt 0x4
	v_add_f32_e32 v13, v16, v13
	s_wait_dscnt 0x2
	v_dual_add_f32 v14, v12, v14 :: v_dual_add_f32 v15, v17, v20
	s_wait_dscnt 0x1
	v_add_f32_e32 v7, v18, v21
	s_wait_dscnt 0x0
	v_add_f32_e32 v9, v19, v22
	ds_bpermute_b32 v8, v23, v6
	ds_bpermute_b32 v12, v23, v10
	;; [unrolled: 1-line block ×8, first 2 shown]
	s_and_b32 exec_lo, exec_lo, vcc_lo
	s_cbranch_execz .LBB98_21
; %bb.17:
	s_load_b64 s[2:3], s[0:1], 0x38
	v_cmp_eq_f32_e32 vcc_lo, 0, v3
	v_cmp_eq_f32_e64 s0, 0, v4
	s_wait_dscnt 0x7
	v_add_f32_e32 v8, v6, v8
	s_wait_dscnt 0x0
	v_dual_add_f32 v12, v10, v12 :: v_dual_add_f32 v9, v9, v17
	v_dual_add_f32 v0, v11, v18 :: v_dual_add_f32 v11, v13, v19
	v_add_f32_e32 v6, v14, v20
	v_add_f32_e32 v10, v15, v21
	;; [unrolled: 1-line block ×3, first 2 shown]
	s_and_b32 s0, vcc_lo, s0
	s_wait_alu 0xfffe
	s_and_saveexec_b32 s1, s0
	s_wait_alu 0xfffe
	s_xor_b32 s0, exec_lo, s1
	s_cbranch_execz .LBB98_19
; %bb.18:
	v_dual_mul_f32 v14, v1, v12 :: v_dual_lshlrev_b32 v3, 2, v5
	v_mul_f32_e64 v13, v12, -v2
	v_mul_f32_e64 v15, v11, -v2
	v_mul_f32_e32 v16, v1, v11
	s_delay_alu instid0(VALU_DEP_4)
	v_ashrrev_i32_e32 v4, 31, v3
	v_mul_f32_e64 v17, v10, -v2
	v_mul_f32_e32 v18, v1, v10
	v_mul_f32_e64 v19, v9, -v2
	v_mul_f32_e32 v20, v1, v9
	v_lshlrev_b64_e32 v[3:4], 3, v[3:4]
	s_delay_alu instid0(VALU_DEP_4) | instskip(SKIP_1) | instid1(VALU_DEP_4)
	v_dual_fmac_f32 v13, v1, v8 :: v_dual_fmac_f32 v18, v2, v6
	v_dual_fmac_f32 v14, v2, v8 :: v_dual_fmac_f32 v17, v1, v6
	;; [unrolled: 1-line block ×3, first 2 shown]
	s_wait_kmcnt 0x0
	s_delay_alu instid0(VALU_DEP_4)
	v_add_co_u32 v3, vcc_lo, s2, v3
	s_wait_alu 0xfffd
	v_add_co_ci_u32_e64 v4, null, s3, v4, vcc_lo
	v_dual_fmac_f32 v16, v2, v0 :: v_dual_fmac_f32 v19, v1, v7
	s_clause 0x1
	global_store_b128 v[3:4], v[13:16], off
	global_store_b128 v[3:4], v[17:20], off offset:16
                                        ; implicit-def: $vgpr5
                                        ; implicit-def: $vgpr8
                                        ; implicit-def: $vgpr12
                                        ; implicit-def: $vgpr0
                                        ; implicit-def: $vgpr11
                                        ; implicit-def: $vgpr6
                                        ; implicit-def: $vgpr10
                                        ; implicit-def: $vgpr7
                                        ; implicit-def: $vgpr9
                                        ; implicit-def: $vgpr1_vgpr2
                                        ; implicit-def: $vgpr3_vgpr4
.LBB98_19:
	s_wait_alu 0xfffe
	s_and_not1_saveexec_b32 s0, s0
	s_cbranch_execz .LBB98_21
; %bb.20:
	v_dual_mul_f32 v22, v1, v12 :: v_dual_lshlrev_b32 v13, 2, v5
	v_mul_f32_e64 v5, v12, -v2
	v_mul_f32_e64 v23, v11, -v2
	;; [unrolled: 1-line block ×3, first 2 shown]
	s_delay_alu instid0(VALU_DEP_4) | instskip(NEXT) | instid1(VALU_DEP_4)
	v_ashrrev_i32_e32 v14, 31, v13
	v_fmac_f32_e32 v5, v1, v8
	s_delay_alu instid0(VALU_DEP_2) | instskip(SKIP_1) | instid1(VALU_DEP_1)
	v_lshlrev_b64_e32 v[13:14], 3, v[13:14]
	s_wait_kmcnt 0x0
	v_add_co_u32 v25, vcc_lo, s2, v13
	s_wait_alu 0xfffd
	s_delay_alu instid0(VALU_DEP_2)
	v_add_co_ci_u32_e64 v26, null, s3, v14, vcc_lo
	s_clause 0x1
	global_load_b128 v[13:16], v[25:26], off
	global_load_b128 v[17:20], v[25:26], off offset:16
	v_mul_f32_e32 v24, v1, v11
	v_mul_f32_e64 v11, v10, -v2
	s_delay_alu instid0(VALU_DEP_1) | instskip(SKIP_1) | instid1(VALU_DEP_1)
	v_dual_fmac_f32 v22, v2, v8 :: v_dual_fmac_f32 v11, v1, v6
	s_wait_loadcnt 0x1
	v_dual_fmac_f32 v27, v1, v7 :: v_dual_fmac_f32 v22, v4, v13
	s_wait_loadcnt 0x0
	s_delay_alu instid0(VALU_DEP_1) | instskip(SKIP_3) | instid1(VALU_DEP_4)
	v_dual_mul_f32 v12, v1, v9 :: v_dual_fmac_f32 v27, v3, v19
	v_fmac_f32_e32 v23, v1, v0
	v_fmac_f32_e32 v11, v3, v17
	;; [unrolled: 1-line block ×4, first 2 shown]
	s_delay_alu instid0(VALU_DEP_4) | instskip(NEXT) | instid1(VALU_DEP_4)
	v_dual_mul_f32 v10, v1, v10 :: v_dual_fmac_f32 v23, v3, v15
	v_fma_f32 v9, -v4, v18, v11
	v_fma_f32 v11, -v4, v20, v27
	s_delay_alu instid0(VALU_DEP_4) | instskip(NEXT) | instid1(VALU_DEP_4)
	v_fmac_f32_e32 v12, v4, v19
	v_dual_fmac_f32 v10, v2, v6 :: v_dual_fmac_f32 v5, v3, v13
	v_fmac_f32_e32 v24, v2, v0
	v_fma_f32 v23, -v4, v16, v23
	s_delay_alu instid0(VALU_DEP_4) | instskip(NEXT) | instid1(VALU_DEP_4)
	v_fmac_f32_e32 v12, v3, v20
	v_fmac_f32_e32 v10, v4, v17
	v_fma_f32 v21, -v4, v14, v5
	v_fmac_f32_e32 v24, v4, v15
	s_delay_alu instid0(VALU_DEP_3) | instskip(NEXT) | instid1(VALU_DEP_2)
	v_fmac_f32_e32 v10, v3, v18
	v_fmac_f32_e32 v24, v3, v16
	s_clause 0x1
	global_store_b128 v[25:26], v[21:24], off
	global_store_b128 v[25:26], v[9:12], off offset:16
.LBB98_21:
	s_endpgm
	.section	.rodata,"a",@progbits
	.p2align	6, 0x0
	.amdhsa_kernel _ZN9rocsparseL19gebsrmvn_4xn_kernelILj128ELj6ELj64E21rocsparse_complex_numIfEEEvi20rocsparse_direction_NS_24const_host_device_scalarIT2_EEPKiS8_PKS5_SA_S6_PS5_21rocsparse_index_base_b
		.amdhsa_group_segment_fixed_size 0
		.amdhsa_private_segment_fixed_size 0
		.amdhsa_kernarg_size 72
		.amdhsa_user_sgpr_count 2
		.amdhsa_user_sgpr_dispatch_ptr 0
		.amdhsa_user_sgpr_queue_ptr 0
		.amdhsa_user_sgpr_kernarg_segment_ptr 1
		.amdhsa_user_sgpr_dispatch_id 0
		.amdhsa_user_sgpr_private_segment_size 0
		.amdhsa_wavefront_size32 1
		.amdhsa_uses_dynamic_stack 0
		.amdhsa_enable_private_segment 0
		.amdhsa_system_sgpr_workgroup_id_x 1
		.amdhsa_system_sgpr_workgroup_id_y 0
		.amdhsa_system_sgpr_workgroup_id_z 0
		.amdhsa_system_sgpr_workgroup_info 0
		.amdhsa_system_vgpr_workitem_id 0
		.amdhsa_next_free_vgpr 82
		.amdhsa_next_free_sgpr 14
		.amdhsa_reserve_vcc 1
		.amdhsa_float_round_mode_32 0
		.amdhsa_float_round_mode_16_64 0
		.amdhsa_float_denorm_mode_32 3
		.amdhsa_float_denorm_mode_16_64 3
		.amdhsa_fp16_overflow 0
		.amdhsa_workgroup_processor_mode 1
		.amdhsa_memory_ordered 1
		.amdhsa_forward_progress 1
		.amdhsa_inst_pref_size 36
		.amdhsa_round_robin_scheduling 0
		.amdhsa_exception_fp_ieee_invalid_op 0
		.amdhsa_exception_fp_denorm_src 0
		.amdhsa_exception_fp_ieee_div_zero 0
		.amdhsa_exception_fp_ieee_overflow 0
		.amdhsa_exception_fp_ieee_underflow 0
		.amdhsa_exception_fp_ieee_inexact 0
		.amdhsa_exception_int_div_zero 0
	.end_amdhsa_kernel
	.section	.text._ZN9rocsparseL19gebsrmvn_4xn_kernelILj128ELj6ELj64E21rocsparse_complex_numIfEEEvi20rocsparse_direction_NS_24const_host_device_scalarIT2_EEPKiS8_PKS5_SA_S6_PS5_21rocsparse_index_base_b,"axG",@progbits,_ZN9rocsparseL19gebsrmvn_4xn_kernelILj128ELj6ELj64E21rocsparse_complex_numIfEEEvi20rocsparse_direction_NS_24const_host_device_scalarIT2_EEPKiS8_PKS5_SA_S6_PS5_21rocsparse_index_base_b,comdat
.Lfunc_end98:
	.size	_ZN9rocsparseL19gebsrmvn_4xn_kernelILj128ELj6ELj64E21rocsparse_complex_numIfEEEvi20rocsparse_direction_NS_24const_host_device_scalarIT2_EEPKiS8_PKS5_SA_S6_PS5_21rocsparse_index_base_b, .Lfunc_end98-_ZN9rocsparseL19gebsrmvn_4xn_kernelILj128ELj6ELj64E21rocsparse_complex_numIfEEEvi20rocsparse_direction_NS_24const_host_device_scalarIT2_EEPKiS8_PKS5_SA_S6_PS5_21rocsparse_index_base_b
                                        ; -- End function
	.set _ZN9rocsparseL19gebsrmvn_4xn_kernelILj128ELj6ELj64E21rocsparse_complex_numIfEEEvi20rocsparse_direction_NS_24const_host_device_scalarIT2_EEPKiS8_PKS5_SA_S6_PS5_21rocsparse_index_base_b.num_vgpr, 82
	.set _ZN9rocsparseL19gebsrmvn_4xn_kernelILj128ELj6ELj64E21rocsparse_complex_numIfEEEvi20rocsparse_direction_NS_24const_host_device_scalarIT2_EEPKiS8_PKS5_SA_S6_PS5_21rocsparse_index_base_b.num_agpr, 0
	.set _ZN9rocsparseL19gebsrmvn_4xn_kernelILj128ELj6ELj64E21rocsparse_complex_numIfEEEvi20rocsparse_direction_NS_24const_host_device_scalarIT2_EEPKiS8_PKS5_SA_S6_PS5_21rocsparse_index_base_b.numbered_sgpr, 14
	.set _ZN9rocsparseL19gebsrmvn_4xn_kernelILj128ELj6ELj64E21rocsparse_complex_numIfEEEvi20rocsparse_direction_NS_24const_host_device_scalarIT2_EEPKiS8_PKS5_SA_S6_PS5_21rocsparse_index_base_b.num_named_barrier, 0
	.set _ZN9rocsparseL19gebsrmvn_4xn_kernelILj128ELj6ELj64E21rocsparse_complex_numIfEEEvi20rocsparse_direction_NS_24const_host_device_scalarIT2_EEPKiS8_PKS5_SA_S6_PS5_21rocsparse_index_base_b.private_seg_size, 0
	.set _ZN9rocsparseL19gebsrmvn_4xn_kernelILj128ELj6ELj64E21rocsparse_complex_numIfEEEvi20rocsparse_direction_NS_24const_host_device_scalarIT2_EEPKiS8_PKS5_SA_S6_PS5_21rocsparse_index_base_b.uses_vcc, 1
	.set _ZN9rocsparseL19gebsrmvn_4xn_kernelILj128ELj6ELj64E21rocsparse_complex_numIfEEEvi20rocsparse_direction_NS_24const_host_device_scalarIT2_EEPKiS8_PKS5_SA_S6_PS5_21rocsparse_index_base_b.uses_flat_scratch, 0
	.set _ZN9rocsparseL19gebsrmvn_4xn_kernelILj128ELj6ELj64E21rocsparse_complex_numIfEEEvi20rocsparse_direction_NS_24const_host_device_scalarIT2_EEPKiS8_PKS5_SA_S6_PS5_21rocsparse_index_base_b.has_dyn_sized_stack, 0
	.set _ZN9rocsparseL19gebsrmvn_4xn_kernelILj128ELj6ELj64E21rocsparse_complex_numIfEEEvi20rocsparse_direction_NS_24const_host_device_scalarIT2_EEPKiS8_PKS5_SA_S6_PS5_21rocsparse_index_base_b.has_recursion, 0
	.set _ZN9rocsparseL19gebsrmvn_4xn_kernelILj128ELj6ELj64E21rocsparse_complex_numIfEEEvi20rocsparse_direction_NS_24const_host_device_scalarIT2_EEPKiS8_PKS5_SA_S6_PS5_21rocsparse_index_base_b.has_indirect_call, 0
	.section	.AMDGPU.csdata,"",@progbits
; Kernel info:
; codeLenInByte = 4568
; TotalNumSgprs: 16
; NumVgprs: 82
; ScratchSize: 0
; MemoryBound: 0
; FloatMode: 240
; IeeeMode: 1
; LDSByteSize: 0 bytes/workgroup (compile time only)
; SGPRBlocks: 0
; VGPRBlocks: 10
; NumSGPRsForWavesPerEU: 16
; NumVGPRsForWavesPerEU: 82
; Occupancy: 16
; WaveLimiterHint : 1
; COMPUTE_PGM_RSRC2:SCRATCH_EN: 0
; COMPUTE_PGM_RSRC2:USER_SGPR: 2
; COMPUTE_PGM_RSRC2:TRAP_HANDLER: 0
; COMPUTE_PGM_RSRC2:TGID_X_EN: 1
; COMPUTE_PGM_RSRC2:TGID_Y_EN: 0
; COMPUTE_PGM_RSRC2:TGID_Z_EN: 0
; COMPUTE_PGM_RSRC2:TIDIG_COMP_CNT: 0
	.section	.text._ZN9rocsparseL19gebsrmvn_4xn_kernelILj128ELj7ELj4E21rocsparse_complex_numIfEEEvi20rocsparse_direction_NS_24const_host_device_scalarIT2_EEPKiS8_PKS5_SA_S6_PS5_21rocsparse_index_base_b,"axG",@progbits,_ZN9rocsparseL19gebsrmvn_4xn_kernelILj128ELj7ELj4E21rocsparse_complex_numIfEEEvi20rocsparse_direction_NS_24const_host_device_scalarIT2_EEPKiS8_PKS5_SA_S6_PS5_21rocsparse_index_base_b,comdat
	.globl	_ZN9rocsparseL19gebsrmvn_4xn_kernelILj128ELj7ELj4E21rocsparse_complex_numIfEEEvi20rocsparse_direction_NS_24const_host_device_scalarIT2_EEPKiS8_PKS5_SA_S6_PS5_21rocsparse_index_base_b ; -- Begin function _ZN9rocsparseL19gebsrmvn_4xn_kernelILj128ELj7ELj4E21rocsparse_complex_numIfEEEvi20rocsparse_direction_NS_24const_host_device_scalarIT2_EEPKiS8_PKS5_SA_S6_PS5_21rocsparse_index_base_b
	.p2align	8
	.type	_ZN9rocsparseL19gebsrmvn_4xn_kernelILj128ELj7ELj4E21rocsparse_complex_numIfEEEvi20rocsparse_direction_NS_24const_host_device_scalarIT2_EEPKiS8_PKS5_SA_S6_PS5_21rocsparse_index_base_b,@function
_ZN9rocsparseL19gebsrmvn_4xn_kernelILj128ELj7ELj4E21rocsparse_complex_numIfEEEvi20rocsparse_direction_NS_24const_host_device_scalarIT2_EEPKiS8_PKS5_SA_S6_PS5_21rocsparse_index_base_b: ; @_ZN9rocsparseL19gebsrmvn_4xn_kernelILj128ELj7ELj4E21rocsparse_complex_numIfEEEvi20rocsparse_direction_NS_24const_host_device_scalarIT2_EEPKiS8_PKS5_SA_S6_PS5_21rocsparse_index_base_b
; %bb.0:
	s_clause 0x2
	s_load_b64 s[12:13], s[0:1], 0x40
	s_load_b64 s[2:3], s[0:1], 0x8
	s_load_b64 s[4:5], s[0:1], 0x30
	s_add_nc_u64 s[6:7], s[0:1], 8
	s_wait_kmcnt 0x0
	s_bitcmp1_b32 s13, 0
	s_cselect_b32 s2, s6, s2
	s_cselect_b32 s3, s7, s3
	s_delay_alu instid0(SALU_CYCLE_1)
	v_dual_mov_b32 v1, s2 :: v_dual_mov_b32 v2, s3
	s_add_nc_u64 s[2:3], s[0:1], 48
	s_wait_alu 0xfffe
	s_cselect_b32 s2, s2, s4
	s_cselect_b32 s3, s3, s5
	flat_load_b64 v[1:2], v[1:2]
	s_wait_alu 0xfffe
	v_dual_mov_b32 v3, s2 :: v_dual_mov_b32 v4, s3
	flat_load_b64 v[3:4], v[3:4]
	s_wait_loadcnt_dscnt 0x101
	v_cmp_eq_f32_e32 vcc_lo, 0, v1
	v_cmp_eq_f32_e64 s2, 0, v2
	s_and_b32 s4, vcc_lo, s2
	s_mov_b32 s2, -1
	s_and_saveexec_b32 s3, s4
	s_cbranch_execz .LBB99_2
; %bb.1:
	s_wait_loadcnt_dscnt 0x0
	v_cmp_neq_f32_e32 vcc_lo, 1.0, v3
	v_cmp_neq_f32_e64 s2, 0, v4
	s_wait_alu 0xfffe
	s_or_b32 s2, vcc_lo, s2
	s_wait_alu 0xfffe
	s_or_not1_b32 s2, s2, exec_lo
.LBB99_2:
	s_wait_alu 0xfffe
	s_or_b32 exec_lo, exec_lo, s3
	s_and_saveexec_b32 s3, s2
	s_cbranch_execz .LBB99_21
; %bb.3:
	s_load_b64 s[2:3], s[0:1], 0x0
	v_lshrrev_b32_e32 v5, 2, v0
	s_delay_alu instid0(VALU_DEP_1) | instskip(SKIP_1) | instid1(VALU_DEP_1)
	v_lshl_or_b32 v5, ttmp9, 5, v5
	s_wait_kmcnt 0x0
	v_cmp_gt_i32_e32 vcc_lo, s2, v5
	s_and_b32 exec_lo, exec_lo, vcc_lo
	s_cbranch_execz .LBB99_21
; %bb.4:
	s_load_b256 s[4:11], s[0:1], 0x10
	v_ashrrev_i32_e32 v6, 31, v5
	v_and_b32_e32 v0, 3, v0
	s_cmp_lg_u32 s3, 0
	s_delay_alu instid0(VALU_DEP_2) | instskip(SKIP_1) | instid1(VALU_DEP_1)
	v_lshlrev_b64_e32 v[6:7], 2, v[5:6]
	s_wait_kmcnt 0x0
	v_add_co_u32 v6, vcc_lo, s4, v6
	s_delay_alu instid0(VALU_DEP_1) | instskip(SKIP_4) | instid1(VALU_DEP_2)
	v_add_co_ci_u32_e64 v7, null, s5, v7, vcc_lo
	global_load_b64 v[6:7], v[6:7], off
	s_wait_loadcnt 0x0
	v_subrev_nc_u32_e32 v6, s12, v6
	v_subrev_nc_u32_e32 v18, s12, v7
	v_add_nc_u32_e32 v6, v6, v0
	s_delay_alu instid0(VALU_DEP_1)
	v_cmp_lt_i32_e64 s2, v6, v18
	s_cbranch_scc0 .LBB99_10
; %bb.5:
	v_dual_mov_b32 v14, 0 :: v_dual_mov_b32 v19, 0
	v_dual_mov_b32 v20, 0 :: v_dual_mov_b32 v15, 0
	;; [unrolled: 1-line block ×4, first 2 shown]
	s_and_saveexec_b32 s3, s2
	s_cbranch_execz .LBB99_9
; %bb.6:
	v_mad_co_u64_u32 v[7:8], null, v6, 28, 24
	v_dual_mov_b32 v10, 0 :: v_dual_mov_b32 v11, v6
	v_dual_mov_b32 v14, 0 :: v_dual_mov_b32 v19, 0
	;; [unrolled: 1-line block ×5, first 2 shown]
	s_mov_b32 s4, 0
.LBB99_7:                               ; =>This Inner Loop Header: Depth=1
	v_ashrrev_i32_e32 v12, 31, v11
	v_mov_b32_e32 v13, v10
	s_delay_alu instid0(VALU_DEP_2) | instskip(NEXT) | instid1(VALU_DEP_1)
	v_lshlrev_b64_e32 v[8:9], 2, v[11:12]
	v_add_co_u32 v8, vcc_lo, s6, v8
	s_wait_alu 0xfffd
	s_delay_alu instid0(VALU_DEP_2) | instskip(SKIP_3) | instid1(VALU_DEP_2)
	v_add_co_ci_u32_e64 v9, null, s7, v9, vcc_lo
	global_load_b32 v12, v[8:9], off
	v_subrev_nc_u32_e32 v9, 24, v7
	v_mov_b32_e32 v8, v10
	v_lshlrev_b64_e32 v[23:24], 3, v[9:10]
	v_subrev_nc_u32_e32 v9, 20, v7
	s_delay_alu instid0(VALU_DEP_3) | instskip(NEXT) | instid1(VALU_DEP_2)
	v_lshlrev_b64_e32 v[25:26], 3, v[7:8]
	v_lshlrev_b64_e32 v[8:9], 3, v[9:10]
	s_delay_alu instid0(VALU_DEP_4) | instskip(SKIP_2) | instid1(VALU_DEP_4)
	v_add_co_u32 v27, vcc_lo, s8, v23
	s_wait_alu 0xfffd
	v_add_co_ci_u32_e64 v28, null, s9, v24, vcc_lo
	v_add_co_u32 v35, vcc_lo, s8, v25
	s_wait_alu 0xfffd
	v_add_co_ci_u32_e64 v36, null, s9, v26, vcc_lo
	v_add_co_u32 v8, vcc_lo, s8, v8
	s_wait_alu 0xfffd
	v_add_co_ci_u32_e64 v9, null, s9, v9, vcc_lo
	s_clause 0x5
	global_load_b128 v[23:26], v[27:28], off offset:16
	global_load_b128 v[27:30], v[27:28], off
	global_load_b128 v[31:34], v[35:36], off offset:16
	global_load_b128 v[35:38], v[35:36], off
	;; [unrolled: 2-line block ×3, first 2 shown]
	s_wait_loadcnt 0x6
	v_subrev_nc_u32_e32 v8, s12, v12
	s_delay_alu instid0(VALU_DEP_1) | instskip(NEXT) | instid1(VALU_DEP_1)
	v_mul_lo_u32 v12, v8, 7
	v_lshlrev_b64_e32 v[47:48], 3, v[12:13]
	s_delay_alu instid0(VALU_DEP_1) | instskip(SKIP_1) | instid1(VALU_DEP_2)
	v_add_co_u32 v47, vcc_lo, s10, v47
	s_wait_alu 0xfffd
	v_add_co_ci_u32_e64 v48, null, s11, v48, vcc_lo
	global_load_b64 v[79:80], v[47:48], off
	s_wait_loadcnt 0x0
	v_dual_fmac_f32 v14, v28, v79 :: v_dual_add_nc_u32 v9, 1, v12
	s_delay_alu instid0(VALU_DEP_1)
	v_lshlrev_b64_e32 v[49:50], 3, v[9:10]
	v_add_nc_u32_e32 v9, -16, v7
	v_fmac_f32_e32 v16, v24, v79
	v_fmac_f32_e32 v22, v29, v79
	;; [unrolled: 1-line block ×4, first 2 shown]
	v_add_co_u32 v47, vcc_lo, s10, v49
	s_wait_alu 0xfffd
	v_add_co_ci_u32_e64 v48, null, s11, v50, vcc_lo
	v_lshlrev_b64_e32 v[51:52], 3, v[9:10]
	v_add_nc_u32_e32 v9, 2, v12
	v_fmac_f32_e32 v16, v23, v80
	global_load_b64 v[81:82], v[47:48], off
	v_fma_f32 v22, -v30, v80, v22
	v_fma_f32 v20, -v26, v80, v20
	v_lshlrev_b64_e32 v[49:50], 3, v[9:10]
	v_add_nc_u32_e32 v9, -12, v7
	v_add_co_u32 v51, vcc_lo, s8, v51
	s_wait_alu 0xfffd
	v_add_co_ci_u32_e64 v52, null, s9, v52, vcc_lo
	s_delay_alu instid0(VALU_DEP_3) | instskip(SKIP_4) | instid1(VALU_DEP_3)
	v_lshlrev_b64_e32 v[55:56], 3, v[9:10]
	v_add_nc_u32_e32 v9, 3, v12
	v_add_co_u32 v57, vcc_lo, s10, v49
	s_wait_alu 0xfffd
	v_add_co_ci_u32_e64 v58, null, s11, v50, vcc_lo
	v_lshlrev_b64_e32 v[59:60], 3, v[9:10]
	s_clause 0x1
	global_load_b128 v[47:50], v[51:52], off offset:16
	global_load_b128 v[51:54], v[51:52], off
	v_add_co_u32 v61, vcc_lo, s8, v55
	global_load_b64 v[83:84], v[57:58], off
	s_wait_alu 0xfffd
	v_add_co_ci_u32_e64 v62, null, s9, v56, vcc_lo
	v_add_co_u32 v65, vcc_lo, s10, v59
	s_wait_alu 0xfffd
	v_add_co_ci_u32_e64 v66, null, s11, v60, vcc_lo
	s_clause 0x1
	global_load_b128 v[55:58], v[61:62], off offset:16
	global_load_b128 v[59:62], v[61:62], off
	v_add_nc_u32_e32 v9, -8, v7
	global_load_b64 v[85:86], v[65:66], off
	s_wait_loadcnt 0x6
	v_fmac_f32_e32 v14, v44, v81
	v_lshlrev_b64_e32 v[63:64], 3, v[9:10]
	v_dual_fmac_f32 v22, v45, v81 :: v_dual_add_nc_u32 v9, 4, v12
	v_dual_fmac_f32 v16, v40, v81 :: v_dual_add_nc_u32 v11, 4, v11
	v_fmac_f32_e32 v20, v41, v81
	s_delay_alu instid0(VALU_DEP_3) | instskip(SKIP_4) | instid1(VALU_DEP_4)
	v_lshlrev_b64_e32 v[67:68], 3, v[9:10]
	v_add_nc_u32_e32 v9, -4, v7
	v_add_co_u32 v69, vcc_lo, s8, v63
	s_wait_alu 0xfffd
	v_add_co_ci_u32_e64 v70, null, s9, v64, vcc_lo
	v_add_co_u32 v73, vcc_lo, s10, v67
	v_lshlrev_b64_e32 v[71:72], 3, v[9:10]
	v_add_nc_u32_e32 v9, 5, v12
	s_wait_alu 0xfffd
	v_add_co_ci_u32_e64 v74, null, s11, v68, vcc_lo
	s_clause 0x1
	global_load_b128 v[63:66], v[69:70], off offset:16
	global_load_b128 v[67:70], v[69:70], off
	v_fmac_f32_e32 v14, v43, v82
	v_lshlrev_b64_e32 v[75:76], 3, v[9:10]
	v_add_nc_u32_e32 v9, 6, v12
	global_load_b64 v[12:13], v[73:74], off
	v_add_co_u32 v77, vcc_lo, s8, v71
	s_wait_alu 0xfffd
	v_add_co_ci_u32_e64 v78, null, s9, v72, vcc_lo
	v_add_co_u32 v87, vcc_lo, s10, v75
	s_wait_alu 0xfffd
	v_add_co_ci_u32_e64 v88, null, s11, v76, vcc_lo
	s_clause 0x1
	global_load_b128 v[71:74], v[77:78], off offset:16
	global_load_b128 v[75:78], v[77:78], off
	global_load_b64 v[87:88], v[87:88], off
	v_lshlrev_b64_e32 v[8:9], 3, v[9:10]
	v_fmac_f32_e32 v16, v39, v82
	s_wait_loadcnt 0x9
	v_fmac_f32_e32 v14, v52, v83
	v_add_nc_u32_e32 v7, 0x70, v7
	v_fma_f32 v22, -v46, v82, v22
	v_fma_f32 v20, -v42, v82, v20
	v_add_co_u32 v8, vcc_lo, s10, v8
	s_wait_alu 0xfffd
	v_add_co_ci_u32_e64 v9, null, s11, v9, vcc_lo
	v_fmac_f32_e32 v16, v48, v83
	v_dual_fmac_f32 v17, v30, v79 :: v_dual_fmac_f32 v14, v51, v84
	global_load_b64 v[8:9], v[8:9], off
	v_fmac_f32_e32 v19, v27, v79
	v_dual_fmac_f32 v16, v47, v84 :: v_dual_fmac_f32 v15, v26, v79
	s_wait_loadcnt 0x7
	v_fmac_f32_e32 v14, v60, v85
	v_fmac_f32_e32 v22, v53, v83
	v_fma_f32 v19, -v28, v80, v19
	v_dual_fmac_f32 v16, v56, v85 :: v_dual_fmac_f32 v15, v25, v80
	v_fmac_f32_e32 v17, v29, v80
	s_delay_alu instid0(VALU_DEP_4) | instskip(NEXT) | instid1(VALU_DEP_4)
	v_fma_f32 v22, -v54, v84, v22
	v_fmac_f32_e32 v19, v43, v81
	v_fmac_f32_e32 v21, v23, v79
	s_delay_alu instid0(VALU_DEP_4) | instskip(NEXT) | instid1(VALU_DEP_4)
	v_dual_fmac_f32 v20, v49, v83 :: v_dual_fmac_f32 v17, v46, v81
	v_fmac_f32_e32 v22, v61, v85
	v_dual_fmac_f32 v15, v42, v81 :: v_dual_fmac_f32 v14, v59, v86
	s_delay_alu instid0(VALU_DEP_4)
	v_fma_f32 v21, -v24, v80, v21
	v_fma_f32 v19, -v44, v82, v19
	;; [unrolled: 1-line block ×4, first 2 shown]
	v_cmp_ge_i32_e32 vcc_lo, v11, v18
	v_fmac_f32_e32 v21, v39, v81
	s_delay_alu instid0(VALU_DEP_4)
	v_dual_fmac_f32 v19, v51, v83 :: v_dual_fmac_f32 v20, v57, v85
	v_fmac_f32_e32 v16, v55, v86
	v_fmac_f32_e32 v17, v45, v82
	s_wait_alu 0xfffe
	s_or_b32 s4, vcc_lo, s4
	v_fma_f32 v19, -v52, v84, v19
	v_fma_f32 v20, -v58, v86, v20
	s_wait_loadcnt 0x4
	v_fmac_f32_e32 v14, v68, v12
	v_fma_f32 v21, -v40, v82, v21
	v_fmac_f32_e32 v15, v41, v82
	v_fmac_f32_e32 v20, v65, v12
	;; [unrolled: 1-line block ×6, first 2 shown]
	v_dual_fmac_f32 v17, v54, v83 :: v_dual_fmac_f32 v22, v69, v12
	v_fmac_f32_e32 v16, v63, v13
	s_delay_alu instid0(VALU_DEP_4) | instskip(NEXT) | instid1(VALU_DEP_4)
	v_fma_f32 v21, -v48, v84, v21
	v_fmac_f32_e32 v15, v49, v84
	s_delay_alu instid0(VALU_DEP_4)
	v_fmac_f32_e32 v17, v53, v84
	s_wait_loadcnt 0x1
	v_dual_fmac_f32 v19, v59, v85 :: v_dual_fmac_f32 v14, v76, v87
	v_dual_fmac_f32 v21, v55, v85 :: v_dual_fmac_f32 v16, v72, v87
	v_fma_f32 v20, -v66, v13, v20
	v_fmac_f32_e32 v15, v58, v85
	v_fmac_f32_e32 v17, v62, v85
	s_delay_alu instid0(VALU_DEP_4) | instskip(SKIP_3) | instid1(VALU_DEP_4)
	v_fma_f32 v21, -v56, v86, v21
	v_fma_f32 v19, -v60, v86, v19
	v_fmac_f32_e32 v20, v73, v87
	v_dual_fmac_f32 v15, v57, v86 :: v_dual_fmac_f32 v16, v71, v88
	v_fmac_f32_e32 v21, v63, v12
	v_dual_fmac_f32 v17, v61, v86 :: v_dual_fmac_f32 v14, v75, v88
	v_fmac_f32_e32 v19, v67, v12
	s_wait_loadcnt 0x0
	v_fmac_f32_e32 v16, v32, v8
	v_fma_f32 v21, -v64, v13, v21
	v_fmac_f32_e32 v15, v66, v12
	v_fma_f32 v20, -v74, v88, v20
	v_fmac_f32_e32 v14, v36, v8
	v_fmac_f32_e32 v17, v70, v12
	;; [unrolled: 1-line block ×3, first 2 shown]
	v_fma_f32 v12, -v68, v13, v19
	v_fmac_f32_e32 v16, v31, v9
	v_fmac_f32_e32 v15, v65, v13
	v_fma_f32 v19, -v70, v13, v22
	v_fmac_f32_e32 v14, v35, v9
	v_fmac_f32_e32 v12, v75, v87
	;; [unrolled: 3-line block ×3, first 2 shown]
	v_fmac_f32_e32 v20, v33, v8
	v_fma_f32 v12, -v76, v88, v12
	v_fmac_f32_e32 v17, v69, v13
	v_fmac_f32_e32 v15, v73, v88
	v_fma_f32 v13, -v78, v88, v19
	v_fmac_f32_e32 v21, v31, v8
	s_delay_alu instid0(VALU_DEP_4) | instskip(NEXT) | instid1(VALU_DEP_4)
	v_dual_fmac_f32 v12, v35, v8 :: v_dual_fmac_f32 v17, v78, v87
	v_fmac_f32_e32 v15, v34, v8
	s_delay_alu instid0(VALU_DEP_4) | instskip(NEXT) | instid1(VALU_DEP_4)
	v_fmac_f32_e32 v13, v37, v8
	v_fma_f32 v21, -v32, v9, v21
	s_delay_alu instid0(VALU_DEP_4) | instskip(SKIP_4) | instid1(VALU_DEP_4)
	v_fma_f32 v19, -v36, v9, v12
	v_fmac_f32_e32 v17, v77, v88
	v_fma_f32 v20, -v34, v9, v20
	v_fma_f32 v22, -v38, v9, v13
	v_fmac_f32_e32 v15, v33, v9
	v_fmac_f32_e32 v17, v38, v8
	s_delay_alu instid0(VALU_DEP_1)
	v_fmac_f32_e32 v17, v37, v9
	s_wait_alu 0xfffe
	s_and_not1_b32 exec_lo, exec_lo, s4
	s_cbranch_execnz .LBB99_7
; %bb.8:
	s_or_b32 exec_lo, exec_lo, s4
.LBB99_9:
	s_wait_alu 0xfffe
	s_or_b32 exec_lo, exec_lo, s3
	s_cbranch_execz .LBB99_11
	s_branch .LBB99_16
.LBB99_10:
                                        ; implicit-def: $vgpr14
                                        ; implicit-def: $vgpr19
                                        ; implicit-def: $vgpr20
                                        ; implicit-def: $vgpr15
                                        ; implicit-def: $vgpr21
                                        ; implicit-def: $vgpr16
                                        ; implicit-def: $vgpr22
                                        ; implicit-def: $vgpr17
.LBB99_11:
	v_dual_mov_b32 v14, 0 :: v_dual_mov_b32 v19, 0
	v_dual_mov_b32 v20, 0 :: v_dual_mov_b32 v15, 0
	v_dual_mov_b32 v21, 0 :: v_dual_mov_b32 v16, 0
	v_dual_mov_b32 v22, 0 :: v_dual_mov_b32 v17, 0
	s_and_saveexec_b32 s3, s2
	s_cbranch_execz .LBB99_15
; %bb.12:
	v_mad_co_u64_u32 v[8:9], null, v6, 28, 27
	v_dual_mov_b32 v11, 0 :: v_dual_mov_b32 v14, 0
	v_dual_mov_b32 v19, 0 :: v_dual_mov_b32 v20, 0
	;; [unrolled: 1-line block ×4, first 2 shown]
	v_mov_b32_e32 v17, 0
	s_mov_b32 s2, 0
.LBB99_13:                              ; =>This Inner Loop Header: Depth=1
	v_ashrrev_i32_e32 v7, 31, v6
	v_subrev_nc_u32_e32 v23, 20, v8
	v_dual_mov_b32 v24, v11 :: v_dual_add_nc_u32 v25, -13, v8
	v_dual_mov_b32 v26, v11 :: v_dual_add_nc_u32 v27, -6, v8
	s_delay_alu instid0(VALU_DEP_4) | instskip(SKIP_1) | instid1(VALU_DEP_4)
	v_lshlrev_b64_e32 v[9:10], 2, v[6:7]
	v_dual_mov_b32 v13, v11 :: v_dual_mov_b32 v28, v11
	v_lshlrev_b64_e32 v[23:24], 3, v[23:24]
	s_delay_alu instid0(VALU_DEP_4) | instskip(NEXT) | instid1(VALU_DEP_4)
	v_lshlrev_b64_e32 v[25:26], 3, v[25:26]
	v_add_co_u32 v9, vcc_lo, s6, v9
	s_wait_alu 0xfffd
	v_add_co_ci_u32_e64 v10, null, s7, v10, vcc_lo
	v_lshlrev_b64_e32 v[27:28], 3, v[27:28]
	global_load_b32 v7, v[9:10], off
	v_subrev_nc_u32_e32 v10, 27, v8
	s_delay_alu instid0(VALU_DEP_1) | instskip(NEXT) | instid1(VALU_DEP_1)
	v_lshlrev_b64_e32 v[29:30], 3, v[10:11]
	v_add_co_u32 v29, vcc_lo, s8, v29
	s_wait_alu 0xfffd
	s_delay_alu instid0(VALU_DEP_2)
	v_add_co_ci_u32_e64 v30, null, s9, v30, vcc_lo
	v_add_co_u32 v31, vcc_lo, s8, v23
	s_wait_alu 0xfffd
	v_add_co_ci_u32_e64 v32, null, s9, v24, vcc_lo
	v_add_co_u32 v33, vcc_lo, s8, v25
	s_wait_alu 0xfffd
	;; [unrolled: 3-line block ×3, first 2 shown]
	v_add_co_ci_u32_e64 v36, null, s9, v28, vcc_lo
	s_clause 0x4
	global_load_b128 v[23:26], v[29:30], off offset:16
	global_load_b128 v[27:30], v[29:30], off
	global_load_b64 v[31:32], v[31:32], off
	global_load_b64 v[33:34], v[33:34], off
	;; [unrolled: 1-line block ×3, first 2 shown]
	s_wait_loadcnt 0x5
	v_subrev_nc_u32_e32 v7, s12, v7
	s_delay_alu instid0(VALU_DEP_1) | instskip(SKIP_1) | instid1(VALU_DEP_1)
	v_mul_lo_u32 v12, v7, 7
	v_mov_b32_e32 v9, v11
	v_lshlrev_b64_e32 v[9:10], 3, v[8:9]
	s_delay_alu instid0(VALU_DEP_3) | instskip(NEXT) | instid1(VALU_DEP_2)
	v_lshlrev_b64_e32 v[39:40], 3, v[12:13]
	v_add_co_u32 v37, vcc_lo, s8, v9
	s_wait_alu 0xfffd
	s_delay_alu instid0(VALU_DEP_3) | instskip(NEXT) | instid1(VALU_DEP_3)
	v_add_co_ci_u32_e64 v38, null, s9, v10, vcc_lo
	v_add_co_u32 v39, vcc_lo, s10, v39
	s_wait_alu 0xfffd
	v_add_co_ci_u32_e64 v40, null, s11, v40, vcc_lo
	v_add_nc_u32_e32 v10, 1, v12
	global_load_b64 v[39:40], v[39:40], off
	v_lshlrev_b64_e32 v[41:42], 3, v[10:11]
	v_subrev_nc_u32_e32 v10, 19, v8
	s_delay_alu instid0(VALU_DEP_2) | instskip(SKIP_1) | instid1(VALU_DEP_3)
	v_add_co_u32 v41, vcc_lo, s10, v41
	s_wait_alu 0xfffd
	v_add_co_ci_u32_e64 v42, null, s11, v42, vcc_lo
	s_delay_alu instid0(VALU_DEP_3)
	v_lshlrev_b64_e32 v[43:44], 3, v[10:11]
	global_load_b64 v[41:42], v[41:42], off
	v_add_nc_u32_e32 v10, -12, v8
	v_add_co_u32 v43, vcc_lo, s8, v43
	s_wait_alu 0xfffd
	v_add_co_ci_u32_e64 v44, null, s9, v44, vcc_lo
	global_load_b64 v[43:44], v[43:44], off
	s_wait_loadcnt 0x2
	v_fmac_f32_e32 v19, v27, v39
	v_lshlrev_b64_e32 v[45:46], 3, v[10:11]
	v_dual_fmac_f32 v17, v32, v39 :: v_dual_add_nc_u32 v10, -5, v8
	v_fmac_f32_e32 v21, v33, v39
	s_delay_alu instid0(VALU_DEP_4) | instskip(SKIP_1) | instid1(VALU_DEP_4)
	v_fma_f32 v7, -v28, v40, v19
	v_fmac_f32_e32 v22, v31, v39
	v_lshlrev_b64_e32 v[47:48], 3, v[10:11]
	v_add_co_u32 v45, vcc_lo, s8, v45
	s_wait_alu 0xfffd
	v_add_co_ci_u32_e64 v46, null, s9, v46, vcc_lo
	v_add_nc_u32_e32 v10, 2, v12
	s_delay_alu instid0(VALU_DEP_4)
	v_add_co_u32 v47, vcc_lo, s8, v47
	s_wait_alu 0xfffd
	v_add_co_ci_u32_e64 v48, null, s9, v48, vcc_lo
	global_load_b64 v[45:46], v[45:46], off
	v_lshlrev_b64_e32 v[49:50], 3, v[10:11]
	v_subrev_nc_u32_e32 v10, 18, v8
	global_load_b64 v[47:48], v[47:48], off
	v_fmac_f32_e32 v15, v36, v39
	s_wait_loadcnt 0x3
	v_fmac_f32_e32 v7, v29, v41
	v_fma_f32 v19, -v32, v40, v22
	v_add_co_u32 v49, vcc_lo, s10, v49
	s_wait_alu 0xfffd
	v_add_co_ci_u32_e64 v50, null, s11, v50, vcc_lo
	v_lshlrev_b64_e32 v[51:52], 3, v[10:11]
	s_wait_loadcnt 0x2
	v_dual_fmac_f32 v19, v43, v41 :: v_dual_add_nc_u32 v10, -11, v8
	global_load_b64 v[49:50], v[49:50], off
	v_dual_fmac_f32 v17, v31, v40 :: v_dual_add_nc_u32 v6, 4, v6
	v_add_co_u32 v51, vcc_lo, s8, v51
	s_wait_alu 0xfffd
	v_add_co_ci_u32_e64 v52, null, s9, v52, vcc_lo
	v_lshlrev_b64_e32 v[53:54], 3, v[10:11]
	v_dual_fmac_f32 v17, v44, v41 :: v_dual_add_nc_u32 v10, -4, v8
	global_load_b64 v[51:52], v[51:52], off
	v_fma_f32 v21, -v34, v40, v21
	v_dual_fmac_f32 v14, v28, v39 :: v_dual_fmac_f32 v15, v35, v40
	v_add_co_u32 v53, vcc_lo, s8, v53
	s_wait_alu 0xfffd
	v_add_co_ci_u32_e64 v54, null, s9, v54, vcc_lo
	v_lshlrev_b64_e32 v[55:56], 3, v[10:11]
	v_dual_fmac_f32 v17, v43, v42 :: v_dual_add_nc_u32 v10, 3, v12
	global_load_b64 v[53:54], v[53:54], off
	v_fma_f32 v7, -v30, v42, v7
	v_fma_f32 v19, -v44, v42, v19
	v_add_co_u32 v55, vcc_lo, s8, v55
	s_wait_alu 0xfffd
	v_add_co_ci_u32_e64 v56, null, s9, v56, vcc_lo
	v_lshlrev_b64_e32 v[57:58], 3, v[10:11]
	v_subrev_nc_u32_e32 v10, 17, v8
	global_load_b64 v[55:56], v[55:56], off
	v_add_co_u32 v57, vcc_lo, s10, v57
	s_wait_alu 0xfffd
	v_add_co_ci_u32_e64 v58, null, s11, v58, vcc_lo
	v_lshlrev_b64_e32 v[59:60], 3, v[10:11]
	v_add_nc_u32_e32 v10, -10, v8
	global_load_b64 v[57:58], v[57:58], off
	v_lshlrev_b64_e32 v[61:62], 3, v[10:11]
	v_add_nc_u32_e32 v10, -3, v8
	v_add_co_u32 v59, vcc_lo, s8, v59
	s_wait_alu 0xfffd
	v_add_co_ci_u32_e64 v60, null, s9, v60, vcc_lo
	s_delay_alu instid0(VALU_DEP_3) | instskip(SKIP_4) | instid1(VALU_DEP_3)
	v_lshlrev_b64_e32 v[63:64], 3, v[10:11]
	v_subrev_nc_u32_e32 v10, 23, v8
	v_add_co_u32 v61, vcc_lo, s8, v61
	s_wait_alu 0xfffd
	v_add_co_ci_u32_e64 v62, null, s9, v62, vcc_lo
	v_lshlrev_b64_e32 v[65:66], 3, v[10:11]
	v_add_nc_u32_e32 v10, 4, v12
	v_add_co_u32 v63, vcc_lo, s8, v63
	s_wait_alu 0xfffd
	v_add_co_ci_u32_e64 v64, null, s9, v64, vcc_lo
	s_delay_alu instid0(VALU_DEP_4)
	v_add_co_u32 v65, vcc_lo, s8, v65
	s_clause 0x2
	global_load_b64 v[59:60], v[59:60], off
	global_load_b64 v[61:62], v[61:62], off
	;; [unrolled: 1-line block ×3, first 2 shown]
	s_wait_alu 0xfffd
	v_add_co_ci_u32_e64 v66, null, s9, v66, vcc_lo
	global_load_b64 v[65:66], v[65:66], off
	s_wait_loadcnt 0xa
	v_fmac_f32_e32 v21, v45, v41
	v_lshlrev_b64_e32 v[67:68], 3, v[10:11]
	s_wait_loadcnt 0x9
	v_dual_fmac_f32 v15, v48, v41 :: v_dual_add_nc_u32 v10, -16, v8
	s_delay_alu instid0(VALU_DEP_3) | instskip(NEXT) | instid1(VALU_DEP_2)
	v_fma_f32 v21, -v46, v42, v21
	v_lshlrev_b64_e32 v[69:70], 3, v[10:11]
	s_delay_alu instid0(VALU_DEP_3) | instskip(SKIP_3) | instid1(VALU_DEP_3)
	v_dual_fmac_f32 v15, v47, v42 :: v_dual_add_nc_u32 v10, -9, v8
	v_add_co_u32 v67, vcc_lo, s10, v67
	s_wait_alu 0xfffd
	v_add_co_ci_u32_e64 v68, null, s11, v68, vcc_lo
	v_lshlrev_b64_e32 v[71:72], 3, v[10:11]
	s_wait_loadcnt 0x8
	v_dual_fmac_f32 v7, v23, v49 :: v_dual_add_nc_u32 v10, -2, v8
	v_add_co_u32 v69, vcc_lo, s8, v69
	s_wait_alu 0xfffd
	v_add_co_ci_u32_e64 v70, null, s9, v70, vcc_lo
	s_delay_alu instid0(VALU_DEP_3)
	v_lshlrev_b64_e32 v[73:74], 3, v[10:11]
	v_subrev_nc_u32_e32 v10, 22, v8
	v_add_co_u32 v71, vcc_lo, s8, v71
	s_wait_loadcnt 0x7
	v_fmac_f32_e32 v19, v51, v49
	v_fmac_f32_e32 v17, v52, v49
	v_lshlrev_b64_e32 v[75:76], 3, v[10:11]
	v_add_nc_u32_e32 v10, 5, v12
	s_wait_alu 0xfffd
	v_add_co_ci_u32_e64 v72, null, s9, v72, vcc_lo
	v_add_co_u32 v73, vcc_lo, s8, v73
	s_delay_alu instid0(VALU_DEP_3) | instskip(SKIP_4) | instid1(VALU_DEP_3)
	v_lshlrev_b64_e32 v[77:78], 3, v[10:11]
	v_dual_fmac_f32 v17, v51, v50 :: v_dual_add_nc_u32 v10, -15, v8
	s_wait_alu 0xfffd
	v_add_co_ci_u32_e64 v74, null, s9, v74, vcc_lo
	v_add_co_u32 v75, vcc_lo, s8, v75
	v_lshlrev_b64_e32 v[79:80], 3, v[10:11]
	v_add_nc_u32_e32 v10, -8, v8
	global_load_b64 v[67:68], v[67:68], off
	s_clause 0x2
	global_load_b64 v[69:70], v[69:70], off
	global_load_b64 v[71:72], v[71:72], off
	;; [unrolled: 1-line block ×3, first 2 shown]
	v_lshlrev_b64_e32 v[81:82], 3, v[10:11]
	s_wait_loadcnt 0xa
	v_dual_fmac_f32 v21, v53, v49 :: v_dual_add_nc_u32 v10, -1, v8
	s_wait_alu 0xfffd
	v_add_co_ci_u32_e64 v76, null, s9, v76, vcc_lo
	v_add_co_u32 v77, vcc_lo, s10, v77
	s_delay_alu instid0(VALU_DEP_3)
	v_lshlrev_b64_e32 v[83:84], 3, v[10:11]
	v_subrev_nc_u32_e32 v10, 21, v8
	s_wait_alu 0xfffd
	v_add_co_ci_u32_e64 v78, null, s11, v78, vcc_lo
	v_add_co_u32 v79, vcc_lo, s8, v79
	s_wait_alu 0xfffd
	v_add_co_ci_u32_e64 v80, null, s9, v80, vcc_lo
	v_lshlrev_b64_e32 v[85:86], 3, v[10:11]
	s_wait_loadcnt 0x9
	v_dual_fmac_f32 v15, v56, v49 :: v_dual_add_nc_u32 v10, 6, v12
	v_add_co_u32 v81, vcc_lo, s8, v81
	global_load_b64 v[77:78], v[77:78], off
	global_load_b64 v[79:80], v[79:80], off
	s_wait_alu 0xfffd
	v_add_co_ci_u32_e64 v82, null, s9, v82, vcc_lo
	v_add_co_u32 v12, vcc_lo, s8, v83
	s_wait_alu 0xfffd
	v_add_co_ci_u32_e64 v13, null, s9, v84, vcc_lo
	v_lshlrev_b64_e32 v[83:84], 3, v[10:11]
	global_load_b64 v[75:76], v[75:76], off
	v_add_co_u32 v85, vcc_lo, s8, v85
	s_wait_alu 0xfffd
	v_add_co_ci_u32_e64 v86, null, s9, v86, vcc_lo
	v_add_co_u32 v83, vcc_lo, s10, v83
	v_dual_fmac_f32 v15, v55, v50 :: v_dual_add_nc_u32 v10, -14, v8
	s_wait_alu 0xfffd
	v_add_co_ci_u32_e64 v84, null, s11, v84, vcc_lo
	v_fma_f32 v7, -v24, v50, v7
	s_delay_alu instid0(VALU_DEP_3)
	v_lshlrev_b64_e32 v[87:88], 3, v[10:11]
	v_add_nc_u32_e32 v10, -7, v8
	s_clause 0x1
	global_load_b64 v[12:13], v[12:13], off
	global_load_b64 v[85:86], v[85:86], off
	;; [unrolled: 1-line block ×3, first 2 shown]
	s_wait_loadcnt 0xe
	v_fmac_f32_e32 v7, v25, v57
	v_lshlrev_b64_e32 v[9:10], 3, v[10:11]
	global_load_b64 v[81:82], v[81:82], off
	v_add_co_u32 v87, vcc_lo, s8, v87
	s_wait_alu 0xfffd
	v_add_co_ci_u32_e64 v88, null, s9, v88, vcc_lo
	v_add_co_u32 v9, vcc_lo, s8, v9
	s_wait_alu 0xfffd
	v_add_co_ci_u32_e64 v10, null, s9, v10, vcc_lo
	s_clause 0x2
	global_load_b64 v[87:88], v[87:88], off
	global_load_b64 v[9:10], v[9:10], off
	;; [unrolled: 1-line block ×3, first 2 shown]
	s_wait_loadcnt 0xf
	v_dual_fmac_f32 v14, v27, v40 :: v_dual_fmac_f32 v15, v64, v57
	v_fma_f32 v19, -v52, v50, v19
	v_dual_fmac_f32 v17, v60, v57 :: v_dual_fmac_f32 v16, v34, v39
	v_add_nc_u32_e32 v8, 0x70, v8
	v_fma_f32 v21, -v54, v50, v21
	v_fmac_f32_e32 v20, v35, v39
	v_fmac_f32_e32 v19, v59, v57
	v_fma_f32 v7, -v26, v58, v7
	v_dual_fmac_f32 v14, v30, v41 :: v_dual_fmac_f32 v17, v59, v58
	v_dual_fmac_f32 v16, v33, v40 :: v_dual_fmac_f32 v15, v63, v58
	s_delay_alu instid0(VALU_DEP_4) | instskip(SKIP_2) | instid1(VALU_DEP_4)
	v_fma_f32 v19, -v60, v58, v19
	v_fmac_f32_e32 v21, v61, v57
	v_fma_f32 v20, -v36, v40, v20
	v_fmac_f32_e32 v16, v46, v41
	v_cmp_ge_i32_e32 vcc_lo, v6, v18
	s_delay_alu instid0(VALU_DEP_4)
	v_fma_f32 v21, -v62, v58, v21
	s_wait_alu 0xfffe
	s_or_b32 s2, vcc_lo, s2
	s_wait_loadcnt 0xd
	v_fmac_f32_e32 v7, v65, v67
	s_wait_loadcnt 0xc
	v_dual_fmac_f32 v14, v29, v42 :: v_dual_fmac_f32 v17, v70, v67
	v_dual_fmac_f32 v20, v47, v41 :: v_dual_fmac_f32 v19, v69, v67
	s_wait_loadcnt 0xb
	v_dual_fmac_f32 v16, v45, v42 :: v_dual_fmac_f32 v21, v71, v67
	s_delay_alu instid0(VALU_DEP_3)
	v_dual_fmac_f32 v17, v69, v68 :: v_dual_fmac_f32 v14, v24, v49
	s_wait_loadcnt 0xa
	v_fmac_f32_e32 v15, v74, v67
	v_fma_f32 v7, -v66, v68, v7
	v_fma_f32 v20, -v48, v42, v20
	;; [unrolled: 1-line block ×3, first 2 shown]
	s_delay_alu instid0(VALU_DEP_4)
	v_dual_fmac_f32 v14, v23, v50 :: v_dual_fmac_f32 v15, v73, v68
	v_fma_f32 v21, -v72, v68, v21
	s_wait_loadcnt 0x8
	v_fmac_f32_e32 v17, v80, v77
	v_fmac_f32_e32 v16, v54, v49
	;; [unrolled: 1-line block ×3, first 2 shown]
	s_delay_alu instid0(VALU_DEP_3) | instskip(NEXT) | instid1(VALU_DEP_3)
	v_fmac_f32_e32 v17, v79, v78
	v_fmac_f32_e32 v16, v53, v50
	s_delay_alu instid0(VALU_DEP_3) | instskip(SKIP_2) | instid1(VALU_DEP_3)
	v_fma_f32 v22, -v80, v78, v19
	s_wait_loadcnt 0x7
	v_fmac_f32_e32 v7, v75, v77
	v_fmac_f32_e32 v16, v62, v57
	s_delay_alu instid0(VALU_DEP_2)
	v_fma_f32 v7, -v76, v78, v7
	v_fmac_f32_e32 v14, v26, v57
	s_wait_loadcnt 0x6
	v_fmac_f32_e32 v15, v13, v77
	s_wait_loadcnt 0x4
	v_dual_fmac_f32 v20, v55, v49 :: v_dual_fmac_f32 v7, v85, v83
	v_fmac_f32_e32 v14, v25, v58
	s_wait_loadcnt 0x3
	v_fmac_f32_e32 v21, v81, v77
	v_fmac_f32_e32 v15, v12, v78
	v_fma_f32 v20, -v56, v50, v20
	v_fmac_f32_e32 v14, v66, v67
	v_fma_f32 v19, -v86, v84, v7
	v_fma_f32 v21, -v82, v78, v21
	s_delay_alu instid0(VALU_DEP_4)
	v_fmac_f32_e32 v20, v63, v57
	s_wait_loadcnt 0x2
	v_dual_fmac_f32 v14, v65, v68 :: v_dual_fmac_f32 v17, v88, v83
	s_wait_loadcnt 0x1
	v_fmac_f32_e32 v21, v9, v83
	s_wait_loadcnt 0x0
	v_dual_fmac_f32 v16, v61, v58 :: v_dual_fmac_f32 v15, v38, v83
	v_fma_f32 v20, -v64, v58, v20
	v_dual_fmac_f32 v17, v87, v84 :: v_dual_fmac_f32 v14, v76, v77
	s_delay_alu instid0(VALU_DEP_3) | instskip(NEXT) | instid1(VALU_DEP_3)
	v_dual_fmac_f32 v16, v72, v67 :: v_dual_fmac_f32 v15, v37, v84
	v_fmac_f32_e32 v20, v73, v67
	v_fmac_f32_e32 v22, v87, v83
	s_delay_alu instid0(VALU_DEP_4) | instskip(SKIP_1) | instid1(VALU_DEP_4)
	v_fmac_f32_e32 v14, v75, v78
	v_fma_f32 v21, -v10, v84, v21
	v_fma_f32 v20, -v74, v68, v20
	s_delay_alu instid0(VALU_DEP_4) | instskip(NEXT) | instid1(VALU_DEP_4)
	v_fma_f32 v22, -v88, v84, v22
	v_fmac_f32_e32 v14, v86, v83
	s_delay_alu instid0(VALU_DEP_3) | instskip(NEXT) | instid1(VALU_DEP_2)
	v_fmac_f32_e32 v20, v12, v77
	v_fmac_f32_e32 v14, v85, v84
	s_delay_alu instid0(VALU_DEP_2) | instskip(NEXT) | instid1(VALU_DEP_1)
	v_fma_f32 v13, -v13, v78, v20
	v_dual_fmac_f32 v16, v71, v68 :: v_dual_fmac_f32 v13, v37, v83
	s_delay_alu instid0(VALU_DEP_1) | instskip(NEXT) | instid1(VALU_DEP_2)
	v_fmac_f32_e32 v16, v82, v77
	v_fma_f32 v20, -v38, v84, v13
	s_delay_alu instid0(VALU_DEP_2) | instskip(NEXT) | instid1(VALU_DEP_1)
	v_fmac_f32_e32 v16, v81, v78
	v_fmac_f32_e32 v16, v10, v83
	s_delay_alu instid0(VALU_DEP_1)
	v_fmac_f32_e32 v16, v9, v84
	s_wait_alu 0xfffe
	s_and_not1_b32 exec_lo, exec_lo, s2
	s_cbranch_execnz .LBB99_13
; %bb.14:
	s_or_b32 exec_lo, exec_lo, s2
.LBB99_15:
	s_wait_alu 0xfffe
	s_or_b32 exec_lo, exec_lo, s3
.LBB99_16:
	v_mbcnt_lo_u32_b32 v6, -1, 0
	s_delay_alu instid0(VALU_DEP_1) | instskip(NEXT) | instid1(VALU_DEP_1)
	v_xor_b32_e32 v7, 2, v6
	v_cmp_gt_i32_e32 vcc_lo, 32, v7
	s_wait_alu 0xfffd
	v_cndmask_b32_e32 v7, v6, v7, vcc_lo
	s_delay_alu instid0(VALU_DEP_1)
	v_lshlrev_b32_e32 v7, 2, v7
	ds_bpermute_b32 v8, v7, v19
	ds_bpermute_b32 v9, v7, v14
	;; [unrolled: 1-line block ×8, first 2 shown]
	v_xor_b32_e32 v7, 1, v6
	s_delay_alu instid0(VALU_DEP_1)
	v_cmp_gt_i32_e32 vcc_lo, 32, v7
	s_wait_alu 0xfffd
	v_cndmask_b32_e32 v6, v6, v7, vcc_lo
	v_cmp_eq_u32_e32 vcc_lo, 3, v0
	s_wait_dscnt 0x6
	v_add_f32_e32 v10, v14, v9
	s_wait_dscnt 0x5
	v_add_f32_e32 v11, v22, v11
	s_wait_dscnt 0x4
	v_dual_add_f32 v13, v17, v12 :: v_dual_lshlrev_b32 v26, 2, v6
	v_add_f32_e32 v6, v19, v8
	s_wait_dscnt 0x3
	v_add_f32_e32 v14, v21, v18
	s_wait_dscnt 0x0
	v_dual_add_f32 v16, v16, v23 :: v_dual_add_f32 v9, v15, v25
	v_add_f32_e32 v7, v20, v24
	ds_bpermute_b32 v8, v26, v6
	ds_bpermute_b32 v12, v26, v10
	;; [unrolled: 1-line block ×8, first 2 shown]
	s_and_b32 exec_lo, exec_lo, vcc_lo
	s_cbranch_execz .LBB99_21
; %bb.17:
	s_load_b64 s[2:3], s[0:1], 0x38
	v_cmp_eq_f32_e32 vcc_lo, 0, v3
	v_cmp_eq_f32_e64 s0, 0, v4
	s_wait_dscnt 0x7
	v_add_f32_e32 v8, v6, v8
	s_wait_dscnt 0x1
	v_dual_add_f32 v12, v10, v12 :: v_dual_add_f32 v7, v7, v15
	s_wait_dscnt 0x0
	v_dual_add_f32 v0, v11, v18 :: v_dual_add_f32 v9, v9, v17
	v_dual_add_f32 v11, v13, v19 :: v_dual_add_f32 v6, v14, v20
	v_add_f32_e32 v10, v16, v21
	s_and_b32 s0, vcc_lo, s0
	s_wait_alu 0xfffe
	s_and_saveexec_b32 s1, s0
	s_wait_alu 0xfffe
	s_xor_b32 s0, exec_lo, s1
	s_cbranch_execz .LBB99_19
; %bb.18:
	v_dual_mul_f32 v14, v1, v12 :: v_dual_lshlrev_b32 v3, 2, v5
	v_mul_f32_e64 v13, v12, -v2
	v_mul_f32_e64 v15, v11, -v2
	v_mul_f32_e32 v16, v1, v11
	s_delay_alu instid0(VALU_DEP_4)
	v_ashrrev_i32_e32 v4, 31, v3
	v_mul_f32_e64 v17, v10, -v2
	v_mul_f32_e32 v18, v1, v10
	v_mul_f32_e64 v19, v9, -v2
	v_mul_f32_e32 v20, v1, v9
	v_lshlrev_b64_e32 v[3:4], 3, v[3:4]
	s_delay_alu instid0(VALU_DEP_4) | instskip(SKIP_1) | instid1(VALU_DEP_4)
	v_dual_fmac_f32 v13, v1, v8 :: v_dual_fmac_f32 v18, v2, v6
	v_dual_fmac_f32 v14, v2, v8 :: v_dual_fmac_f32 v17, v1, v6
	v_dual_fmac_f32 v15, v1, v0 :: v_dual_fmac_f32 v20, v2, v7
	s_wait_kmcnt 0x0
	s_delay_alu instid0(VALU_DEP_4)
	v_add_co_u32 v3, vcc_lo, s2, v3
	s_wait_alu 0xfffd
	v_add_co_ci_u32_e64 v4, null, s3, v4, vcc_lo
	v_dual_fmac_f32 v16, v2, v0 :: v_dual_fmac_f32 v19, v1, v7
	s_clause 0x1
	global_store_b128 v[3:4], v[13:16], off
	global_store_b128 v[3:4], v[17:20], off offset:16
                                        ; implicit-def: $vgpr5
                                        ; implicit-def: $vgpr8
                                        ; implicit-def: $vgpr12
                                        ; implicit-def: $vgpr0
                                        ; implicit-def: $vgpr11
                                        ; implicit-def: $vgpr6
                                        ; implicit-def: $vgpr10
                                        ; implicit-def: $vgpr7
                                        ; implicit-def: $vgpr9
                                        ; implicit-def: $vgpr1_vgpr2
                                        ; implicit-def: $vgpr3_vgpr4
.LBB99_19:
	s_wait_alu 0xfffe
	s_and_not1_saveexec_b32 s0, s0
	s_cbranch_execz .LBB99_21
; %bb.20:
	v_dual_mul_f32 v22, v1, v12 :: v_dual_lshlrev_b32 v13, 2, v5
	v_mul_f32_e64 v5, v12, -v2
	v_mul_f32_e64 v23, v11, -v2
	v_mul_f32_e64 v27, v9, -v2
	s_delay_alu instid0(VALU_DEP_4) | instskip(NEXT) | instid1(VALU_DEP_4)
	v_ashrrev_i32_e32 v14, 31, v13
	v_fmac_f32_e32 v5, v1, v8
	s_delay_alu instid0(VALU_DEP_2) | instskip(SKIP_1) | instid1(VALU_DEP_1)
	v_lshlrev_b64_e32 v[13:14], 3, v[13:14]
	s_wait_kmcnt 0x0
	v_add_co_u32 v25, vcc_lo, s2, v13
	s_wait_alu 0xfffd
	s_delay_alu instid0(VALU_DEP_2)
	v_add_co_ci_u32_e64 v26, null, s3, v14, vcc_lo
	s_clause 0x1
	global_load_b128 v[13:16], v[25:26], off
	global_load_b128 v[17:20], v[25:26], off offset:16
	v_mul_f32_e32 v24, v1, v11
	v_mul_f32_e64 v11, v10, -v2
	s_delay_alu instid0(VALU_DEP_1) | instskip(SKIP_1) | instid1(VALU_DEP_1)
	v_dual_fmac_f32 v22, v2, v8 :: v_dual_fmac_f32 v11, v1, v6
	s_wait_loadcnt 0x1
	v_dual_fmac_f32 v27, v1, v7 :: v_dual_fmac_f32 v22, v4, v13
	s_wait_loadcnt 0x0
	s_delay_alu instid0(VALU_DEP_1) | instskip(SKIP_3) | instid1(VALU_DEP_4)
	v_dual_mul_f32 v12, v1, v9 :: v_dual_fmac_f32 v27, v3, v19
	v_fmac_f32_e32 v23, v1, v0
	v_fmac_f32_e32 v11, v3, v17
	;; [unrolled: 1-line block ×4, first 2 shown]
	s_delay_alu instid0(VALU_DEP_4) | instskip(NEXT) | instid1(VALU_DEP_4)
	v_dual_mul_f32 v10, v1, v10 :: v_dual_fmac_f32 v23, v3, v15
	v_fma_f32 v9, -v4, v18, v11
	v_fma_f32 v11, -v4, v20, v27
	s_delay_alu instid0(VALU_DEP_4) | instskip(NEXT) | instid1(VALU_DEP_4)
	v_fmac_f32_e32 v12, v4, v19
	v_dual_fmac_f32 v10, v2, v6 :: v_dual_fmac_f32 v5, v3, v13
	v_fmac_f32_e32 v24, v2, v0
	v_fma_f32 v23, -v4, v16, v23
	s_delay_alu instid0(VALU_DEP_4) | instskip(NEXT) | instid1(VALU_DEP_4)
	v_fmac_f32_e32 v12, v3, v20
	v_fmac_f32_e32 v10, v4, v17
	v_fma_f32 v21, -v4, v14, v5
	v_fmac_f32_e32 v24, v4, v15
	s_delay_alu instid0(VALU_DEP_3) | instskip(NEXT) | instid1(VALU_DEP_2)
	v_fmac_f32_e32 v10, v3, v18
	v_fmac_f32_e32 v24, v3, v16
	s_clause 0x1
	global_store_b128 v[25:26], v[21:24], off
	global_store_b128 v[25:26], v[9:12], off offset:16
.LBB99_21:
	s_endpgm
	.section	.rodata,"a",@progbits
	.p2align	6, 0x0
	.amdhsa_kernel _ZN9rocsparseL19gebsrmvn_4xn_kernelILj128ELj7ELj4E21rocsparse_complex_numIfEEEvi20rocsparse_direction_NS_24const_host_device_scalarIT2_EEPKiS8_PKS5_SA_S6_PS5_21rocsparse_index_base_b
		.amdhsa_group_segment_fixed_size 0
		.amdhsa_private_segment_fixed_size 0
		.amdhsa_kernarg_size 72
		.amdhsa_user_sgpr_count 2
		.amdhsa_user_sgpr_dispatch_ptr 0
		.amdhsa_user_sgpr_queue_ptr 0
		.amdhsa_user_sgpr_kernarg_segment_ptr 1
		.amdhsa_user_sgpr_dispatch_id 0
		.amdhsa_user_sgpr_private_segment_size 0
		.amdhsa_wavefront_size32 1
		.amdhsa_uses_dynamic_stack 0
		.amdhsa_enable_private_segment 0
		.amdhsa_system_sgpr_workgroup_id_x 1
		.amdhsa_system_sgpr_workgroup_id_y 0
		.amdhsa_system_sgpr_workgroup_id_z 0
		.amdhsa_system_sgpr_workgroup_info 0
		.amdhsa_system_vgpr_workitem_id 0
		.amdhsa_next_free_vgpr 89
		.amdhsa_next_free_sgpr 14
		.amdhsa_reserve_vcc 1
		.amdhsa_float_round_mode_32 0
		.amdhsa_float_round_mode_16_64 0
		.amdhsa_float_denorm_mode_32 3
		.amdhsa_float_denorm_mode_16_64 3
		.amdhsa_fp16_overflow 0
		.amdhsa_workgroup_processor_mode 1
		.amdhsa_memory_ordered 1
		.amdhsa_forward_progress 1
		.amdhsa_inst_pref_size 39
		.amdhsa_round_robin_scheduling 0
		.amdhsa_exception_fp_ieee_invalid_op 0
		.amdhsa_exception_fp_denorm_src 0
		.amdhsa_exception_fp_ieee_div_zero 0
		.amdhsa_exception_fp_ieee_overflow 0
		.amdhsa_exception_fp_ieee_underflow 0
		.amdhsa_exception_fp_ieee_inexact 0
		.amdhsa_exception_int_div_zero 0
	.end_amdhsa_kernel
	.section	.text._ZN9rocsparseL19gebsrmvn_4xn_kernelILj128ELj7ELj4E21rocsparse_complex_numIfEEEvi20rocsparse_direction_NS_24const_host_device_scalarIT2_EEPKiS8_PKS5_SA_S6_PS5_21rocsparse_index_base_b,"axG",@progbits,_ZN9rocsparseL19gebsrmvn_4xn_kernelILj128ELj7ELj4E21rocsparse_complex_numIfEEEvi20rocsparse_direction_NS_24const_host_device_scalarIT2_EEPKiS8_PKS5_SA_S6_PS5_21rocsparse_index_base_b,comdat
.Lfunc_end99:
	.size	_ZN9rocsparseL19gebsrmvn_4xn_kernelILj128ELj7ELj4E21rocsparse_complex_numIfEEEvi20rocsparse_direction_NS_24const_host_device_scalarIT2_EEPKiS8_PKS5_SA_S6_PS5_21rocsparse_index_base_b, .Lfunc_end99-_ZN9rocsparseL19gebsrmvn_4xn_kernelILj128ELj7ELj4E21rocsparse_complex_numIfEEEvi20rocsparse_direction_NS_24const_host_device_scalarIT2_EEPKiS8_PKS5_SA_S6_PS5_21rocsparse_index_base_b
                                        ; -- End function
	.set _ZN9rocsparseL19gebsrmvn_4xn_kernelILj128ELj7ELj4E21rocsparse_complex_numIfEEEvi20rocsparse_direction_NS_24const_host_device_scalarIT2_EEPKiS8_PKS5_SA_S6_PS5_21rocsparse_index_base_b.num_vgpr, 89
	.set _ZN9rocsparseL19gebsrmvn_4xn_kernelILj128ELj7ELj4E21rocsparse_complex_numIfEEEvi20rocsparse_direction_NS_24const_host_device_scalarIT2_EEPKiS8_PKS5_SA_S6_PS5_21rocsparse_index_base_b.num_agpr, 0
	.set _ZN9rocsparseL19gebsrmvn_4xn_kernelILj128ELj7ELj4E21rocsparse_complex_numIfEEEvi20rocsparse_direction_NS_24const_host_device_scalarIT2_EEPKiS8_PKS5_SA_S6_PS5_21rocsparse_index_base_b.numbered_sgpr, 14
	.set _ZN9rocsparseL19gebsrmvn_4xn_kernelILj128ELj7ELj4E21rocsparse_complex_numIfEEEvi20rocsparse_direction_NS_24const_host_device_scalarIT2_EEPKiS8_PKS5_SA_S6_PS5_21rocsparse_index_base_b.num_named_barrier, 0
	.set _ZN9rocsparseL19gebsrmvn_4xn_kernelILj128ELj7ELj4E21rocsparse_complex_numIfEEEvi20rocsparse_direction_NS_24const_host_device_scalarIT2_EEPKiS8_PKS5_SA_S6_PS5_21rocsparse_index_base_b.private_seg_size, 0
	.set _ZN9rocsparseL19gebsrmvn_4xn_kernelILj128ELj7ELj4E21rocsparse_complex_numIfEEEvi20rocsparse_direction_NS_24const_host_device_scalarIT2_EEPKiS8_PKS5_SA_S6_PS5_21rocsparse_index_base_b.uses_vcc, 1
	.set _ZN9rocsparseL19gebsrmvn_4xn_kernelILj128ELj7ELj4E21rocsparse_complex_numIfEEEvi20rocsparse_direction_NS_24const_host_device_scalarIT2_EEPKiS8_PKS5_SA_S6_PS5_21rocsparse_index_base_b.uses_flat_scratch, 0
	.set _ZN9rocsparseL19gebsrmvn_4xn_kernelILj128ELj7ELj4E21rocsparse_complex_numIfEEEvi20rocsparse_direction_NS_24const_host_device_scalarIT2_EEPKiS8_PKS5_SA_S6_PS5_21rocsparse_index_base_b.has_dyn_sized_stack, 0
	.set _ZN9rocsparseL19gebsrmvn_4xn_kernelILj128ELj7ELj4E21rocsparse_complex_numIfEEEvi20rocsparse_direction_NS_24const_host_device_scalarIT2_EEPKiS8_PKS5_SA_S6_PS5_21rocsparse_index_base_b.has_recursion, 0
	.set _ZN9rocsparseL19gebsrmvn_4xn_kernelILj128ELj7ELj4E21rocsparse_complex_numIfEEEvi20rocsparse_direction_NS_24const_host_device_scalarIT2_EEPKiS8_PKS5_SA_S6_PS5_21rocsparse_index_base_b.has_indirect_call, 0
	.section	.AMDGPU.csdata,"",@progbits
; Kernel info:
; codeLenInByte = 4980
; TotalNumSgprs: 16
; NumVgprs: 89
; ScratchSize: 0
; MemoryBound: 0
; FloatMode: 240
; IeeeMode: 1
; LDSByteSize: 0 bytes/workgroup (compile time only)
; SGPRBlocks: 0
; VGPRBlocks: 11
; NumSGPRsForWavesPerEU: 16
; NumVGPRsForWavesPerEU: 89
; Occupancy: 16
; WaveLimiterHint : 1
; COMPUTE_PGM_RSRC2:SCRATCH_EN: 0
; COMPUTE_PGM_RSRC2:USER_SGPR: 2
; COMPUTE_PGM_RSRC2:TRAP_HANDLER: 0
; COMPUTE_PGM_RSRC2:TGID_X_EN: 1
; COMPUTE_PGM_RSRC2:TGID_Y_EN: 0
; COMPUTE_PGM_RSRC2:TGID_Z_EN: 0
; COMPUTE_PGM_RSRC2:TIDIG_COMP_CNT: 0
	.section	.text._ZN9rocsparseL19gebsrmvn_4xn_kernelILj128ELj7ELj8E21rocsparse_complex_numIfEEEvi20rocsparse_direction_NS_24const_host_device_scalarIT2_EEPKiS8_PKS5_SA_S6_PS5_21rocsparse_index_base_b,"axG",@progbits,_ZN9rocsparseL19gebsrmvn_4xn_kernelILj128ELj7ELj8E21rocsparse_complex_numIfEEEvi20rocsparse_direction_NS_24const_host_device_scalarIT2_EEPKiS8_PKS5_SA_S6_PS5_21rocsparse_index_base_b,comdat
	.globl	_ZN9rocsparseL19gebsrmvn_4xn_kernelILj128ELj7ELj8E21rocsparse_complex_numIfEEEvi20rocsparse_direction_NS_24const_host_device_scalarIT2_EEPKiS8_PKS5_SA_S6_PS5_21rocsparse_index_base_b ; -- Begin function _ZN9rocsparseL19gebsrmvn_4xn_kernelILj128ELj7ELj8E21rocsparse_complex_numIfEEEvi20rocsparse_direction_NS_24const_host_device_scalarIT2_EEPKiS8_PKS5_SA_S6_PS5_21rocsparse_index_base_b
	.p2align	8
	.type	_ZN9rocsparseL19gebsrmvn_4xn_kernelILj128ELj7ELj8E21rocsparse_complex_numIfEEEvi20rocsparse_direction_NS_24const_host_device_scalarIT2_EEPKiS8_PKS5_SA_S6_PS5_21rocsparse_index_base_b,@function
_ZN9rocsparseL19gebsrmvn_4xn_kernelILj128ELj7ELj8E21rocsparse_complex_numIfEEEvi20rocsparse_direction_NS_24const_host_device_scalarIT2_EEPKiS8_PKS5_SA_S6_PS5_21rocsparse_index_base_b: ; @_ZN9rocsparseL19gebsrmvn_4xn_kernelILj128ELj7ELj8E21rocsparse_complex_numIfEEEvi20rocsparse_direction_NS_24const_host_device_scalarIT2_EEPKiS8_PKS5_SA_S6_PS5_21rocsparse_index_base_b
; %bb.0:
	s_clause 0x2
	s_load_b64 s[12:13], s[0:1], 0x40
	s_load_b64 s[2:3], s[0:1], 0x8
	;; [unrolled: 1-line block ×3, first 2 shown]
	s_add_nc_u64 s[6:7], s[0:1], 8
	s_wait_kmcnt 0x0
	s_bitcmp1_b32 s13, 0
	s_cselect_b32 s2, s6, s2
	s_cselect_b32 s3, s7, s3
	s_delay_alu instid0(SALU_CYCLE_1)
	v_dual_mov_b32 v1, s2 :: v_dual_mov_b32 v2, s3
	s_add_nc_u64 s[2:3], s[0:1], 48
	s_wait_alu 0xfffe
	s_cselect_b32 s2, s2, s4
	s_cselect_b32 s3, s3, s5
	flat_load_b64 v[1:2], v[1:2]
	s_wait_alu 0xfffe
	v_dual_mov_b32 v3, s2 :: v_dual_mov_b32 v4, s3
	flat_load_b64 v[3:4], v[3:4]
	s_wait_loadcnt_dscnt 0x101
	v_cmp_eq_f32_e32 vcc_lo, 0, v1
	v_cmp_eq_f32_e64 s2, 0, v2
	s_and_b32 s4, vcc_lo, s2
	s_mov_b32 s2, -1
	s_and_saveexec_b32 s3, s4
	s_cbranch_execz .LBB100_2
; %bb.1:
	s_wait_loadcnt_dscnt 0x0
	v_cmp_neq_f32_e32 vcc_lo, 1.0, v3
	v_cmp_neq_f32_e64 s2, 0, v4
	s_wait_alu 0xfffe
	s_or_b32 s2, vcc_lo, s2
	s_wait_alu 0xfffe
	s_or_not1_b32 s2, s2, exec_lo
.LBB100_2:
	s_wait_alu 0xfffe
	s_or_b32 exec_lo, exec_lo, s3
	s_and_saveexec_b32 s3, s2
	s_cbranch_execz .LBB100_21
; %bb.3:
	s_load_b64 s[2:3], s[0:1], 0x0
	v_lshrrev_b32_e32 v5, 3, v0
	s_delay_alu instid0(VALU_DEP_1) | instskip(SKIP_1) | instid1(VALU_DEP_1)
	v_lshl_or_b32 v5, ttmp9, 4, v5
	s_wait_kmcnt 0x0
	v_cmp_gt_i32_e32 vcc_lo, s2, v5
	s_and_b32 exec_lo, exec_lo, vcc_lo
	s_cbranch_execz .LBB100_21
; %bb.4:
	s_load_b256 s[4:11], s[0:1], 0x10
	v_ashrrev_i32_e32 v6, 31, v5
	v_and_b32_e32 v0, 7, v0
	s_cmp_lg_u32 s3, 0
	s_delay_alu instid0(VALU_DEP_2) | instskip(SKIP_1) | instid1(VALU_DEP_1)
	v_lshlrev_b64_e32 v[6:7], 2, v[5:6]
	s_wait_kmcnt 0x0
	v_add_co_u32 v6, vcc_lo, s4, v6
	s_delay_alu instid0(VALU_DEP_1) | instskip(SKIP_4) | instid1(VALU_DEP_2)
	v_add_co_ci_u32_e64 v7, null, s5, v7, vcc_lo
	global_load_b64 v[6:7], v[6:7], off
	s_wait_loadcnt 0x0
	v_subrev_nc_u32_e32 v6, s12, v6
	v_subrev_nc_u32_e32 v18, s12, v7
	v_add_nc_u32_e32 v6, v6, v0
	s_delay_alu instid0(VALU_DEP_1)
	v_cmp_lt_i32_e64 s2, v6, v18
	s_cbranch_scc0 .LBB100_10
; %bb.5:
	v_dual_mov_b32 v14, 0 :: v_dual_mov_b32 v19, 0
	v_dual_mov_b32 v20, 0 :: v_dual_mov_b32 v15, 0
	;; [unrolled: 1-line block ×4, first 2 shown]
	s_and_saveexec_b32 s3, s2
	s_cbranch_execz .LBB100_9
; %bb.6:
	v_mad_co_u64_u32 v[7:8], null, v6, 28, 24
	v_dual_mov_b32 v10, 0 :: v_dual_mov_b32 v11, v6
	v_dual_mov_b32 v14, 0 :: v_dual_mov_b32 v19, 0
	;; [unrolled: 1-line block ×5, first 2 shown]
	s_mov_b32 s4, 0
.LBB100_7:                              ; =>This Inner Loop Header: Depth=1
	v_ashrrev_i32_e32 v12, 31, v11
	v_mov_b32_e32 v13, v10
	s_delay_alu instid0(VALU_DEP_2) | instskip(NEXT) | instid1(VALU_DEP_1)
	v_lshlrev_b64_e32 v[8:9], 2, v[11:12]
	v_add_co_u32 v8, vcc_lo, s6, v8
	s_wait_alu 0xfffd
	s_delay_alu instid0(VALU_DEP_2) | instskip(SKIP_3) | instid1(VALU_DEP_2)
	v_add_co_ci_u32_e64 v9, null, s7, v9, vcc_lo
	global_load_b32 v12, v[8:9], off
	v_subrev_nc_u32_e32 v9, 24, v7
	v_mov_b32_e32 v8, v10
	v_lshlrev_b64_e32 v[23:24], 3, v[9:10]
	v_subrev_nc_u32_e32 v9, 20, v7
	s_delay_alu instid0(VALU_DEP_3) | instskip(NEXT) | instid1(VALU_DEP_2)
	v_lshlrev_b64_e32 v[25:26], 3, v[7:8]
	v_lshlrev_b64_e32 v[8:9], 3, v[9:10]
	s_delay_alu instid0(VALU_DEP_4) | instskip(SKIP_2) | instid1(VALU_DEP_4)
	v_add_co_u32 v27, vcc_lo, s8, v23
	s_wait_alu 0xfffd
	v_add_co_ci_u32_e64 v28, null, s9, v24, vcc_lo
	v_add_co_u32 v35, vcc_lo, s8, v25
	s_wait_alu 0xfffd
	v_add_co_ci_u32_e64 v36, null, s9, v26, vcc_lo
	;; [unrolled: 3-line block ×3, first 2 shown]
	s_clause 0x5
	global_load_b128 v[23:26], v[27:28], off offset:16
	global_load_b128 v[27:30], v[27:28], off
	global_load_b128 v[31:34], v[35:36], off offset:16
	global_load_b128 v[35:38], v[35:36], off
	;; [unrolled: 2-line block ×3, first 2 shown]
	s_wait_loadcnt 0x6
	v_subrev_nc_u32_e32 v8, s12, v12
	s_delay_alu instid0(VALU_DEP_1) | instskip(NEXT) | instid1(VALU_DEP_1)
	v_mul_lo_u32 v12, v8, 7
	v_lshlrev_b64_e32 v[47:48], 3, v[12:13]
	s_delay_alu instid0(VALU_DEP_1) | instskip(SKIP_1) | instid1(VALU_DEP_2)
	v_add_co_u32 v47, vcc_lo, s10, v47
	s_wait_alu 0xfffd
	v_add_co_ci_u32_e64 v48, null, s11, v48, vcc_lo
	global_load_b64 v[79:80], v[47:48], off
	s_wait_loadcnt 0x0
	v_dual_fmac_f32 v14, v28, v79 :: v_dual_add_nc_u32 v9, 1, v12
	s_delay_alu instid0(VALU_DEP_1)
	v_lshlrev_b64_e32 v[49:50], 3, v[9:10]
	v_add_nc_u32_e32 v9, -16, v7
	v_fmac_f32_e32 v16, v24, v79
	v_fmac_f32_e32 v22, v29, v79
	;; [unrolled: 1-line block ×4, first 2 shown]
	v_add_co_u32 v47, vcc_lo, s10, v49
	s_wait_alu 0xfffd
	v_add_co_ci_u32_e64 v48, null, s11, v50, vcc_lo
	v_lshlrev_b64_e32 v[51:52], 3, v[9:10]
	v_add_nc_u32_e32 v9, 2, v12
	v_fmac_f32_e32 v16, v23, v80
	global_load_b64 v[81:82], v[47:48], off
	v_fma_f32 v22, -v30, v80, v22
	v_fma_f32 v20, -v26, v80, v20
	v_lshlrev_b64_e32 v[49:50], 3, v[9:10]
	v_add_nc_u32_e32 v9, -12, v7
	v_add_co_u32 v51, vcc_lo, s8, v51
	s_wait_alu 0xfffd
	v_add_co_ci_u32_e64 v52, null, s9, v52, vcc_lo
	s_delay_alu instid0(VALU_DEP_3) | instskip(SKIP_4) | instid1(VALU_DEP_3)
	v_lshlrev_b64_e32 v[55:56], 3, v[9:10]
	v_add_nc_u32_e32 v9, 3, v12
	v_add_co_u32 v57, vcc_lo, s10, v49
	s_wait_alu 0xfffd
	v_add_co_ci_u32_e64 v58, null, s11, v50, vcc_lo
	v_lshlrev_b64_e32 v[59:60], 3, v[9:10]
	s_clause 0x1
	global_load_b128 v[47:50], v[51:52], off offset:16
	global_load_b128 v[51:54], v[51:52], off
	v_add_co_u32 v61, vcc_lo, s8, v55
	global_load_b64 v[83:84], v[57:58], off
	s_wait_alu 0xfffd
	v_add_co_ci_u32_e64 v62, null, s9, v56, vcc_lo
	v_add_co_u32 v65, vcc_lo, s10, v59
	s_wait_alu 0xfffd
	v_add_co_ci_u32_e64 v66, null, s11, v60, vcc_lo
	s_clause 0x1
	global_load_b128 v[55:58], v[61:62], off offset:16
	global_load_b128 v[59:62], v[61:62], off
	v_add_nc_u32_e32 v9, -8, v7
	global_load_b64 v[85:86], v[65:66], off
	s_wait_loadcnt 0x6
	v_fmac_f32_e32 v14, v44, v81
	v_lshlrev_b64_e32 v[63:64], 3, v[9:10]
	v_dual_fmac_f32 v22, v45, v81 :: v_dual_add_nc_u32 v9, 4, v12
	v_dual_fmac_f32 v16, v40, v81 :: v_dual_add_nc_u32 v11, 8, v11
	v_fmac_f32_e32 v20, v41, v81
	s_delay_alu instid0(VALU_DEP_3) | instskip(SKIP_4) | instid1(VALU_DEP_4)
	v_lshlrev_b64_e32 v[67:68], 3, v[9:10]
	v_add_nc_u32_e32 v9, -4, v7
	v_add_co_u32 v69, vcc_lo, s8, v63
	s_wait_alu 0xfffd
	v_add_co_ci_u32_e64 v70, null, s9, v64, vcc_lo
	v_add_co_u32 v73, vcc_lo, s10, v67
	v_lshlrev_b64_e32 v[71:72], 3, v[9:10]
	v_add_nc_u32_e32 v9, 5, v12
	s_wait_alu 0xfffd
	v_add_co_ci_u32_e64 v74, null, s11, v68, vcc_lo
	s_clause 0x1
	global_load_b128 v[63:66], v[69:70], off offset:16
	global_load_b128 v[67:70], v[69:70], off
	v_fmac_f32_e32 v14, v43, v82
	v_lshlrev_b64_e32 v[75:76], 3, v[9:10]
	v_add_nc_u32_e32 v9, 6, v12
	global_load_b64 v[12:13], v[73:74], off
	v_add_co_u32 v77, vcc_lo, s8, v71
	s_wait_alu 0xfffd
	v_add_co_ci_u32_e64 v78, null, s9, v72, vcc_lo
	v_add_co_u32 v87, vcc_lo, s10, v75
	s_wait_alu 0xfffd
	v_add_co_ci_u32_e64 v88, null, s11, v76, vcc_lo
	s_clause 0x1
	global_load_b128 v[71:74], v[77:78], off offset:16
	global_load_b128 v[75:78], v[77:78], off
	global_load_b64 v[87:88], v[87:88], off
	v_lshlrev_b64_e32 v[8:9], 3, v[9:10]
	v_fmac_f32_e32 v16, v39, v82
	s_wait_loadcnt 0x9
	v_fmac_f32_e32 v14, v52, v83
	v_add_nc_u32_e32 v7, 0xe0, v7
	v_fma_f32 v22, -v46, v82, v22
	v_fma_f32 v20, -v42, v82, v20
	v_add_co_u32 v8, vcc_lo, s10, v8
	s_wait_alu 0xfffd
	v_add_co_ci_u32_e64 v9, null, s11, v9, vcc_lo
	v_fmac_f32_e32 v16, v48, v83
	v_dual_fmac_f32 v17, v30, v79 :: v_dual_fmac_f32 v14, v51, v84
	global_load_b64 v[8:9], v[8:9], off
	v_fmac_f32_e32 v19, v27, v79
	v_dual_fmac_f32 v16, v47, v84 :: v_dual_fmac_f32 v15, v26, v79
	s_wait_loadcnt 0x7
	v_fmac_f32_e32 v14, v60, v85
	v_fmac_f32_e32 v22, v53, v83
	v_fma_f32 v19, -v28, v80, v19
	v_dual_fmac_f32 v16, v56, v85 :: v_dual_fmac_f32 v15, v25, v80
	v_fmac_f32_e32 v17, v29, v80
	s_delay_alu instid0(VALU_DEP_4) | instskip(NEXT) | instid1(VALU_DEP_4)
	v_fma_f32 v22, -v54, v84, v22
	v_fmac_f32_e32 v19, v43, v81
	v_fmac_f32_e32 v21, v23, v79
	s_delay_alu instid0(VALU_DEP_4) | instskip(NEXT) | instid1(VALU_DEP_4)
	v_dual_fmac_f32 v20, v49, v83 :: v_dual_fmac_f32 v17, v46, v81
	v_fmac_f32_e32 v22, v61, v85
	v_dual_fmac_f32 v15, v42, v81 :: v_dual_fmac_f32 v14, v59, v86
	s_delay_alu instid0(VALU_DEP_4)
	v_fma_f32 v21, -v24, v80, v21
	v_fma_f32 v19, -v44, v82, v19
	;; [unrolled: 1-line block ×4, first 2 shown]
	v_cmp_ge_i32_e32 vcc_lo, v11, v18
	v_fmac_f32_e32 v21, v39, v81
	s_delay_alu instid0(VALU_DEP_4)
	v_dual_fmac_f32 v19, v51, v83 :: v_dual_fmac_f32 v20, v57, v85
	v_fmac_f32_e32 v16, v55, v86
	v_fmac_f32_e32 v17, v45, v82
	s_wait_alu 0xfffe
	s_or_b32 s4, vcc_lo, s4
	v_fma_f32 v19, -v52, v84, v19
	v_fma_f32 v20, -v58, v86, v20
	s_wait_loadcnt 0x4
	v_fmac_f32_e32 v14, v68, v12
	v_fma_f32 v21, -v40, v82, v21
	v_fmac_f32_e32 v15, v41, v82
	v_fmac_f32_e32 v20, v65, v12
	;; [unrolled: 1-line block ×6, first 2 shown]
	v_dual_fmac_f32 v17, v54, v83 :: v_dual_fmac_f32 v22, v69, v12
	v_fmac_f32_e32 v16, v63, v13
	s_delay_alu instid0(VALU_DEP_4) | instskip(NEXT) | instid1(VALU_DEP_4)
	v_fma_f32 v21, -v48, v84, v21
	v_fmac_f32_e32 v15, v49, v84
	s_delay_alu instid0(VALU_DEP_4)
	v_fmac_f32_e32 v17, v53, v84
	s_wait_loadcnt 0x1
	v_dual_fmac_f32 v19, v59, v85 :: v_dual_fmac_f32 v14, v76, v87
	v_dual_fmac_f32 v21, v55, v85 :: v_dual_fmac_f32 v16, v72, v87
	v_fma_f32 v20, -v66, v13, v20
	v_fmac_f32_e32 v15, v58, v85
	v_fmac_f32_e32 v17, v62, v85
	s_delay_alu instid0(VALU_DEP_4) | instskip(SKIP_3) | instid1(VALU_DEP_4)
	v_fma_f32 v21, -v56, v86, v21
	v_fma_f32 v19, -v60, v86, v19
	v_fmac_f32_e32 v20, v73, v87
	v_dual_fmac_f32 v15, v57, v86 :: v_dual_fmac_f32 v16, v71, v88
	v_fmac_f32_e32 v21, v63, v12
	v_dual_fmac_f32 v17, v61, v86 :: v_dual_fmac_f32 v14, v75, v88
	v_fmac_f32_e32 v19, v67, v12
	s_wait_loadcnt 0x0
	v_fmac_f32_e32 v16, v32, v8
	v_fma_f32 v21, -v64, v13, v21
	v_fmac_f32_e32 v15, v66, v12
	v_fma_f32 v20, -v74, v88, v20
	v_fmac_f32_e32 v14, v36, v8
	v_fmac_f32_e32 v17, v70, v12
	;; [unrolled: 1-line block ×3, first 2 shown]
	v_fma_f32 v12, -v68, v13, v19
	v_fmac_f32_e32 v16, v31, v9
	v_fmac_f32_e32 v15, v65, v13
	v_fma_f32 v19, -v70, v13, v22
	v_fmac_f32_e32 v14, v35, v9
	v_fmac_f32_e32 v12, v75, v87
	;; [unrolled: 3-line block ×3, first 2 shown]
	v_fmac_f32_e32 v20, v33, v8
	v_fma_f32 v12, -v76, v88, v12
	v_fmac_f32_e32 v17, v69, v13
	v_fmac_f32_e32 v15, v73, v88
	v_fma_f32 v13, -v78, v88, v19
	v_fmac_f32_e32 v21, v31, v8
	s_delay_alu instid0(VALU_DEP_4) | instskip(NEXT) | instid1(VALU_DEP_4)
	v_dual_fmac_f32 v12, v35, v8 :: v_dual_fmac_f32 v17, v78, v87
	v_fmac_f32_e32 v15, v34, v8
	s_delay_alu instid0(VALU_DEP_4) | instskip(NEXT) | instid1(VALU_DEP_4)
	v_fmac_f32_e32 v13, v37, v8
	v_fma_f32 v21, -v32, v9, v21
	s_delay_alu instid0(VALU_DEP_4) | instskip(SKIP_4) | instid1(VALU_DEP_4)
	v_fma_f32 v19, -v36, v9, v12
	v_fmac_f32_e32 v17, v77, v88
	v_fma_f32 v20, -v34, v9, v20
	v_fma_f32 v22, -v38, v9, v13
	v_fmac_f32_e32 v15, v33, v9
	v_fmac_f32_e32 v17, v38, v8
	s_delay_alu instid0(VALU_DEP_1)
	v_fmac_f32_e32 v17, v37, v9
	s_wait_alu 0xfffe
	s_and_not1_b32 exec_lo, exec_lo, s4
	s_cbranch_execnz .LBB100_7
; %bb.8:
	s_or_b32 exec_lo, exec_lo, s4
.LBB100_9:
	s_wait_alu 0xfffe
	s_or_b32 exec_lo, exec_lo, s3
	s_cbranch_execz .LBB100_11
	s_branch .LBB100_16
.LBB100_10:
                                        ; implicit-def: $vgpr14
                                        ; implicit-def: $vgpr19
                                        ; implicit-def: $vgpr20
                                        ; implicit-def: $vgpr15
                                        ; implicit-def: $vgpr21
                                        ; implicit-def: $vgpr16
                                        ; implicit-def: $vgpr22
                                        ; implicit-def: $vgpr17
.LBB100_11:
	v_dual_mov_b32 v14, 0 :: v_dual_mov_b32 v19, 0
	v_dual_mov_b32 v20, 0 :: v_dual_mov_b32 v15, 0
	;; [unrolled: 1-line block ×4, first 2 shown]
	s_and_saveexec_b32 s3, s2
	s_cbranch_execz .LBB100_15
; %bb.12:
	v_mad_co_u64_u32 v[8:9], null, v6, 28, 27
	v_dual_mov_b32 v11, 0 :: v_dual_mov_b32 v14, 0
	v_dual_mov_b32 v19, 0 :: v_dual_mov_b32 v20, 0
	v_dual_mov_b32 v15, 0 :: v_dual_mov_b32 v16, 0
	v_dual_mov_b32 v21, 0 :: v_dual_mov_b32 v22, 0
	v_mov_b32_e32 v17, 0
	s_mov_b32 s2, 0
.LBB100_13:                             ; =>This Inner Loop Header: Depth=1
	v_ashrrev_i32_e32 v7, 31, v6
	v_subrev_nc_u32_e32 v23, 20, v8
	v_dual_mov_b32 v24, v11 :: v_dual_add_nc_u32 v25, -13, v8
	v_dual_mov_b32 v26, v11 :: v_dual_add_nc_u32 v27, -6, v8
	s_delay_alu instid0(VALU_DEP_4) | instskip(SKIP_1) | instid1(VALU_DEP_4)
	v_lshlrev_b64_e32 v[9:10], 2, v[6:7]
	v_dual_mov_b32 v13, v11 :: v_dual_mov_b32 v28, v11
	v_lshlrev_b64_e32 v[23:24], 3, v[23:24]
	s_delay_alu instid0(VALU_DEP_4) | instskip(NEXT) | instid1(VALU_DEP_4)
	v_lshlrev_b64_e32 v[25:26], 3, v[25:26]
	v_add_co_u32 v9, vcc_lo, s6, v9
	s_wait_alu 0xfffd
	v_add_co_ci_u32_e64 v10, null, s7, v10, vcc_lo
	v_lshlrev_b64_e32 v[27:28], 3, v[27:28]
	global_load_b32 v7, v[9:10], off
	v_subrev_nc_u32_e32 v10, 27, v8
	s_delay_alu instid0(VALU_DEP_1) | instskip(NEXT) | instid1(VALU_DEP_1)
	v_lshlrev_b64_e32 v[29:30], 3, v[10:11]
	v_add_co_u32 v29, vcc_lo, s8, v29
	s_wait_alu 0xfffd
	s_delay_alu instid0(VALU_DEP_2)
	v_add_co_ci_u32_e64 v30, null, s9, v30, vcc_lo
	v_add_co_u32 v31, vcc_lo, s8, v23
	s_wait_alu 0xfffd
	v_add_co_ci_u32_e64 v32, null, s9, v24, vcc_lo
	v_add_co_u32 v33, vcc_lo, s8, v25
	s_wait_alu 0xfffd
	;; [unrolled: 3-line block ×3, first 2 shown]
	v_add_co_ci_u32_e64 v36, null, s9, v28, vcc_lo
	s_clause 0x4
	global_load_b128 v[23:26], v[29:30], off offset:16
	global_load_b128 v[27:30], v[29:30], off
	global_load_b64 v[31:32], v[31:32], off
	global_load_b64 v[33:34], v[33:34], off
	;; [unrolled: 1-line block ×3, first 2 shown]
	s_wait_loadcnt 0x5
	v_subrev_nc_u32_e32 v7, s12, v7
	s_delay_alu instid0(VALU_DEP_1) | instskip(SKIP_1) | instid1(VALU_DEP_1)
	v_mul_lo_u32 v12, v7, 7
	v_mov_b32_e32 v9, v11
	v_lshlrev_b64_e32 v[9:10], 3, v[8:9]
	s_delay_alu instid0(VALU_DEP_3) | instskip(NEXT) | instid1(VALU_DEP_2)
	v_lshlrev_b64_e32 v[39:40], 3, v[12:13]
	v_add_co_u32 v37, vcc_lo, s8, v9
	s_wait_alu 0xfffd
	s_delay_alu instid0(VALU_DEP_3) | instskip(NEXT) | instid1(VALU_DEP_3)
	v_add_co_ci_u32_e64 v38, null, s9, v10, vcc_lo
	v_add_co_u32 v39, vcc_lo, s10, v39
	s_wait_alu 0xfffd
	v_add_co_ci_u32_e64 v40, null, s11, v40, vcc_lo
	v_add_nc_u32_e32 v10, 1, v12
	global_load_b64 v[39:40], v[39:40], off
	v_lshlrev_b64_e32 v[41:42], 3, v[10:11]
	v_subrev_nc_u32_e32 v10, 19, v8
	s_delay_alu instid0(VALU_DEP_2) | instskip(SKIP_1) | instid1(VALU_DEP_3)
	v_add_co_u32 v41, vcc_lo, s10, v41
	s_wait_alu 0xfffd
	v_add_co_ci_u32_e64 v42, null, s11, v42, vcc_lo
	s_delay_alu instid0(VALU_DEP_3)
	v_lshlrev_b64_e32 v[43:44], 3, v[10:11]
	global_load_b64 v[41:42], v[41:42], off
	v_add_nc_u32_e32 v10, -12, v8
	v_add_co_u32 v43, vcc_lo, s8, v43
	s_wait_alu 0xfffd
	v_add_co_ci_u32_e64 v44, null, s9, v44, vcc_lo
	global_load_b64 v[43:44], v[43:44], off
	s_wait_loadcnt 0x2
	v_fmac_f32_e32 v19, v27, v39
	v_lshlrev_b64_e32 v[45:46], 3, v[10:11]
	v_dual_fmac_f32 v17, v32, v39 :: v_dual_add_nc_u32 v10, -5, v8
	v_fmac_f32_e32 v21, v33, v39
	s_delay_alu instid0(VALU_DEP_4) | instskip(SKIP_1) | instid1(VALU_DEP_4)
	v_fma_f32 v7, -v28, v40, v19
	v_fmac_f32_e32 v22, v31, v39
	v_lshlrev_b64_e32 v[47:48], 3, v[10:11]
	v_add_co_u32 v45, vcc_lo, s8, v45
	s_wait_alu 0xfffd
	v_add_co_ci_u32_e64 v46, null, s9, v46, vcc_lo
	v_add_nc_u32_e32 v10, 2, v12
	s_delay_alu instid0(VALU_DEP_4)
	v_add_co_u32 v47, vcc_lo, s8, v47
	s_wait_alu 0xfffd
	v_add_co_ci_u32_e64 v48, null, s9, v48, vcc_lo
	global_load_b64 v[45:46], v[45:46], off
	v_lshlrev_b64_e32 v[49:50], 3, v[10:11]
	v_subrev_nc_u32_e32 v10, 18, v8
	global_load_b64 v[47:48], v[47:48], off
	v_fmac_f32_e32 v15, v36, v39
	s_wait_loadcnt 0x3
	v_fmac_f32_e32 v7, v29, v41
	v_fma_f32 v19, -v32, v40, v22
	v_add_co_u32 v49, vcc_lo, s10, v49
	s_wait_alu 0xfffd
	v_add_co_ci_u32_e64 v50, null, s11, v50, vcc_lo
	v_lshlrev_b64_e32 v[51:52], 3, v[10:11]
	s_wait_loadcnt 0x2
	v_dual_fmac_f32 v19, v43, v41 :: v_dual_add_nc_u32 v10, -11, v8
	global_load_b64 v[49:50], v[49:50], off
	v_dual_fmac_f32 v17, v31, v40 :: v_dual_add_nc_u32 v6, 8, v6
	v_add_co_u32 v51, vcc_lo, s8, v51
	s_wait_alu 0xfffd
	v_add_co_ci_u32_e64 v52, null, s9, v52, vcc_lo
	v_lshlrev_b64_e32 v[53:54], 3, v[10:11]
	v_dual_fmac_f32 v17, v44, v41 :: v_dual_add_nc_u32 v10, -4, v8
	global_load_b64 v[51:52], v[51:52], off
	v_fma_f32 v21, -v34, v40, v21
	v_dual_fmac_f32 v14, v28, v39 :: v_dual_fmac_f32 v15, v35, v40
	v_add_co_u32 v53, vcc_lo, s8, v53
	s_wait_alu 0xfffd
	v_add_co_ci_u32_e64 v54, null, s9, v54, vcc_lo
	v_lshlrev_b64_e32 v[55:56], 3, v[10:11]
	v_dual_fmac_f32 v17, v43, v42 :: v_dual_add_nc_u32 v10, 3, v12
	global_load_b64 v[53:54], v[53:54], off
	v_fma_f32 v7, -v30, v42, v7
	v_fma_f32 v19, -v44, v42, v19
	v_add_co_u32 v55, vcc_lo, s8, v55
	s_wait_alu 0xfffd
	v_add_co_ci_u32_e64 v56, null, s9, v56, vcc_lo
	v_lshlrev_b64_e32 v[57:58], 3, v[10:11]
	v_subrev_nc_u32_e32 v10, 17, v8
	global_load_b64 v[55:56], v[55:56], off
	v_add_co_u32 v57, vcc_lo, s10, v57
	s_wait_alu 0xfffd
	v_add_co_ci_u32_e64 v58, null, s11, v58, vcc_lo
	v_lshlrev_b64_e32 v[59:60], 3, v[10:11]
	v_add_nc_u32_e32 v10, -10, v8
	global_load_b64 v[57:58], v[57:58], off
	v_lshlrev_b64_e32 v[61:62], 3, v[10:11]
	v_add_nc_u32_e32 v10, -3, v8
	v_add_co_u32 v59, vcc_lo, s8, v59
	s_wait_alu 0xfffd
	v_add_co_ci_u32_e64 v60, null, s9, v60, vcc_lo
	s_delay_alu instid0(VALU_DEP_3) | instskip(SKIP_4) | instid1(VALU_DEP_3)
	v_lshlrev_b64_e32 v[63:64], 3, v[10:11]
	v_subrev_nc_u32_e32 v10, 23, v8
	v_add_co_u32 v61, vcc_lo, s8, v61
	s_wait_alu 0xfffd
	v_add_co_ci_u32_e64 v62, null, s9, v62, vcc_lo
	v_lshlrev_b64_e32 v[65:66], 3, v[10:11]
	v_add_nc_u32_e32 v10, 4, v12
	v_add_co_u32 v63, vcc_lo, s8, v63
	s_wait_alu 0xfffd
	v_add_co_ci_u32_e64 v64, null, s9, v64, vcc_lo
	s_delay_alu instid0(VALU_DEP_4)
	v_add_co_u32 v65, vcc_lo, s8, v65
	s_clause 0x2
	global_load_b64 v[59:60], v[59:60], off
	global_load_b64 v[61:62], v[61:62], off
	;; [unrolled: 1-line block ×3, first 2 shown]
	s_wait_alu 0xfffd
	v_add_co_ci_u32_e64 v66, null, s9, v66, vcc_lo
	global_load_b64 v[65:66], v[65:66], off
	s_wait_loadcnt 0xa
	v_fmac_f32_e32 v21, v45, v41
	v_lshlrev_b64_e32 v[67:68], 3, v[10:11]
	s_wait_loadcnt 0x9
	v_dual_fmac_f32 v15, v48, v41 :: v_dual_add_nc_u32 v10, -16, v8
	s_delay_alu instid0(VALU_DEP_3) | instskip(NEXT) | instid1(VALU_DEP_2)
	v_fma_f32 v21, -v46, v42, v21
	v_lshlrev_b64_e32 v[69:70], 3, v[10:11]
	s_delay_alu instid0(VALU_DEP_3) | instskip(SKIP_3) | instid1(VALU_DEP_3)
	v_dual_fmac_f32 v15, v47, v42 :: v_dual_add_nc_u32 v10, -9, v8
	v_add_co_u32 v67, vcc_lo, s10, v67
	s_wait_alu 0xfffd
	v_add_co_ci_u32_e64 v68, null, s11, v68, vcc_lo
	v_lshlrev_b64_e32 v[71:72], 3, v[10:11]
	s_wait_loadcnt 0x8
	v_dual_fmac_f32 v7, v23, v49 :: v_dual_add_nc_u32 v10, -2, v8
	v_add_co_u32 v69, vcc_lo, s8, v69
	s_wait_alu 0xfffd
	v_add_co_ci_u32_e64 v70, null, s9, v70, vcc_lo
	s_delay_alu instid0(VALU_DEP_3)
	v_lshlrev_b64_e32 v[73:74], 3, v[10:11]
	v_subrev_nc_u32_e32 v10, 22, v8
	v_add_co_u32 v71, vcc_lo, s8, v71
	s_wait_loadcnt 0x7
	v_fmac_f32_e32 v19, v51, v49
	v_fmac_f32_e32 v17, v52, v49
	v_lshlrev_b64_e32 v[75:76], 3, v[10:11]
	v_add_nc_u32_e32 v10, 5, v12
	s_wait_alu 0xfffd
	v_add_co_ci_u32_e64 v72, null, s9, v72, vcc_lo
	v_add_co_u32 v73, vcc_lo, s8, v73
	s_delay_alu instid0(VALU_DEP_3) | instskip(SKIP_4) | instid1(VALU_DEP_3)
	v_lshlrev_b64_e32 v[77:78], 3, v[10:11]
	v_dual_fmac_f32 v17, v51, v50 :: v_dual_add_nc_u32 v10, -15, v8
	s_wait_alu 0xfffd
	v_add_co_ci_u32_e64 v74, null, s9, v74, vcc_lo
	v_add_co_u32 v75, vcc_lo, s8, v75
	v_lshlrev_b64_e32 v[79:80], 3, v[10:11]
	v_add_nc_u32_e32 v10, -8, v8
	global_load_b64 v[67:68], v[67:68], off
	s_clause 0x2
	global_load_b64 v[69:70], v[69:70], off
	global_load_b64 v[71:72], v[71:72], off
	;; [unrolled: 1-line block ×3, first 2 shown]
	v_lshlrev_b64_e32 v[81:82], 3, v[10:11]
	s_wait_loadcnt 0xa
	v_dual_fmac_f32 v21, v53, v49 :: v_dual_add_nc_u32 v10, -1, v8
	s_wait_alu 0xfffd
	v_add_co_ci_u32_e64 v76, null, s9, v76, vcc_lo
	v_add_co_u32 v77, vcc_lo, s10, v77
	s_delay_alu instid0(VALU_DEP_3)
	v_lshlrev_b64_e32 v[83:84], 3, v[10:11]
	v_subrev_nc_u32_e32 v10, 21, v8
	s_wait_alu 0xfffd
	v_add_co_ci_u32_e64 v78, null, s11, v78, vcc_lo
	v_add_co_u32 v79, vcc_lo, s8, v79
	s_wait_alu 0xfffd
	v_add_co_ci_u32_e64 v80, null, s9, v80, vcc_lo
	v_lshlrev_b64_e32 v[85:86], 3, v[10:11]
	s_wait_loadcnt 0x9
	v_dual_fmac_f32 v15, v56, v49 :: v_dual_add_nc_u32 v10, 6, v12
	v_add_co_u32 v81, vcc_lo, s8, v81
	global_load_b64 v[77:78], v[77:78], off
	global_load_b64 v[79:80], v[79:80], off
	s_wait_alu 0xfffd
	v_add_co_ci_u32_e64 v82, null, s9, v82, vcc_lo
	v_add_co_u32 v12, vcc_lo, s8, v83
	s_wait_alu 0xfffd
	v_add_co_ci_u32_e64 v13, null, s9, v84, vcc_lo
	v_lshlrev_b64_e32 v[83:84], 3, v[10:11]
	global_load_b64 v[75:76], v[75:76], off
	v_add_co_u32 v85, vcc_lo, s8, v85
	s_wait_alu 0xfffd
	v_add_co_ci_u32_e64 v86, null, s9, v86, vcc_lo
	v_add_co_u32 v83, vcc_lo, s10, v83
	v_dual_fmac_f32 v15, v55, v50 :: v_dual_add_nc_u32 v10, -14, v8
	s_wait_alu 0xfffd
	v_add_co_ci_u32_e64 v84, null, s11, v84, vcc_lo
	v_fma_f32 v7, -v24, v50, v7
	s_delay_alu instid0(VALU_DEP_3)
	v_lshlrev_b64_e32 v[87:88], 3, v[10:11]
	v_add_nc_u32_e32 v10, -7, v8
	s_clause 0x1
	global_load_b64 v[12:13], v[12:13], off
	global_load_b64 v[85:86], v[85:86], off
	;; [unrolled: 1-line block ×3, first 2 shown]
	s_wait_loadcnt 0xe
	v_fmac_f32_e32 v7, v25, v57
	v_lshlrev_b64_e32 v[9:10], 3, v[10:11]
	global_load_b64 v[81:82], v[81:82], off
	v_add_co_u32 v87, vcc_lo, s8, v87
	s_wait_alu 0xfffd
	v_add_co_ci_u32_e64 v88, null, s9, v88, vcc_lo
	v_add_co_u32 v9, vcc_lo, s8, v9
	s_wait_alu 0xfffd
	v_add_co_ci_u32_e64 v10, null, s9, v10, vcc_lo
	s_clause 0x2
	global_load_b64 v[87:88], v[87:88], off
	global_load_b64 v[9:10], v[9:10], off
	;; [unrolled: 1-line block ×3, first 2 shown]
	s_wait_loadcnt 0xf
	v_dual_fmac_f32 v14, v27, v40 :: v_dual_fmac_f32 v15, v64, v57
	v_fma_f32 v19, -v52, v50, v19
	v_dual_fmac_f32 v17, v60, v57 :: v_dual_fmac_f32 v16, v34, v39
	v_add_nc_u32_e32 v8, 0xe0, v8
	v_fma_f32 v21, -v54, v50, v21
	v_fmac_f32_e32 v20, v35, v39
	v_fmac_f32_e32 v19, v59, v57
	v_fma_f32 v7, -v26, v58, v7
	v_dual_fmac_f32 v14, v30, v41 :: v_dual_fmac_f32 v17, v59, v58
	v_dual_fmac_f32 v16, v33, v40 :: v_dual_fmac_f32 v15, v63, v58
	s_delay_alu instid0(VALU_DEP_4) | instskip(SKIP_2) | instid1(VALU_DEP_4)
	v_fma_f32 v19, -v60, v58, v19
	v_fmac_f32_e32 v21, v61, v57
	v_fma_f32 v20, -v36, v40, v20
	v_fmac_f32_e32 v16, v46, v41
	v_cmp_ge_i32_e32 vcc_lo, v6, v18
	s_delay_alu instid0(VALU_DEP_4)
	v_fma_f32 v21, -v62, v58, v21
	s_wait_alu 0xfffe
	s_or_b32 s2, vcc_lo, s2
	s_wait_loadcnt 0xd
	v_fmac_f32_e32 v7, v65, v67
	s_wait_loadcnt 0xc
	v_dual_fmac_f32 v14, v29, v42 :: v_dual_fmac_f32 v17, v70, v67
	v_dual_fmac_f32 v20, v47, v41 :: v_dual_fmac_f32 v19, v69, v67
	s_wait_loadcnt 0xb
	v_dual_fmac_f32 v16, v45, v42 :: v_dual_fmac_f32 v21, v71, v67
	s_delay_alu instid0(VALU_DEP_3)
	v_dual_fmac_f32 v17, v69, v68 :: v_dual_fmac_f32 v14, v24, v49
	s_wait_loadcnt 0xa
	v_fmac_f32_e32 v15, v74, v67
	v_fma_f32 v7, -v66, v68, v7
	v_fma_f32 v20, -v48, v42, v20
	;; [unrolled: 1-line block ×3, first 2 shown]
	s_delay_alu instid0(VALU_DEP_4)
	v_dual_fmac_f32 v14, v23, v50 :: v_dual_fmac_f32 v15, v73, v68
	v_fma_f32 v21, -v72, v68, v21
	s_wait_loadcnt 0x8
	v_fmac_f32_e32 v17, v80, v77
	v_fmac_f32_e32 v16, v54, v49
	;; [unrolled: 1-line block ×3, first 2 shown]
	s_delay_alu instid0(VALU_DEP_3) | instskip(NEXT) | instid1(VALU_DEP_3)
	v_fmac_f32_e32 v17, v79, v78
	v_fmac_f32_e32 v16, v53, v50
	s_delay_alu instid0(VALU_DEP_3) | instskip(SKIP_2) | instid1(VALU_DEP_3)
	v_fma_f32 v22, -v80, v78, v19
	s_wait_loadcnt 0x7
	v_fmac_f32_e32 v7, v75, v77
	v_fmac_f32_e32 v16, v62, v57
	s_delay_alu instid0(VALU_DEP_2)
	v_fma_f32 v7, -v76, v78, v7
	v_fmac_f32_e32 v14, v26, v57
	s_wait_loadcnt 0x6
	v_fmac_f32_e32 v15, v13, v77
	s_wait_loadcnt 0x4
	v_dual_fmac_f32 v20, v55, v49 :: v_dual_fmac_f32 v7, v85, v83
	v_fmac_f32_e32 v14, v25, v58
	s_wait_loadcnt 0x3
	v_fmac_f32_e32 v21, v81, v77
	v_fmac_f32_e32 v15, v12, v78
	v_fma_f32 v20, -v56, v50, v20
	v_fmac_f32_e32 v14, v66, v67
	v_fma_f32 v19, -v86, v84, v7
	v_fma_f32 v21, -v82, v78, v21
	s_delay_alu instid0(VALU_DEP_4)
	v_fmac_f32_e32 v20, v63, v57
	s_wait_loadcnt 0x2
	v_dual_fmac_f32 v14, v65, v68 :: v_dual_fmac_f32 v17, v88, v83
	s_wait_loadcnt 0x1
	v_fmac_f32_e32 v21, v9, v83
	s_wait_loadcnt 0x0
	v_dual_fmac_f32 v16, v61, v58 :: v_dual_fmac_f32 v15, v38, v83
	v_fma_f32 v20, -v64, v58, v20
	v_dual_fmac_f32 v17, v87, v84 :: v_dual_fmac_f32 v14, v76, v77
	s_delay_alu instid0(VALU_DEP_3) | instskip(NEXT) | instid1(VALU_DEP_3)
	v_dual_fmac_f32 v16, v72, v67 :: v_dual_fmac_f32 v15, v37, v84
	v_fmac_f32_e32 v20, v73, v67
	v_fmac_f32_e32 v22, v87, v83
	s_delay_alu instid0(VALU_DEP_4) | instskip(SKIP_1) | instid1(VALU_DEP_4)
	v_fmac_f32_e32 v14, v75, v78
	v_fma_f32 v21, -v10, v84, v21
	v_fma_f32 v20, -v74, v68, v20
	s_delay_alu instid0(VALU_DEP_4) | instskip(NEXT) | instid1(VALU_DEP_4)
	v_fma_f32 v22, -v88, v84, v22
	v_fmac_f32_e32 v14, v86, v83
	s_delay_alu instid0(VALU_DEP_3) | instskip(NEXT) | instid1(VALU_DEP_2)
	v_fmac_f32_e32 v20, v12, v77
	v_fmac_f32_e32 v14, v85, v84
	s_delay_alu instid0(VALU_DEP_2) | instskip(NEXT) | instid1(VALU_DEP_1)
	v_fma_f32 v13, -v13, v78, v20
	v_dual_fmac_f32 v16, v71, v68 :: v_dual_fmac_f32 v13, v37, v83
	s_delay_alu instid0(VALU_DEP_1) | instskip(NEXT) | instid1(VALU_DEP_2)
	v_fmac_f32_e32 v16, v82, v77
	v_fma_f32 v20, -v38, v84, v13
	s_delay_alu instid0(VALU_DEP_2) | instskip(NEXT) | instid1(VALU_DEP_1)
	v_fmac_f32_e32 v16, v81, v78
	v_fmac_f32_e32 v16, v10, v83
	s_delay_alu instid0(VALU_DEP_1)
	v_fmac_f32_e32 v16, v9, v84
	s_wait_alu 0xfffe
	s_and_not1_b32 exec_lo, exec_lo, s2
	s_cbranch_execnz .LBB100_13
; %bb.14:
	s_or_b32 exec_lo, exec_lo, s2
.LBB100_15:
	s_wait_alu 0xfffe
	s_or_b32 exec_lo, exec_lo, s3
.LBB100_16:
	v_mbcnt_lo_u32_b32 v6, -1, 0
	s_delay_alu instid0(VALU_DEP_1) | instskip(SKIP_1) | instid1(VALU_DEP_2)
	v_xor_b32_e32 v7, 4, v6
	v_xor_b32_e32 v23, 2, v6
	v_cmp_gt_i32_e32 vcc_lo, 32, v7
	s_wait_alu 0xfffd
	v_cndmask_b32_e32 v7, v6, v7, vcc_lo
	s_delay_alu instid0(VALU_DEP_3) | instskip(NEXT) | instid1(VALU_DEP_2)
	v_cmp_gt_i32_e32 vcc_lo, 32, v23
	v_lshlrev_b32_e32 v7, 2, v7
	ds_bpermute_b32 v9, v7, v14
	ds_bpermute_b32 v10, v7, v22
	s_wait_dscnt 0x1
	v_add_f32_e32 v9, v14, v9
	s_wait_dscnt 0x0
	v_add_f32_e32 v14, v22, v10
	ds_bpermute_b32 v12, v7, v21
	ds_bpermute_b32 v13, v7, v16
	;; [unrolled: 1-line block ×3, first 2 shown]
	s_wait_alu 0xfffd
	v_cndmask_b32_e32 v23, v6, v23, vcc_lo
	ds_bpermute_b32 v8, v7, v19
	ds_bpermute_b32 v11, v7, v17
	;; [unrolled: 1-line block ×3, first 2 shown]
	s_wait_dscnt 0x5
	v_dual_add_f32 v12, v21, v12 :: v_dual_lshlrev_b32 v23, 2, v23
	s_wait_dscnt 0x4
	v_add_f32_e32 v16, v16, v13
	s_wait_dscnt 0x3
	v_add_f32_e32 v18, v20, v18
	s_wait_dscnt 0x1
	v_dual_add_f32 v8, v19, v8 :: v_dual_add_f32 v17, v17, v11
	ds_bpermute_b32 v10, v23, v9
	s_wait_dscnt 0x1
	v_add_f32_e32 v19, v15, v7
	ds_bpermute_b32 v11, v23, v14
	ds_bpermute_b32 v7, v23, v8
	;; [unrolled: 1-line block ×6, first 2 shown]
	s_wait_dscnt 0x6
	v_add_f32_e32 v10, v9, v10
	ds_bpermute_b32 v22, v23, v19
	v_xor_b32_e32 v23, 1, v6
	s_wait_dscnt 0x6
	v_add_f32_e32 v11, v14, v11
	s_wait_dscnt 0x3
	v_dual_add_f32 v13, v17, v13 :: v_dual_add_f32 v14, v12, v15
	s_wait_dscnt 0x2
	v_add_f32_e32 v15, v16, v20
	v_cmp_gt_i32_e32 vcc_lo, 32, v23
	s_wait_alu 0xfffd
	v_cndmask_b32_e32 v6, v6, v23, vcc_lo
	v_cmp_eq_u32_e32 vcc_lo, 7, v0
	s_delay_alu instid0(VALU_DEP_2)
	v_dual_add_f32 v6, v8, v7 :: v_dual_lshlrev_b32 v23, 2, v6
	s_wait_dscnt 0x1
	v_add_f32_e32 v7, v18, v21
	s_wait_dscnt 0x0
	v_add_f32_e32 v9, v19, v22
	ds_bpermute_b32 v12, v23, v10
	ds_bpermute_b32 v8, v23, v6
	;; [unrolled: 1-line block ×8, first 2 shown]
	s_and_b32 exec_lo, exec_lo, vcc_lo
	s_cbranch_execz .LBB100_21
; %bb.17:
	s_load_b64 s[2:3], s[0:1], 0x38
	v_cmp_eq_f32_e32 vcc_lo, 0, v3
	v_cmp_eq_f32_e64 s0, 0, v4
	s_wait_dscnt 0x6
	v_add_f32_e32 v8, v6, v8
	s_wait_dscnt 0x0
	v_dual_add_f32 v12, v10, v12 :: v_dual_add_f32 v9, v9, v17
	v_dual_add_f32 v0, v11, v18 :: v_dual_add_f32 v11, v13, v19
	v_add_f32_e32 v6, v14, v20
	v_add_f32_e32 v10, v15, v21
	;; [unrolled: 1-line block ×3, first 2 shown]
	s_and_b32 s0, vcc_lo, s0
	s_wait_alu 0xfffe
	s_and_saveexec_b32 s1, s0
	s_wait_alu 0xfffe
	s_xor_b32 s0, exec_lo, s1
	s_cbranch_execz .LBB100_19
; %bb.18:
	v_dual_mul_f32 v14, v1, v12 :: v_dual_lshlrev_b32 v3, 2, v5
	v_mul_f32_e64 v13, v12, -v2
	v_mul_f32_e64 v15, v11, -v2
	v_mul_f32_e32 v16, v1, v11
	s_delay_alu instid0(VALU_DEP_4)
	v_ashrrev_i32_e32 v4, 31, v3
	v_mul_f32_e64 v17, v10, -v2
	v_mul_f32_e32 v18, v1, v10
	v_mul_f32_e64 v19, v9, -v2
	v_mul_f32_e32 v20, v1, v9
	v_lshlrev_b64_e32 v[3:4], 3, v[3:4]
	s_delay_alu instid0(VALU_DEP_4) | instskip(SKIP_1) | instid1(VALU_DEP_4)
	v_dual_fmac_f32 v13, v1, v8 :: v_dual_fmac_f32 v18, v2, v6
	v_dual_fmac_f32 v14, v2, v8 :: v_dual_fmac_f32 v17, v1, v6
	;; [unrolled: 1-line block ×3, first 2 shown]
	s_wait_kmcnt 0x0
	s_delay_alu instid0(VALU_DEP_4)
	v_add_co_u32 v3, vcc_lo, s2, v3
	s_wait_alu 0xfffd
	v_add_co_ci_u32_e64 v4, null, s3, v4, vcc_lo
	v_dual_fmac_f32 v16, v2, v0 :: v_dual_fmac_f32 v19, v1, v7
	s_clause 0x1
	global_store_b128 v[3:4], v[13:16], off
	global_store_b128 v[3:4], v[17:20], off offset:16
                                        ; implicit-def: $vgpr5
                                        ; implicit-def: $vgpr8
                                        ; implicit-def: $vgpr12
                                        ; implicit-def: $vgpr0
                                        ; implicit-def: $vgpr11
                                        ; implicit-def: $vgpr6
                                        ; implicit-def: $vgpr10
                                        ; implicit-def: $vgpr7
                                        ; implicit-def: $vgpr9
                                        ; implicit-def: $vgpr1_vgpr2
                                        ; implicit-def: $vgpr3_vgpr4
.LBB100_19:
	s_wait_alu 0xfffe
	s_and_not1_saveexec_b32 s0, s0
	s_cbranch_execz .LBB100_21
; %bb.20:
	v_dual_mul_f32 v22, v1, v12 :: v_dual_lshlrev_b32 v13, 2, v5
	v_mul_f32_e64 v5, v12, -v2
	v_mul_f32_e64 v23, v11, -v2
	;; [unrolled: 1-line block ×3, first 2 shown]
	s_delay_alu instid0(VALU_DEP_4) | instskip(NEXT) | instid1(VALU_DEP_4)
	v_ashrrev_i32_e32 v14, 31, v13
	v_fmac_f32_e32 v5, v1, v8
	s_delay_alu instid0(VALU_DEP_2) | instskip(SKIP_1) | instid1(VALU_DEP_1)
	v_lshlrev_b64_e32 v[13:14], 3, v[13:14]
	s_wait_kmcnt 0x0
	v_add_co_u32 v25, vcc_lo, s2, v13
	s_wait_alu 0xfffd
	s_delay_alu instid0(VALU_DEP_2)
	v_add_co_ci_u32_e64 v26, null, s3, v14, vcc_lo
	s_clause 0x1
	global_load_b128 v[13:16], v[25:26], off
	global_load_b128 v[17:20], v[25:26], off offset:16
	v_mul_f32_e32 v24, v1, v11
	v_mul_f32_e64 v11, v10, -v2
	s_delay_alu instid0(VALU_DEP_1) | instskip(SKIP_1) | instid1(VALU_DEP_1)
	v_dual_fmac_f32 v22, v2, v8 :: v_dual_fmac_f32 v11, v1, v6
	s_wait_loadcnt 0x1
	v_dual_fmac_f32 v27, v1, v7 :: v_dual_fmac_f32 v22, v4, v13
	s_wait_loadcnt 0x0
	s_delay_alu instid0(VALU_DEP_1) | instskip(SKIP_3) | instid1(VALU_DEP_4)
	v_dual_mul_f32 v12, v1, v9 :: v_dual_fmac_f32 v27, v3, v19
	v_fmac_f32_e32 v23, v1, v0
	v_fmac_f32_e32 v11, v3, v17
	;; [unrolled: 1-line block ×4, first 2 shown]
	s_delay_alu instid0(VALU_DEP_4) | instskip(NEXT) | instid1(VALU_DEP_4)
	v_dual_mul_f32 v10, v1, v10 :: v_dual_fmac_f32 v23, v3, v15
	v_fma_f32 v9, -v4, v18, v11
	v_fma_f32 v11, -v4, v20, v27
	s_delay_alu instid0(VALU_DEP_4) | instskip(NEXT) | instid1(VALU_DEP_4)
	v_fmac_f32_e32 v12, v4, v19
	v_dual_fmac_f32 v10, v2, v6 :: v_dual_fmac_f32 v5, v3, v13
	v_fmac_f32_e32 v24, v2, v0
	v_fma_f32 v23, -v4, v16, v23
	s_delay_alu instid0(VALU_DEP_4) | instskip(NEXT) | instid1(VALU_DEP_4)
	v_fmac_f32_e32 v12, v3, v20
	v_fmac_f32_e32 v10, v4, v17
	v_fma_f32 v21, -v4, v14, v5
	v_fmac_f32_e32 v24, v4, v15
	s_delay_alu instid0(VALU_DEP_3) | instskip(NEXT) | instid1(VALU_DEP_2)
	v_fmac_f32_e32 v10, v3, v18
	v_fmac_f32_e32 v24, v3, v16
	s_clause 0x1
	global_store_b128 v[25:26], v[21:24], off
	global_store_b128 v[25:26], v[9:12], off offset:16
.LBB100_21:
	s_endpgm
	.section	.rodata,"a",@progbits
	.p2align	6, 0x0
	.amdhsa_kernel _ZN9rocsparseL19gebsrmvn_4xn_kernelILj128ELj7ELj8E21rocsparse_complex_numIfEEEvi20rocsparse_direction_NS_24const_host_device_scalarIT2_EEPKiS8_PKS5_SA_S6_PS5_21rocsparse_index_base_b
		.amdhsa_group_segment_fixed_size 0
		.amdhsa_private_segment_fixed_size 0
		.amdhsa_kernarg_size 72
		.amdhsa_user_sgpr_count 2
		.amdhsa_user_sgpr_dispatch_ptr 0
		.amdhsa_user_sgpr_queue_ptr 0
		.amdhsa_user_sgpr_kernarg_segment_ptr 1
		.amdhsa_user_sgpr_dispatch_id 0
		.amdhsa_user_sgpr_private_segment_size 0
		.amdhsa_wavefront_size32 1
		.amdhsa_uses_dynamic_stack 0
		.amdhsa_enable_private_segment 0
		.amdhsa_system_sgpr_workgroup_id_x 1
		.amdhsa_system_sgpr_workgroup_id_y 0
		.amdhsa_system_sgpr_workgroup_id_z 0
		.amdhsa_system_sgpr_workgroup_info 0
		.amdhsa_system_vgpr_workitem_id 0
		.amdhsa_next_free_vgpr 89
		.amdhsa_next_free_sgpr 14
		.amdhsa_reserve_vcc 1
		.amdhsa_float_round_mode_32 0
		.amdhsa_float_round_mode_16_64 0
		.amdhsa_float_denorm_mode_32 3
		.amdhsa_float_denorm_mode_16_64 3
		.amdhsa_fp16_overflow 0
		.amdhsa_workgroup_processor_mode 1
		.amdhsa_memory_ordered 1
		.amdhsa_forward_progress 1
		.amdhsa_inst_pref_size 41
		.amdhsa_round_robin_scheduling 0
		.amdhsa_exception_fp_ieee_invalid_op 0
		.amdhsa_exception_fp_denorm_src 0
		.amdhsa_exception_fp_ieee_div_zero 0
		.amdhsa_exception_fp_ieee_overflow 0
		.amdhsa_exception_fp_ieee_underflow 0
		.amdhsa_exception_fp_ieee_inexact 0
		.amdhsa_exception_int_div_zero 0
	.end_amdhsa_kernel
	.section	.text._ZN9rocsparseL19gebsrmvn_4xn_kernelILj128ELj7ELj8E21rocsparse_complex_numIfEEEvi20rocsparse_direction_NS_24const_host_device_scalarIT2_EEPKiS8_PKS5_SA_S6_PS5_21rocsparse_index_base_b,"axG",@progbits,_ZN9rocsparseL19gebsrmvn_4xn_kernelILj128ELj7ELj8E21rocsparse_complex_numIfEEEvi20rocsparse_direction_NS_24const_host_device_scalarIT2_EEPKiS8_PKS5_SA_S6_PS5_21rocsparse_index_base_b,comdat
.Lfunc_end100:
	.size	_ZN9rocsparseL19gebsrmvn_4xn_kernelILj128ELj7ELj8E21rocsparse_complex_numIfEEEvi20rocsparse_direction_NS_24const_host_device_scalarIT2_EEPKiS8_PKS5_SA_S6_PS5_21rocsparse_index_base_b, .Lfunc_end100-_ZN9rocsparseL19gebsrmvn_4xn_kernelILj128ELj7ELj8E21rocsparse_complex_numIfEEEvi20rocsparse_direction_NS_24const_host_device_scalarIT2_EEPKiS8_PKS5_SA_S6_PS5_21rocsparse_index_base_b
                                        ; -- End function
	.set _ZN9rocsparseL19gebsrmvn_4xn_kernelILj128ELj7ELj8E21rocsparse_complex_numIfEEEvi20rocsparse_direction_NS_24const_host_device_scalarIT2_EEPKiS8_PKS5_SA_S6_PS5_21rocsparse_index_base_b.num_vgpr, 89
	.set _ZN9rocsparseL19gebsrmvn_4xn_kernelILj128ELj7ELj8E21rocsparse_complex_numIfEEEvi20rocsparse_direction_NS_24const_host_device_scalarIT2_EEPKiS8_PKS5_SA_S6_PS5_21rocsparse_index_base_b.num_agpr, 0
	.set _ZN9rocsparseL19gebsrmvn_4xn_kernelILj128ELj7ELj8E21rocsparse_complex_numIfEEEvi20rocsparse_direction_NS_24const_host_device_scalarIT2_EEPKiS8_PKS5_SA_S6_PS5_21rocsparse_index_base_b.numbered_sgpr, 14
	.set _ZN9rocsparseL19gebsrmvn_4xn_kernelILj128ELj7ELj8E21rocsparse_complex_numIfEEEvi20rocsparse_direction_NS_24const_host_device_scalarIT2_EEPKiS8_PKS5_SA_S6_PS5_21rocsparse_index_base_b.num_named_barrier, 0
	.set _ZN9rocsparseL19gebsrmvn_4xn_kernelILj128ELj7ELj8E21rocsparse_complex_numIfEEEvi20rocsparse_direction_NS_24const_host_device_scalarIT2_EEPKiS8_PKS5_SA_S6_PS5_21rocsparse_index_base_b.private_seg_size, 0
	.set _ZN9rocsparseL19gebsrmvn_4xn_kernelILj128ELj7ELj8E21rocsparse_complex_numIfEEEvi20rocsparse_direction_NS_24const_host_device_scalarIT2_EEPKiS8_PKS5_SA_S6_PS5_21rocsparse_index_base_b.uses_vcc, 1
	.set _ZN9rocsparseL19gebsrmvn_4xn_kernelILj128ELj7ELj8E21rocsparse_complex_numIfEEEvi20rocsparse_direction_NS_24const_host_device_scalarIT2_EEPKiS8_PKS5_SA_S6_PS5_21rocsparse_index_base_b.uses_flat_scratch, 0
	.set _ZN9rocsparseL19gebsrmvn_4xn_kernelILj128ELj7ELj8E21rocsparse_complex_numIfEEEvi20rocsparse_direction_NS_24const_host_device_scalarIT2_EEPKiS8_PKS5_SA_S6_PS5_21rocsparse_index_base_b.has_dyn_sized_stack, 0
	.set _ZN9rocsparseL19gebsrmvn_4xn_kernelILj128ELj7ELj8E21rocsparse_complex_numIfEEEvi20rocsparse_direction_NS_24const_host_device_scalarIT2_EEPKiS8_PKS5_SA_S6_PS5_21rocsparse_index_base_b.has_recursion, 0
	.set _ZN9rocsparseL19gebsrmvn_4xn_kernelILj128ELj7ELj8E21rocsparse_complex_numIfEEEvi20rocsparse_direction_NS_24const_host_device_scalarIT2_EEPKiS8_PKS5_SA_S6_PS5_21rocsparse_index_base_b.has_indirect_call, 0
	.section	.AMDGPU.csdata,"",@progbits
; Kernel info:
; codeLenInByte = 5124
; TotalNumSgprs: 16
; NumVgprs: 89
; ScratchSize: 0
; MemoryBound: 0
; FloatMode: 240
; IeeeMode: 1
; LDSByteSize: 0 bytes/workgroup (compile time only)
; SGPRBlocks: 0
; VGPRBlocks: 11
; NumSGPRsForWavesPerEU: 16
; NumVGPRsForWavesPerEU: 89
; Occupancy: 16
; WaveLimiterHint : 1
; COMPUTE_PGM_RSRC2:SCRATCH_EN: 0
; COMPUTE_PGM_RSRC2:USER_SGPR: 2
; COMPUTE_PGM_RSRC2:TRAP_HANDLER: 0
; COMPUTE_PGM_RSRC2:TGID_X_EN: 1
; COMPUTE_PGM_RSRC2:TGID_Y_EN: 0
; COMPUTE_PGM_RSRC2:TGID_Z_EN: 0
; COMPUTE_PGM_RSRC2:TIDIG_COMP_CNT: 0
	.section	.text._ZN9rocsparseL19gebsrmvn_4xn_kernelILj128ELj7ELj16E21rocsparse_complex_numIfEEEvi20rocsparse_direction_NS_24const_host_device_scalarIT2_EEPKiS8_PKS5_SA_S6_PS5_21rocsparse_index_base_b,"axG",@progbits,_ZN9rocsparseL19gebsrmvn_4xn_kernelILj128ELj7ELj16E21rocsparse_complex_numIfEEEvi20rocsparse_direction_NS_24const_host_device_scalarIT2_EEPKiS8_PKS5_SA_S6_PS5_21rocsparse_index_base_b,comdat
	.globl	_ZN9rocsparseL19gebsrmvn_4xn_kernelILj128ELj7ELj16E21rocsparse_complex_numIfEEEvi20rocsparse_direction_NS_24const_host_device_scalarIT2_EEPKiS8_PKS5_SA_S6_PS5_21rocsparse_index_base_b ; -- Begin function _ZN9rocsparseL19gebsrmvn_4xn_kernelILj128ELj7ELj16E21rocsparse_complex_numIfEEEvi20rocsparse_direction_NS_24const_host_device_scalarIT2_EEPKiS8_PKS5_SA_S6_PS5_21rocsparse_index_base_b
	.p2align	8
	.type	_ZN9rocsparseL19gebsrmvn_4xn_kernelILj128ELj7ELj16E21rocsparse_complex_numIfEEEvi20rocsparse_direction_NS_24const_host_device_scalarIT2_EEPKiS8_PKS5_SA_S6_PS5_21rocsparse_index_base_b,@function
_ZN9rocsparseL19gebsrmvn_4xn_kernelILj128ELj7ELj16E21rocsparse_complex_numIfEEEvi20rocsparse_direction_NS_24const_host_device_scalarIT2_EEPKiS8_PKS5_SA_S6_PS5_21rocsparse_index_base_b: ; @_ZN9rocsparseL19gebsrmvn_4xn_kernelILj128ELj7ELj16E21rocsparse_complex_numIfEEEvi20rocsparse_direction_NS_24const_host_device_scalarIT2_EEPKiS8_PKS5_SA_S6_PS5_21rocsparse_index_base_b
; %bb.0:
	s_clause 0x2
	s_load_b64 s[12:13], s[0:1], 0x40
	s_load_b64 s[2:3], s[0:1], 0x8
	s_load_b64 s[4:5], s[0:1], 0x30
	s_add_nc_u64 s[6:7], s[0:1], 8
	s_wait_kmcnt 0x0
	s_bitcmp1_b32 s13, 0
	s_cselect_b32 s2, s6, s2
	s_cselect_b32 s3, s7, s3
	s_delay_alu instid0(SALU_CYCLE_1)
	v_dual_mov_b32 v1, s2 :: v_dual_mov_b32 v2, s3
	s_add_nc_u64 s[2:3], s[0:1], 48
	s_wait_alu 0xfffe
	s_cselect_b32 s2, s2, s4
	s_cselect_b32 s3, s3, s5
	flat_load_b64 v[1:2], v[1:2]
	s_wait_alu 0xfffe
	v_dual_mov_b32 v3, s2 :: v_dual_mov_b32 v4, s3
	flat_load_b64 v[3:4], v[3:4]
	s_wait_loadcnt_dscnt 0x101
	v_cmp_eq_f32_e32 vcc_lo, 0, v1
	v_cmp_eq_f32_e64 s2, 0, v2
	s_and_b32 s4, vcc_lo, s2
	s_mov_b32 s2, -1
	s_and_saveexec_b32 s3, s4
	s_cbranch_execz .LBB101_2
; %bb.1:
	s_wait_loadcnt_dscnt 0x0
	v_cmp_neq_f32_e32 vcc_lo, 1.0, v3
	v_cmp_neq_f32_e64 s2, 0, v4
	s_wait_alu 0xfffe
	s_or_b32 s2, vcc_lo, s2
	s_wait_alu 0xfffe
	s_or_not1_b32 s2, s2, exec_lo
.LBB101_2:
	s_wait_alu 0xfffe
	s_or_b32 exec_lo, exec_lo, s3
	s_and_saveexec_b32 s3, s2
	s_cbranch_execz .LBB101_21
; %bb.3:
	s_load_b64 s[2:3], s[0:1], 0x0
	v_lshrrev_b32_e32 v5, 4, v0
	s_delay_alu instid0(VALU_DEP_1) | instskip(SKIP_1) | instid1(VALU_DEP_1)
	v_lshl_or_b32 v5, ttmp9, 3, v5
	s_wait_kmcnt 0x0
	v_cmp_gt_i32_e32 vcc_lo, s2, v5
	s_and_b32 exec_lo, exec_lo, vcc_lo
	s_cbranch_execz .LBB101_21
; %bb.4:
	s_load_b256 s[4:11], s[0:1], 0x10
	v_ashrrev_i32_e32 v6, 31, v5
	v_and_b32_e32 v0, 15, v0
	s_cmp_lg_u32 s3, 0
	s_delay_alu instid0(VALU_DEP_2) | instskip(SKIP_1) | instid1(VALU_DEP_1)
	v_lshlrev_b64_e32 v[6:7], 2, v[5:6]
	s_wait_kmcnt 0x0
	v_add_co_u32 v6, vcc_lo, s4, v6
	s_delay_alu instid0(VALU_DEP_1) | instskip(SKIP_4) | instid1(VALU_DEP_2)
	v_add_co_ci_u32_e64 v7, null, s5, v7, vcc_lo
	global_load_b64 v[6:7], v[6:7], off
	s_wait_loadcnt 0x0
	v_subrev_nc_u32_e32 v6, s12, v6
	v_subrev_nc_u32_e32 v18, s12, v7
	v_add_nc_u32_e32 v6, v6, v0
	s_delay_alu instid0(VALU_DEP_1)
	v_cmp_lt_i32_e64 s2, v6, v18
	s_cbranch_scc0 .LBB101_10
; %bb.5:
	v_dual_mov_b32 v14, 0 :: v_dual_mov_b32 v19, 0
	v_dual_mov_b32 v20, 0 :: v_dual_mov_b32 v15, 0
	;; [unrolled: 1-line block ×4, first 2 shown]
	s_and_saveexec_b32 s3, s2
	s_cbranch_execz .LBB101_9
; %bb.6:
	v_mad_co_u64_u32 v[7:8], null, v6, 28, 24
	v_dual_mov_b32 v10, 0 :: v_dual_mov_b32 v11, v6
	v_dual_mov_b32 v14, 0 :: v_dual_mov_b32 v19, 0
	;; [unrolled: 1-line block ×5, first 2 shown]
	s_mov_b32 s4, 0
.LBB101_7:                              ; =>This Inner Loop Header: Depth=1
	v_ashrrev_i32_e32 v12, 31, v11
	v_mov_b32_e32 v13, v10
	s_delay_alu instid0(VALU_DEP_2) | instskip(NEXT) | instid1(VALU_DEP_1)
	v_lshlrev_b64_e32 v[8:9], 2, v[11:12]
	v_add_co_u32 v8, vcc_lo, s6, v8
	s_wait_alu 0xfffd
	s_delay_alu instid0(VALU_DEP_2) | instskip(SKIP_3) | instid1(VALU_DEP_2)
	v_add_co_ci_u32_e64 v9, null, s7, v9, vcc_lo
	global_load_b32 v12, v[8:9], off
	v_subrev_nc_u32_e32 v9, 24, v7
	v_mov_b32_e32 v8, v10
	v_lshlrev_b64_e32 v[23:24], 3, v[9:10]
	v_subrev_nc_u32_e32 v9, 20, v7
	s_delay_alu instid0(VALU_DEP_3) | instskip(NEXT) | instid1(VALU_DEP_2)
	v_lshlrev_b64_e32 v[25:26], 3, v[7:8]
	v_lshlrev_b64_e32 v[8:9], 3, v[9:10]
	s_delay_alu instid0(VALU_DEP_4) | instskip(SKIP_2) | instid1(VALU_DEP_4)
	v_add_co_u32 v27, vcc_lo, s8, v23
	s_wait_alu 0xfffd
	v_add_co_ci_u32_e64 v28, null, s9, v24, vcc_lo
	v_add_co_u32 v35, vcc_lo, s8, v25
	s_wait_alu 0xfffd
	v_add_co_ci_u32_e64 v36, null, s9, v26, vcc_lo
	;; [unrolled: 3-line block ×3, first 2 shown]
	s_clause 0x5
	global_load_b128 v[23:26], v[27:28], off offset:16
	global_load_b128 v[27:30], v[27:28], off
	global_load_b128 v[31:34], v[35:36], off offset:16
	global_load_b128 v[35:38], v[35:36], off
	;; [unrolled: 2-line block ×3, first 2 shown]
	s_wait_loadcnt 0x6
	v_subrev_nc_u32_e32 v8, s12, v12
	s_delay_alu instid0(VALU_DEP_1) | instskip(NEXT) | instid1(VALU_DEP_1)
	v_mul_lo_u32 v12, v8, 7
	v_lshlrev_b64_e32 v[47:48], 3, v[12:13]
	s_delay_alu instid0(VALU_DEP_1) | instskip(SKIP_1) | instid1(VALU_DEP_2)
	v_add_co_u32 v47, vcc_lo, s10, v47
	s_wait_alu 0xfffd
	v_add_co_ci_u32_e64 v48, null, s11, v48, vcc_lo
	global_load_b64 v[79:80], v[47:48], off
	s_wait_loadcnt 0x0
	v_dual_fmac_f32 v14, v28, v79 :: v_dual_add_nc_u32 v9, 1, v12
	s_delay_alu instid0(VALU_DEP_1)
	v_lshlrev_b64_e32 v[49:50], 3, v[9:10]
	v_add_nc_u32_e32 v9, -16, v7
	v_fmac_f32_e32 v16, v24, v79
	v_fmac_f32_e32 v22, v29, v79
	;; [unrolled: 1-line block ×4, first 2 shown]
	v_add_co_u32 v47, vcc_lo, s10, v49
	s_wait_alu 0xfffd
	v_add_co_ci_u32_e64 v48, null, s11, v50, vcc_lo
	v_lshlrev_b64_e32 v[51:52], 3, v[9:10]
	v_add_nc_u32_e32 v9, 2, v12
	v_fmac_f32_e32 v16, v23, v80
	global_load_b64 v[81:82], v[47:48], off
	v_fma_f32 v22, -v30, v80, v22
	v_fma_f32 v20, -v26, v80, v20
	v_lshlrev_b64_e32 v[49:50], 3, v[9:10]
	v_add_nc_u32_e32 v9, -12, v7
	v_add_co_u32 v51, vcc_lo, s8, v51
	s_wait_alu 0xfffd
	v_add_co_ci_u32_e64 v52, null, s9, v52, vcc_lo
	s_delay_alu instid0(VALU_DEP_3) | instskip(SKIP_4) | instid1(VALU_DEP_3)
	v_lshlrev_b64_e32 v[55:56], 3, v[9:10]
	v_add_nc_u32_e32 v9, 3, v12
	v_add_co_u32 v57, vcc_lo, s10, v49
	s_wait_alu 0xfffd
	v_add_co_ci_u32_e64 v58, null, s11, v50, vcc_lo
	v_lshlrev_b64_e32 v[59:60], 3, v[9:10]
	s_clause 0x1
	global_load_b128 v[47:50], v[51:52], off offset:16
	global_load_b128 v[51:54], v[51:52], off
	v_add_co_u32 v61, vcc_lo, s8, v55
	global_load_b64 v[83:84], v[57:58], off
	s_wait_alu 0xfffd
	v_add_co_ci_u32_e64 v62, null, s9, v56, vcc_lo
	v_add_co_u32 v65, vcc_lo, s10, v59
	s_wait_alu 0xfffd
	v_add_co_ci_u32_e64 v66, null, s11, v60, vcc_lo
	s_clause 0x1
	global_load_b128 v[55:58], v[61:62], off offset:16
	global_load_b128 v[59:62], v[61:62], off
	v_add_nc_u32_e32 v9, -8, v7
	global_load_b64 v[85:86], v[65:66], off
	s_wait_loadcnt 0x6
	v_fmac_f32_e32 v14, v44, v81
	v_lshlrev_b64_e32 v[63:64], 3, v[9:10]
	v_dual_fmac_f32 v22, v45, v81 :: v_dual_add_nc_u32 v9, 4, v12
	v_dual_fmac_f32 v16, v40, v81 :: v_dual_add_nc_u32 v11, 16, v11
	v_fmac_f32_e32 v20, v41, v81
	s_delay_alu instid0(VALU_DEP_3) | instskip(SKIP_4) | instid1(VALU_DEP_4)
	v_lshlrev_b64_e32 v[67:68], 3, v[9:10]
	v_add_nc_u32_e32 v9, -4, v7
	v_add_co_u32 v69, vcc_lo, s8, v63
	s_wait_alu 0xfffd
	v_add_co_ci_u32_e64 v70, null, s9, v64, vcc_lo
	v_add_co_u32 v73, vcc_lo, s10, v67
	v_lshlrev_b64_e32 v[71:72], 3, v[9:10]
	v_add_nc_u32_e32 v9, 5, v12
	s_wait_alu 0xfffd
	v_add_co_ci_u32_e64 v74, null, s11, v68, vcc_lo
	s_clause 0x1
	global_load_b128 v[63:66], v[69:70], off offset:16
	global_load_b128 v[67:70], v[69:70], off
	v_fmac_f32_e32 v14, v43, v82
	v_lshlrev_b64_e32 v[75:76], 3, v[9:10]
	v_add_nc_u32_e32 v9, 6, v12
	global_load_b64 v[12:13], v[73:74], off
	v_add_co_u32 v77, vcc_lo, s8, v71
	s_wait_alu 0xfffd
	v_add_co_ci_u32_e64 v78, null, s9, v72, vcc_lo
	v_add_co_u32 v87, vcc_lo, s10, v75
	s_wait_alu 0xfffd
	v_add_co_ci_u32_e64 v88, null, s11, v76, vcc_lo
	s_clause 0x1
	global_load_b128 v[71:74], v[77:78], off offset:16
	global_load_b128 v[75:78], v[77:78], off
	global_load_b64 v[87:88], v[87:88], off
	v_lshlrev_b64_e32 v[8:9], 3, v[9:10]
	v_fmac_f32_e32 v16, v39, v82
	s_wait_loadcnt 0x9
	v_fmac_f32_e32 v14, v52, v83
	v_add_nc_u32_e32 v7, 0x1c0, v7
	v_fma_f32 v22, -v46, v82, v22
	v_fma_f32 v20, -v42, v82, v20
	v_add_co_u32 v8, vcc_lo, s10, v8
	s_wait_alu 0xfffd
	v_add_co_ci_u32_e64 v9, null, s11, v9, vcc_lo
	v_fmac_f32_e32 v16, v48, v83
	v_dual_fmac_f32 v17, v30, v79 :: v_dual_fmac_f32 v14, v51, v84
	global_load_b64 v[8:9], v[8:9], off
	v_fmac_f32_e32 v19, v27, v79
	v_dual_fmac_f32 v16, v47, v84 :: v_dual_fmac_f32 v15, v26, v79
	s_wait_loadcnt 0x7
	v_fmac_f32_e32 v14, v60, v85
	v_fmac_f32_e32 v22, v53, v83
	v_fma_f32 v19, -v28, v80, v19
	v_dual_fmac_f32 v16, v56, v85 :: v_dual_fmac_f32 v15, v25, v80
	v_fmac_f32_e32 v17, v29, v80
	s_delay_alu instid0(VALU_DEP_4) | instskip(NEXT) | instid1(VALU_DEP_4)
	v_fma_f32 v22, -v54, v84, v22
	v_fmac_f32_e32 v19, v43, v81
	v_fmac_f32_e32 v21, v23, v79
	s_delay_alu instid0(VALU_DEP_4) | instskip(NEXT) | instid1(VALU_DEP_4)
	v_dual_fmac_f32 v20, v49, v83 :: v_dual_fmac_f32 v17, v46, v81
	v_fmac_f32_e32 v22, v61, v85
	v_dual_fmac_f32 v15, v42, v81 :: v_dual_fmac_f32 v14, v59, v86
	s_delay_alu instid0(VALU_DEP_4)
	v_fma_f32 v21, -v24, v80, v21
	v_fma_f32 v19, -v44, v82, v19
	;; [unrolled: 1-line block ×4, first 2 shown]
	v_cmp_ge_i32_e32 vcc_lo, v11, v18
	v_fmac_f32_e32 v21, v39, v81
	s_delay_alu instid0(VALU_DEP_4)
	v_dual_fmac_f32 v19, v51, v83 :: v_dual_fmac_f32 v20, v57, v85
	v_fmac_f32_e32 v16, v55, v86
	v_fmac_f32_e32 v17, v45, v82
	s_wait_alu 0xfffe
	s_or_b32 s4, vcc_lo, s4
	v_fma_f32 v19, -v52, v84, v19
	v_fma_f32 v20, -v58, v86, v20
	s_wait_loadcnt 0x4
	v_fmac_f32_e32 v14, v68, v12
	v_fma_f32 v21, -v40, v82, v21
	v_fmac_f32_e32 v15, v41, v82
	v_fmac_f32_e32 v20, v65, v12
	;; [unrolled: 1-line block ×6, first 2 shown]
	v_dual_fmac_f32 v17, v54, v83 :: v_dual_fmac_f32 v22, v69, v12
	v_fmac_f32_e32 v16, v63, v13
	s_delay_alu instid0(VALU_DEP_4) | instskip(NEXT) | instid1(VALU_DEP_4)
	v_fma_f32 v21, -v48, v84, v21
	v_fmac_f32_e32 v15, v49, v84
	s_delay_alu instid0(VALU_DEP_4)
	v_fmac_f32_e32 v17, v53, v84
	s_wait_loadcnt 0x1
	v_dual_fmac_f32 v19, v59, v85 :: v_dual_fmac_f32 v14, v76, v87
	v_dual_fmac_f32 v21, v55, v85 :: v_dual_fmac_f32 v16, v72, v87
	v_fma_f32 v20, -v66, v13, v20
	v_fmac_f32_e32 v15, v58, v85
	v_fmac_f32_e32 v17, v62, v85
	s_delay_alu instid0(VALU_DEP_4) | instskip(SKIP_3) | instid1(VALU_DEP_4)
	v_fma_f32 v21, -v56, v86, v21
	v_fma_f32 v19, -v60, v86, v19
	v_fmac_f32_e32 v20, v73, v87
	v_dual_fmac_f32 v15, v57, v86 :: v_dual_fmac_f32 v16, v71, v88
	v_fmac_f32_e32 v21, v63, v12
	v_dual_fmac_f32 v17, v61, v86 :: v_dual_fmac_f32 v14, v75, v88
	v_fmac_f32_e32 v19, v67, v12
	s_wait_loadcnt 0x0
	v_fmac_f32_e32 v16, v32, v8
	v_fma_f32 v21, -v64, v13, v21
	v_fmac_f32_e32 v15, v66, v12
	v_fma_f32 v20, -v74, v88, v20
	v_fmac_f32_e32 v14, v36, v8
	v_fmac_f32_e32 v17, v70, v12
	;; [unrolled: 1-line block ×3, first 2 shown]
	v_fma_f32 v12, -v68, v13, v19
	v_fmac_f32_e32 v16, v31, v9
	v_fmac_f32_e32 v15, v65, v13
	v_fma_f32 v19, -v70, v13, v22
	v_fmac_f32_e32 v14, v35, v9
	v_fmac_f32_e32 v12, v75, v87
	;; [unrolled: 3-line block ×3, first 2 shown]
	v_fmac_f32_e32 v20, v33, v8
	v_fma_f32 v12, -v76, v88, v12
	v_fmac_f32_e32 v17, v69, v13
	v_fmac_f32_e32 v15, v73, v88
	v_fma_f32 v13, -v78, v88, v19
	v_fmac_f32_e32 v21, v31, v8
	s_delay_alu instid0(VALU_DEP_4) | instskip(NEXT) | instid1(VALU_DEP_4)
	v_dual_fmac_f32 v12, v35, v8 :: v_dual_fmac_f32 v17, v78, v87
	v_fmac_f32_e32 v15, v34, v8
	s_delay_alu instid0(VALU_DEP_4) | instskip(NEXT) | instid1(VALU_DEP_4)
	v_fmac_f32_e32 v13, v37, v8
	v_fma_f32 v21, -v32, v9, v21
	s_delay_alu instid0(VALU_DEP_4) | instskip(SKIP_4) | instid1(VALU_DEP_4)
	v_fma_f32 v19, -v36, v9, v12
	v_fmac_f32_e32 v17, v77, v88
	v_fma_f32 v20, -v34, v9, v20
	v_fma_f32 v22, -v38, v9, v13
	v_fmac_f32_e32 v15, v33, v9
	v_fmac_f32_e32 v17, v38, v8
	s_delay_alu instid0(VALU_DEP_1)
	v_fmac_f32_e32 v17, v37, v9
	s_wait_alu 0xfffe
	s_and_not1_b32 exec_lo, exec_lo, s4
	s_cbranch_execnz .LBB101_7
; %bb.8:
	s_or_b32 exec_lo, exec_lo, s4
.LBB101_9:
	s_wait_alu 0xfffe
	s_or_b32 exec_lo, exec_lo, s3
	s_cbranch_execz .LBB101_11
	s_branch .LBB101_16
.LBB101_10:
                                        ; implicit-def: $vgpr14
                                        ; implicit-def: $vgpr19
                                        ; implicit-def: $vgpr20
                                        ; implicit-def: $vgpr15
                                        ; implicit-def: $vgpr21
                                        ; implicit-def: $vgpr16
                                        ; implicit-def: $vgpr22
                                        ; implicit-def: $vgpr17
.LBB101_11:
	v_dual_mov_b32 v14, 0 :: v_dual_mov_b32 v19, 0
	v_dual_mov_b32 v20, 0 :: v_dual_mov_b32 v15, 0
	;; [unrolled: 1-line block ×4, first 2 shown]
	s_and_saveexec_b32 s3, s2
	s_cbranch_execz .LBB101_15
; %bb.12:
	v_mad_co_u64_u32 v[8:9], null, v6, 28, 27
	v_dual_mov_b32 v11, 0 :: v_dual_mov_b32 v14, 0
	v_dual_mov_b32 v19, 0 :: v_dual_mov_b32 v20, 0
	;; [unrolled: 1-line block ×4, first 2 shown]
	v_mov_b32_e32 v17, 0
	s_mov_b32 s2, 0
.LBB101_13:                             ; =>This Inner Loop Header: Depth=1
	v_ashrrev_i32_e32 v7, 31, v6
	v_subrev_nc_u32_e32 v23, 20, v8
	v_dual_mov_b32 v24, v11 :: v_dual_add_nc_u32 v25, -13, v8
	v_dual_mov_b32 v26, v11 :: v_dual_add_nc_u32 v27, -6, v8
	s_delay_alu instid0(VALU_DEP_4) | instskip(SKIP_1) | instid1(VALU_DEP_4)
	v_lshlrev_b64_e32 v[9:10], 2, v[6:7]
	v_dual_mov_b32 v13, v11 :: v_dual_mov_b32 v28, v11
	v_lshlrev_b64_e32 v[23:24], 3, v[23:24]
	s_delay_alu instid0(VALU_DEP_4) | instskip(NEXT) | instid1(VALU_DEP_4)
	v_lshlrev_b64_e32 v[25:26], 3, v[25:26]
	v_add_co_u32 v9, vcc_lo, s6, v9
	s_wait_alu 0xfffd
	v_add_co_ci_u32_e64 v10, null, s7, v10, vcc_lo
	v_lshlrev_b64_e32 v[27:28], 3, v[27:28]
	global_load_b32 v7, v[9:10], off
	v_subrev_nc_u32_e32 v10, 27, v8
	s_delay_alu instid0(VALU_DEP_1) | instskip(NEXT) | instid1(VALU_DEP_1)
	v_lshlrev_b64_e32 v[29:30], 3, v[10:11]
	v_add_co_u32 v29, vcc_lo, s8, v29
	s_wait_alu 0xfffd
	s_delay_alu instid0(VALU_DEP_2)
	v_add_co_ci_u32_e64 v30, null, s9, v30, vcc_lo
	v_add_co_u32 v31, vcc_lo, s8, v23
	s_wait_alu 0xfffd
	v_add_co_ci_u32_e64 v32, null, s9, v24, vcc_lo
	v_add_co_u32 v33, vcc_lo, s8, v25
	s_wait_alu 0xfffd
	;; [unrolled: 3-line block ×3, first 2 shown]
	v_add_co_ci_u32_e64 v36, null, s9, v28, vcc_lo
	s_clause 0x4
	global_load_b128 v[23:26], v[29:30], off offset:16
	global_load_b128 v[27:30], v[29:30], off
	global_load_b64 v[31:32], v[31:32], off
	global_load_b64 v[33:34], v[33:34], off
	;; [unrolled: 1-line block ×3, first 2 shown]
	s_wait_loadcnt 0x5
	v_subrev_nc_u32_e32 v7, s12, v7
	s_delay_alu instid0(VALU_DEP_1) | instskip(SKIP_1) | instid1(VALU_DEP_1)
	v_mul_lo_u32 v12, v7, 7
	v_mov_b32_e32 v9, v11
	v_lshlrev_b64_e32 v[9:10], 3, v[8:9]
	s_delay_alu instid0(VALU_DEP_3) | instskip(NEXT) | instid1(VALU_DEP_2)
	v_lshlrev_b64_e32 v[39:40], 3, v[12:13]
	v_add_co_u32 v37, vcc_lo, s8, v9
	s_wait_alu 0xfffd
	s_delay_alu instid0(VALU_DEP_3) | instskip(NEXT) | instid1(VALU_DEP_3)
	v_add_co_ci_u32_e64 v38, null, s9, v10, vcc_lo
	v_add_co_u32 v39, vcc_lo, s10, v39
	s_wait_alu 0xfffd
	v_add_co_ci_u32_e64 v40, null, s11, v40, vcc_lo
	v_add_nc_u32_e32 v10, 1, v12
	global_load_b64 v[39:40], v[39:40], off
	v_lshlrev_b64_e32 v[41:42], 3, v[10:11]
	v_subrev_nc_u32_e32 v10, 19, v8
	s_delay_alu instid0(VALU_DEP_2) | instskip(SKIP_1) | instid1(VALU_DEP_3)
	v_add_co_u32 v41, vcc_lo, s10, v41
	s_wait_alu 0xfffd
	v_add_co_ci_u32_e64 v42, null, s11, v42, vcc_lo
	s_delay_alu instid0(VALU_DEP_3)
	v_lshlrev_b64_e32 v[43:44], 3, v[10:11]
	global_load_b64 v[41:42], v[41:42], off
	v_add_nc_u32_e32 v10, -12, v8
	v_add_co_u32 v43, vcc_lo, s8, v43
	s_wait_alu 0xfffd
	v_add_co_ci_u32_e64 v44, null, s9, v44, vcc_lo
	global_load_b64 v[43:44], v[43:44], off
	s_wait_loadcnt 0x2
	v_fmac_f32_e32 v19, v27, v39
	v_lshlrev_b64_e32 v[45:46], 3, v[10:11]
	v_dual_fmac_f32 v17, v32, v39 :: v_dual_add_nc_u32 v10, -5, v8
	v_fmac_f32_e32 v21, v33, v39
	s_delay_alu instid0(VALU_DEP_4) | instskip(SKIP_1) | instid1(VALU_DEP_4)
	v_fma_f32 v7, -v28, v40, v19
	v_fmac_f32_e32 v22, v31, v39
	v_lshlrev_b64_e32 v[47:48], 3, v[10:11]
	v_add_co_u32 v45, vcc_lo, s8, v45
	s_wait_alu 0xfffd
	v_add_co_ci_u32_e64 v46, null, s9, v46, vcc_lo
	v_add_nc_u32_e32 v10, 2, v12
	s_delay_alu instid0(VALU_DEP_4)
	v_add_co_u32 v47, vcc_lo, s8, v47
	s_wait_alu 0xfffd
	v_add_co_ci_u32_e64 v48, null, s9, v48, vcc_lo
	global_load_b64 v[45:46], v[45:46], off
	v_lshlrev_b64_e32 v[49:50], 3, v[10:11]
	v_subrev_nc_u32_e32 v10, 18, v8
	global_load_b64 v[47:48], v[47:48], off
	v_fmac_f32_e32 v15, v36, v39
	s_wait_loadcnt 0x3
	v_fmac_f32_e32 v7, v29, v41
	v_fma_f32 v19, -v32, v40, v22
	v_add_co_u32 v49, vcc_lo, s10, v49
	s_wait_alu 0xfffd
	v_add_co_ci_u32_e64 v50, null, s11, v50, vcc_lo
	v_lshlrev_b64_e32 v[51:52], 3, v[10:11]
	s_wait_loadcnt 0x2
	v_dual_fmac_f32 v19, v43, v41 :: v_dual_add_nc_u32 v10, -11, v8
	global_load_b64 v[49:50], v[49:50], off
	v_dual_fmac_f32 v17, v31, v40 :: v_dual_add_nc_u32 v6, 16, v6
	v_add_co_u32 v51, vcc_lo, s8, v51
	s_wait_alu 0xfffd
	v_add_co_ci_u32_e64 v52, null, s9, v52, vcc_lo
	v_lshlrev_b64_e32 v[53:54], 3, v[10:11]
	v_dual_fmac_f32 v17, v44, v41 :: v_dual_add_nc_u32 v10, -4, v8
	global_load_b64 v[51:52], v[51:52], off
	v_fma_f32 v21, -v34, v40, v21
	v_dual_fmac_f32 v14, v28, v39 :: v_dual_fmac_f32 v15, v35, v40
	v_add_co_u32 v53, vcc_lo, s8, v53
	s_wait_alu 0xfffd
	v_add_co_ci_u32_e64 v54, null, s9, v54, vcc_lo
	v_lshlrev_b64_e32 v[55:56], 3, v[10:11]
	v_dual_fmac_f32 v17, v43, v42 :: v_dual_add_nc_u32 v10, 3, v12
	global_load_b64 v[53:54], v[53:54], off
	v_fma_f32 v7, -v30, v42, v7
	v_fma_f32 v19, -v44, v42, v19
	v_add_co_u32 v55, vcc_lo, s8, v55
	s_wait_alu 0xfffd
	v_add_co_ci_u32_e64 v56, null, s9, v56, vcc_lo
	v_lshlrev_b64_e32 v[57:58], 3, v[10:11]
	v_subrev_nc_u32_e32 v10, 17, v8
	global_load_b64 v[55:56], v[55:56], off
	v_add_co_u32 v57, vcc_lo, s10, v57
	s_wait_alu 0xfffd
	v_add_co_ci_u32_e64 v58, null, s11, v58, vcc_lo
	v_lshlrev_b64_e32 v[59:60], 3, v[10:11]
	v_add_nc_u32_e32 v10, -10, v8
	global_load_b64 v[57:58], v[57:58], off
	v_lshlrev_b64_e32 v[61:62], 3, v[10:11]
	v_add_nc_u32_e32 v10, -3, v8
	v_add_co_u32 v59, vcc_lo, s8, v59
	s_wait_alu 0xfffd
	v_add_co_ci_u32_e64 v60, null, s9, v60, vcc_lo
	s_delay_alu instid0(VALU_DEP_3) | instskip(SKIP_4) | instid1(VALU_DEP_3)
	v_lshlrev_b64_e32 v[63:64], 3, v[10:11]
	v_subrev_nc_u32_e32 v10, 23, v8
	v_add_co_u32 v61, vcc_lo, s8, v61
	s_wait_alu 0xfffd
	v_add_co_ci_u32_e64 v62, null, s9, v62, vcc_lo
	v_lshlrev_b64_e32 v[65:66], 3, v[10:11]
	v_add_nc_u32_e32 v10, 4, v12
	v_add_co_u32 v63, vcc_lo, s8, v63
	s_wait_alu 0xfffd
	v_add_co_ci_u32_e64 v64, null, s9, v64, vcc_lo
	s_delay_alu instid0(VALU_DEP_4)
	v_add_co_u32 v65, vcc_lo, s8, v65
	s_clause 0x2
	global_load_b64 v[59:60], v[59:60], off
	global_load_b64 v[61:62], v[61:62], off
	;; [unrolled: 1-line block ×3, first 2 shown]
	s_wait_alu 0xfffd
	v_add_co_ci_u32_e64 v66, null, s9, v66, vcc_lo
	global_load_b64 v[65:66], v[65:66], off
	s_wait_loadcnt 0xa
	v_fmac_f32_e32 v21, v45, v41
	v_lshlrev_b64_e32 v[67:68], 3, v[10:11]
	s_wait_loadcnt 0x9
	v_dual_fmac_f32 v15, v48, v41 :: v_dual_add_nc_u32 v10, -16, v8
	s_delay_alu instid0(VALU_DEP_3) | instskip(NEXT) | instid1(VALU_DEP_2)
	v_fma_f32 v21, -v46, v42, v21
	v_lshlrev_b64_e32 v[69:70], 3, v[10:11]
	s_delay_alu instid0(VALU_DEP_3) | instskip(SKIP_3) | instid1(VALU_DEP_3)
	v_dual_fmac_f32 v15, v47, v42 :: v_dual_add_nc_u32 v10, -9, v8
	v_add_co_u32 v67, vcc_lo, s10, v67
	s_wait_alu 0xfffd
	v_add_co_ci_u32_e64 v68, null, s11, v68, vcc_lo
	v_lshlrev_b64_e32 v[71:72], 3, v[10:11]
	s_wait_loadcnt 0x8
	v_dual_fmac_f32 v7, v23, v49 :: v_dual_add_nc_u32 v10, -2, v8
	v_add_co_u32 v69, vcc_lo, s8, v69
	s_wait_alu 0xfffd
	v_add_co_ci_u32_e64 v70, null, s9, v70, vcc_lo
	s_delay_alu instid0(VALU_DEP_3)
	v_lshlrev_b64_e32 v[73:74], 3, v[10:11]
	v_subrev_nc_u32_e32 v10, 22, v8
	v_add_co_u32 v71, vcc_lo, s8, v71
	s_wait_loadcnt 0x7
	v_fmac_f32_e32 v19, v51, v49
	v_fmac_f32_e32 v17, v52, v49
	v_lshlrev_b64_e32 v[75:76], 3, v[10:11]
	v_add_nc_u32_e32 v10, 5, v12
	s_wait_alu 0xfffd
	v_add_co_ci_u32_e64 v72, null, s9, v72, vcc_lo
	v_add_co_u32 v73, vcc_lo, s8, v73
	s_delay_alu instid0(VALU_DEP_3) | instskip(SKIP_4) | instid1(VALU_DEP_3)
	v_lshlrev_b64_e32 v[77:78], 3, v[10:11]
	v_dual_fmac_f32 v17, v51, v50 :: v_dual_add_nc_u32 v10, -15, v8
	s_wait_alu 0xfffd
	v_add_co_ci_u32_e64 v74, null, s9, v74, vcc_lo
	v_add_co_u32 v75, vcc_lo, s8, v75
	v_lshlrev_b64_e32 v[79:80], 3, v[10:11]
	v_add_nc_u32_e32 v10, -8, v8
	global_load_b64 v[67:68], v[67:68], off
	s_clause 0x2
	global_load_b64 v[69:70], v[69:70], off
	global_load_b64 v[71:72], v[71:72], off
	;; [unrolled: 1-line block ×3, first 2 shown]
	v_lshlrev_b64_e32 v[81:82], 3, v[10:11]
	s_wait_loadcnt 0xa
	v_dual_fmac_f32 v21, v53, v49 :: v_dual_add_nc_u32 v10, -1, v8
	s_wait_alu 0xfffd
	v_add_co_ci_u32_e64 v76, null, s9, v76, vcc_lo
	v_add_co_u32 v77, vcc_lo, s10, v77
	s_delay_alu instid0(VALU_DEP_3)
	v_lshlrev_b64_e32 v[83:84], 3, v[10:11]
	v_subrev_nc_u32_e32 v10, 21, v8
	s_wait_alu 0xfffd
	v_add_co_ci_u32_e64 v78, null, s11, v78, vcc_lo
	v_add_co_u32 v79, vcc_lo, s8, v79
	s_wait_alu 0xfffd
	v_add_co_ci_u32_e64 v80, null, s9, v80, vcc_lo
	v_lshlrev_b64_e32 v[85:86], 3, v[10:11]
	s_wait_loadcnt 0x9
	v_dual_fmac_f32 v15, v56, v49 :: v_dual_add_nc_u32 v10, 6, v12
	v_add_co_u32 v81, vcc_lo, s8, v81
	global_load_b64 v[77:78], v[77:78], off
	global_load_b64 v[79:80], v[79:80], off
	s_wait_alu 0xfffd
	v_add_co_ci_u32_e64 v82, null, s9, v82, vcc_lo
	v_add_co_u32 v12, vcc_lo, s8, v83
	s_wait_alu 0xfffd
	v_add_co_ci_u32_e64 v13, null, s9, v84, vcc_lo
	v_lshlrev_b64_e32 v[83:84], 3, v[10:11]
	global_load_b64 v[75:76], v[75:76], off
	v_add_co_u32 v85, vcc_lo, s8, v85
	s_wait_alu 0xfffd
	v_add_co_ci_u32_e64 v86, null, s9, v86, vcc_lo
	v_add_co_u32 v83, vcc_lo, s10, v83
	v_dual_fmac_f32 v15, v55, v50 :: v_dual_add_nc_u32 v10, -14, v8
	s_wait_alu 0xfffd
	v_add_co_ci_u32_e64 v84, null, s11, v84, vcc_lo
	v_fma_f32 v7, -v24, v50, v7
	s_delay_alu instid0(VALU_DEP_3)
	v_lshlrev_b64_e32 v[87:88], 3, v[10:11]
	v_add_nc_u32_e32 v10, -7, v8
	s_clause 0x1
	global_load_b64 v[12:13], v[12:13], off
	global_load_b64 v[85:86], v[85:86], off
	;; [unrolled: 1-line block ×3, first 2 shown]
	s_wait_loadcnt 0xe
	v_fmac_f32_e32 v7, v25, v57
	v_lshlrev_b64_e32 v[9:10], 3, v[10:11]
	global_load_b64 v[81:82], v[81:82], off
	v_add_co_u32 v87, vcc_lo, s8, v87
	s_wait_alu 0xfffd
	v_add_co_ci_u32_e64 v88, null, s9, v88, vcc_lo
	v_add_co_u32 v9, vcc_lo, s8, v9
	s_wait_alu 0xfffd
	v_add_co_ci_u32_e64 v10, null, s9, v10, vcc_lo
	s_clause 0x2
	global_load_b64 v[87:88], v[87:88], off
	global_load_b64 v[9:10], v[9:10], off
	;; [unrolled: 1-line block ×3, first 2 shown]
	s_wait_loadcnt 0xf
	v_dual_fmac_f32 v14, v27, v40 :: v_dual_fmac_f32 v15, v64, v57
	v_fma_f32 v19, -v52, v50, v19
	v_dual_fmac_f32 v17, v60, v57 :: v_dual_fmac_f32 v16, v34, v39
	v_add_nc_u32_e32 v8, 0x1c0, v8
	v_fma_f32 v21, -v54, v50, v21
	v_fmac_f32_e32 v20, v35, v39
	v_fmac_f32_e32 v19, v59, v57
	v_fma_f32 v7, -v26, v58, v7
	v_dual_fmac_f32 v14, v30, v41 :: v_dual_fmac_f32 v17, v59, v58
	v_dual_fmac_f32 v16, v33, v40 :: v_dual_fmac_f32 v15, v63, v58
	s_delay_alu instid0(VALU_DEP_4) | instskip(SKIP_2) | instid1(VALU_DEP_4)
	v_fma_f32 v19, -v60, v58, v19
	v_fmac_f32_e32 v21, v61, v57
	v_fma_f32 v20, -v36, v40, v20
	v_fmac_f32_e32 v16, v46, v41
	v_cmp_ge_i32_e32 vcc_lo, v6, v18
	s_delay_alu instid0(VALU_DEP_4)
	v_fma_f32 v21, -v62, v58, v21
	s_wait_alu 0xfffe
	s_or_b32 s2, vcc_lo, s2
	s_wait_loadcnt 0xd
	v_fmac_f32_e32 v7, v65, v67
	s_wait_loadcnt 0xc
	v_dual_fmac_f32 v14, v29, v42 :: v_dual_fmac_f32 v17, v70, v67
	v_dual_fmac_f32 v20, v47, v41 :: v_dual_fmac_f32 v19, v69, v67
	s_wait_loadcnt 0xb
	v_dual_fmac_f32 v16, v45, v42 :: v_dual_fmac_f32 v21, v71, v67
	s_delay_alu instid0(VALU_DEP_3)
	v_dual_fmac_f32 v17, v69, v68 :: v_dual_fmac_f32 v14, v24, v49
	s_wait_loadcnt 0xa
	v_fmac_f32_e32 v15, v74, v67
	v_fma_f32 v7, -v66, v68, v7
	v_fma_f32 v20, -v48, v42, v20
	;; [unrolled: 1-line block ×3, first 2 shown]
	s_delay_alu instid0(VALU_DEP_4)
	v_dual_fmac_f32 v14, v23, v50 :: v_dual_fmac_f32 v15, v73, v68
	v_fma_f32 v21, -v72, v68, v21
	s_wait_loadcnt 0x8
	v_fmac_f32_e32 v17, v80, v77
	v_fmac_f32_e32 v16, v54, v49
	v_fmac_f32_e32 v19, v79, v77
	s_delay_alu instid0(VALU_DEP_3) | instskip(NEXT) | instid1(VALU_DEP_3)
	v_fmac_f32_e32 v17, v79, v78
	v_fmac_f32_e32 v16, v53, v50
	s_delay_alu instid0(VALU_DEP_3) | instskip(SKIP_2) | instid1(VALU_DEP_3)
	v_fma_f32 v22, -v80, v78, v19
	s_wait_loadcnt 0x7
	v_fmac_f32_e32 v7, v75, v77
	v_fmac_f32_e32 v16, v62, v57
	s_delay_alu instid0(VALU_DEP_2)
	v_fma_f32 v7, -v76, v78, v7
	v_fmac_f32_e32 v14, v26, v57
	s_wait_loadcnt 0x6
	v_fmac_f32_e32 v15, v13, v77
	s_wait_loadcnt 0x4
	v_dual_fmac_f32 v20, v55, v49 :: v_dual_fmac_f32 v7, v85, v83
	v_fmac_f32_e32 v14, v25, v58
	s_wait_loadcnt 0x3
	v_fmac_f32_e32 v21, v81, v77
	v_fmac_f32_e32 v15, v12, v78
	v_fma_f32 v20, -v56, v50, v20
	v_fmac_f32_e32 v14, v66, v67
	v_fma_f32 v19, -v86, v84, v7
	v_fma_f32 v21, -v82, v78, v21
	s_delay_alu instid0(VALU_DEP_4)
	v_fmac_f32_e32 v20, v63, v57
	s_wait_loadcnt 0x2
	v_dual_fmac_f32 v14, v65, v68 :: v_dual_fmac_f32 v17, v88, v83
	s_wait_loadcnt 0x1
	v_fmac_f32_e32 v21, v9, v83
	s_wait_loadcnt 0x0
	v_dual_fmac_f32 v16, v61, v58 :: v_dual_fmac_f32 v15, v38, v83
	v_fma_f32 v20, -v64, v58, v20
	v_dual_fmac_f32 v17, v87, v84 :: v_dual_fmac_f32 v14, v76, v77
	s_delay_alu instid0(VALU_DEP_3) | instskip(NEXT) | instid1(VALU_DEP_3)
	v_dual_fmac_f32 v16, v72, v67 :: v_dual_fmac_f32 v15, v37, v84
	v_fmac_f32_e32 v20, v73, v67
	v_fmac_f32_e32 v22, v87, v83
	s_delay_alu instid0(VALU_DEP_4) | instskip(SKIP_1) | instid1(VALU_DEP_4)
	v_fmac_f32_e32 v14, v75, v78
	v_fma_f32 v21, -v10, v84, v21
	v_fma_f32 v20, -v74, v68, v20
	s_delay_alu instid0(VALU_DEP_4) | instskip(NEXT) | instid1(VALU_DEP_4)
	v_fma_f32 v22, -v88, v84, v22
	v_fmac_f32_e32 v14, v86, v83
	s_delay_alu instid0(VALU_DEP_3) | instskip(NEXT) | instid1(VALU_DEP_2)
	v_fmac_f32_e32 v20, v12, v77
	v_fmac_f32_e32 v14, v85, v84
	s_delay_alu instid0(VALU_DEP_2) | instskip(NEXT) | instid1(VALU_DEP_1)
	v_fma_f32 v13, -v13, v78, v20
	v_dual_fmac_f32 v16, v71, v68 :: v_dual_fmac_f32 v13, v37, v83
	s_delay_alu instid0(VALU_DEP_1) | instskip(NEXT) | instid1(VALU_DEP_2)
	v_fmac_f32_e32 v16, v82, v77
	v_fma_f32 v20, -v38, v84, v13
	s_delay_alu instid0(VALU_DEP_2) | instskip(NEXT) | instid1(VALU_DEP_1)
	v_fmac_f32_e32 v16, v81, v78
	v_fmac_f32_e32 v16, v10, v83
	s_delay_alu instid0(VALU_DEP_1)
	v_fmac_f32_e32 v16, v9, v84
	s_wait_alu 0xfffe
	s_and_not1_b32 exec_lo, exec_lo, s2
	s_cbranch_execnz .LBB101_13
; %bb.14:
	s_or_b32 exec_lo, exec_lo, s2
.LBB101_15:
	s_wait_alu 0xfffe
	s_or_b32 exec_lo, exec_lo, s3
.LBB101_16:
	v_mbcnt_lo_u32_b32 v6, -1, 0
	s_delay_alu instid0(VALU_DEP_1) | instskip(SKIP_1) | instid1(VALU_DEP_2)
	v_xor_b32_e32 v7, 8, v6
	v_xor_b32_e32 v23, 4, v6
	v_cmp_gt_i32_e32 vcc_lo, 32, v7
	s_wait_alu 0xfffd
	v_cndmask_b32_e32 v7, v6, v7, vcc_lo
	s_delay_alu instid0(VALU_DEP_3) | instskip(NEXT) | instid1(VALU_DEP_2)
	v_cmp_gt_i32_e32 vcc_lo, 32, v23
	v_lshlrev_b32_e32 v7, 2, v7
	ds_bpermute_b32 v10, v7, v22
	s_wait_dscnt 0x0
	v_add_f32_e32 v10, v22, v10
	ds_bpermute_b32 v8, v7, v19
	ds_bpermute_b32 v12, v7, v21
	;; [unrolled: 1-line block ×7, first 2 shown]
	s_wait_dscnt 0x6
	s_wait_alu 0xfffd
	v_dual_cndmask_b32 v23, v6, v23 :: v_dual_add_f32 v8, v19, v8
	s_wait_dscnt 0x5
	s_delay_alu instid0(VALU_DEP_1)
	v_dual_add_f32 v12, v21, v12 :: v_dual_lshlrev_b32 v23, 2, v23
	s_wait_dscnt 0x1
	v_dual_add_f32 v9, v14, v9 :: v_dual_add_f32 v14, v20, v18
	s_wait_dscnt 0x0
	v_add_f32_e32 v7, v15, v7
	ds_bpermute_b32 v15, v23, v8
	ds_bpermute_b32 v19, v23, v12
	;; [unrolled: 1-line block ×3, first 2 shown]
	v_add_f32_e32 v11, v17, v11
	ds_bpermute_b32 v17, v23, v10
	ds_bpermute_b32 v22, v23, v7
	ds_bpermute_b32 v18, v23, v11
	v_add_f32_e32 v13, v16, v13
	s_wait_dscnt 0x5
	v_add_f32_e32 v8, v8, v15
	ds_bpermute_b32 v16, v23, v9
	s_wait_dscnt 0x3
	v_dual_add_f32 v12, v12, v19 :: v_dual_add_f32 v15, v10, v17
	s_wait_dscnt 0x0
	v_dual_add_f32 v9, v9, v16 :: v_dual_add_f32 v16, v11, v18
	ds_bpermute_b32 v20, v23, v13
	v_xor_b32_e32 v23, 2, v6
	v_add_f32_e32 v18, v14, v21
	s_delay_alu instid0(VALU_DEP_2) | instskip(SKIP_2) | instid1(VALU_DEP_1)
	v_cmp_gt_i32_e32 vcc_lo, 32, v23
	s_wait_alu 0xfffd
	v_cndmask_b32_e32 v23, v6, v23, vcc_lo
	v_lshlrev_b32_e32 v23, 2, v23
	s_wait_dscnt 0x0
	v_add_f32_e32 v17, v13, v20
	ds_bpermute_b32 v10, v23, v9
	ds_bpermute_b32 v11, v23, v15
	;; [unrolled: 1-line block ×6, first 2 shown]
	s_wait_dscnt 0x5
	v_add_f32_e32 v10, v9, v10
	v_add_f32_e32 v19, v7, v22
	ds_bpermute_b32 v7, v23, v8
	s_wait_dscnt 0x4
	v_add_f32_e32 v13, v16, v13
	s_wait_dscnt 0x3
	v_add_f32_e32 v14, v12, v14
	ds_bpermute_b32 v22, v23, v19
	v_xor_b32_e32 v23, 1, v6
	s_delay_alu instid0(VALU_DEP_1) | instskip(SKIP_4) | instid1(VALU_DEP_2)
	v_cmp_gt_i32_e32 vcc_lo, 32, v23
	s_wait_alu 0xfffd
	v_cndmask_b32_e32 v6, v6, v23, vcc_lo
	v_cmp_eq_u32_e32 vcc_lo, 15, v0
	s_wait_dscnt 0x1
	v_dual_add_f32 v6, v8, v7 :: v_dual_lshlrev_b32 v23, 2, v6
	v_add_f32_e32 v11, v15, v11
	v_add_f32_e32 v15, v17, v20
	;; [unrolled: 1-line block ×3, first 2 shown]
	s_wait_dscnt 0x0
	v_add_f32_e32 v9, v19, v22
	ds_bpermute_b32 v8, v23, v6
	ds_bpermute_b32 v12, v23, v10
	;; [unrolled: 1-line block ×8, first 2 shown]
	s_and_b32 exec_lo, exec_lo, vcc_lo
	s_cbranch_execz .LBB101_21
; %bb.17:
	s_load_b64 s[2:3], s[0:1], 0x38
	v_cmp_eq_f32_e32 vcc_lo, 0, v3
	v_cmp_eq_f32_e64 s0, 0, v4
	s_wait_dscnt 0x7
	v_add_f32_e32 v8, v6, v8
	s_wait_dscnt 0x0
	v_dual_add_f32 v12, v10, v12 :: v_dual_add_f32 v9, v9, v17
	v_dual_add_f32 v0, v11, v18 :: v_dual_add_f32 v11, v13, v19
	v_add_f32_e32 v6, v14, v20
	v_add_f32_e32 v10, v15, v21
	v_add_f32_e32 v7, v7, v16
	s_and_b32 s0, vcc_lo, s0
	s_wait_alu 0xfffe
	s_and_saveexec_b32 s1, s0
	s_wait_alu 0xfffe
	s_xor_b32 s0, exec_lo, s1
	s_cbranch_execz .LBB101_19
; %bb.18:
	v_dual_mul_f32 v14, v1, v12 :: v_dual_lshlrev_b32 v3, 2, v5
	v_mul_f32_e64 v13, v12, -v2
	v_mul_f32_e64 v15, v11, -v2
	v_mul_f32_e32 v16, v1, v11
	s_delay_alu instid0(VALU_DEP_4)
	v_ashrrev_i32_e32 v4, 31, v3
	v_mul_f32_e64 v17, v10, -v2
	v_mul_f32_e32 v18, v1, v10
	v_mul_f32_e64 v19, v9, -v2
	v_mul_f32_e32 v20, v1, v9
	v_lshlrev_b64_e32 v[3:4], 3, v[3:4]
	s_delay_alu instid0(VALU_DEP_4) | instskip(SKIP_1) | instid1(VALU_DEP_4)
	v_dual_fmac_f32 v13, v1, v8 :: v_dual_fmac_f32 v18, v2, v6
	v_dual_fmac_f32 v14, v2, v8 :: v_dual_fmac_f32 v17, v1, v6
	;; [unrolled: 1-line block ×3, first 2 shown]
	s_wait_kmcnt 0x0
	s_delay_alu instid0(VALU_DEP_4)
	v_add_co_u32 v3, vcc_lo, s2, v3
	s_wait_alu 0xfffd
	v_add_co_ci_u32_e64 v4, null, s3, v4, vcc_lo
	v_dual_fmac_f32 v16, v2, v0 :: v_dual_fmac_f32 v19, v1, v7
	s_clause 0x1
	global_store_b128 v[3:4], v[13:16], off
	global_store_b128 v[3:4], v[17:20], off offset:16
                                        ; implicit-def: $vgpr5
                                        ; implicit-def: $vgpr8
                                        ; implicit-def: $vgpr12
                                        ; implicit-def: $vgpr0
                                        ; implicit-def: $vgpr11
                                        ; implicit-def: $vgpr6
                                        ; implicit-def: $vgpr10
                                        ; implicit-def: $vgpr7
                                        ; implicit-def: $vgpr9
                                        ; implicit-def: $vgpr1_vgpr2
                                        ; implicit-def: $vgpr3_vgpr4
.LBB101_19:
	s_wait_alu 0xfffe
	s_and_not1_saveexec_b32 s0, s0
	s_cbranch_execz .LBB101_21
; %bb.20:
	v_dual_mul_f32 v22, v1, v12 :: v_dual_lshlrev_b32 v13, 2, v5
	v_mul_f32_e64 v5, v12, -v2
	v_mul_f32_e64 v23, v11, -v2
	;; [unrolled: 1-line block ×3, first 2 shown]
	s_delay_alu instid0(VALU_DEP_4) | instskip(NEXT) | instid1(VALU_DEP_4)
	v_ashrrev_i32_e32 v14, 31, v13
	v_fmac_f32_e32 v5, v1, v8
	s_delay_alu instid0(VALU_DEP_2) | instskip(SKIP_1) | instid1(VALU_DEP_1)
	v_lshlrev_b64_e32 v[13:14], 3, v[13:14]
	s_wait_kmcnt 0x0
	v_add_co_u32 v25, vcc_lo, s2, v13
	s_wait_alu 0xfffd
	s_delay_alu instid0(VALU_DEP_2)
	v_add_co_ci_u32_e64 v26, null, s3, v14, vcc_lo
	s_clause 0x1
	global_load_b128 v[13:16], v[25:26], off
	global_load_b128 v[17:20], v[25:26], off offset:16
	v_mul_f32_e32 v24, v1, v11
	v_mul_f32_e64 v11, v10, -v2
	s_delay_alu instid0(VALU_DEP_1) | instskip(SKIP_1) | instid1(VALU_DEP_1)
	v_dual_fmac_f32 v22, v2, v8 :: v_dual_fmac_f32 v11, v1, v6
	s_wait_loadcnt 0x1
	v_dual_fmac_f32 v27, v1, v7 :: v_dual_fmac_f32 v22, v4, v13
	s_wait_loadcnt 0x0
	s_delay_alu instid0(VALU_DEP_1) | instskip(SKIP_3) | instid1(VALU_DEP_4)
	v_dual_mul_f32 v12, v1, v9 :: v_dual_fmac_f32 v27, v3, v19
	v_fmac_f32_e32 v23, v1, v0
	v_fmac_f32_e32 v11, v3, v17
	v_fmac_f32_e32 v22, v3, v14
	v_fmac_f32_e32 v12, v2, v7
	s_delay_alu instid0(VALU_DEP_4) | instskip(NEXT) | instid1(VALU_DEP_4)
	v_dual_mul_f32 v10, v1, v10 :: v_dual_fmac_f32 v23, v3, v15
	v_fma_f32 v9, -v4, v18, v11
	v_fma_f32 v11, -v4, v20, v27
	s_delay_alu instid0(VALU_DEP_4) | instskip(NEXT) | instid1(VALU_DEP_4)
	v_fmac_f32_e32 v12, v4, v19
	v_dual_fmac_f32 v10, v2, v6 :: v_dual_fmac_f32 v5, v3, v13
	v_fmac_f32_e32 v24, v2, v0
	v_fma_f32 v23, -v4, v16, v23
	s_delay_alu instid0(VALU_DEP_4) | instskip(NEXT) | instid1(VALU_DEP_4)
	v_fmac_f32_e32 v12, v3, v20
	v_fmac_f32_e32 v10, v4, v17
	v_fma_f32 v21, -v4, v14, v5
	v_fmac_f32_e32 v24, v4, v15
	s_delay_alu instid0(VALU_DEP_3) | instskip(NEXT) | instid1(VALU_DEP_2)
	v_fmac_f32_e32 v10, v3, v18
	v_fmac_f32_e32 v24, v3, v16
	s_clause 0x1
	global_store_b128 v[25:26], v[21:24], off
	global_store_b128 v[25:26], v[9:12], off offset:16
.LBB101_21:
	s_endpgm
	.section	.rodata,"a",@progbits
	.p2align	6, 0x0
	.amdhsa_kernel _ZN9rocsparseL19gebsrmvn_4xn_kernelILj128ELj7ELj16E21rocsparse_complex_numIfEEEvi20rocsparse_direction_NS_24const_host_device_scalarIT2_EEPKiS8_PKS5_SA_S6_PS5_21rocsparse_index_base_b
		.amdhsa_group_segment_fixed_size 0
		.amdhsa_private_segment_fixed_size 0
		.amdhsa_kernarg_size 72
		.amdhsa_user_sgpr_count 2
		.amdhsa_user_sgpr_dispatch_ptr 0
		.amdhsa_user_sgpr_queue_ptr 0
		.amdhsa_user_sgpr_kernarg_segment_ptr 1
		.amdhsa_user_sgpr_dispatch_id 0
		.amdhsa_user_sgpr_private_segment_size 0
		.amdhsa_wavefront_size32 1
		.amdhsa_uses_dynamic_stack 0
		.amdhsa_enable_private_segment 0
		.amdhsa_system_sgpr_workgroup_id_x 1
		.amdhsa_system_sgpr_workgroup_id_y 0
		.amdhsa_system_sgpr_workgroup_id_z 0
		.amdhsa_system_sgpr_workgroup_info 0
		.amdhsa_system_vgpr_workitem_id 0
		.amdhsa_next_free_vgpr 89
		.amdhsa_next_free_sgpr 14
		.amdhsa_reserve_vcc 1
		.amdhsa_float_round_mode_32 0
		.amdhsa_float_round_mode_16_64 0
		.amdhsa_float_denorm_mode_32 3
		.amdhsa_float_denorm_mode_16_64 3
		.amdhsa_fp16_overflow 0
		.amdhsa_workgroup_processor_mode 1
		.amdhsa_memory_ordered 1
		.amdhsa_forward_progress 1
		.amdhsa_inst_pref_size 42
		.amdhsa_round_robin_scheduling 0
		.amdhsa_exception_fp_ieee_invalid_op 0
		.amdhsa_exception_fp_denorm_src 0
		.amdhsa_exception_fp_ieee_div_zero 0
		.amdhsa_exception_fp_ieee_overflow 0
		.amdhsa_exception_fp_ieee_underflow 0
		.amdhsa_exception_fp_ieee_inexact 0
		.amdhsa_exception_int_div_zero 0
	.end_amdhsa_kernel
	.section	.text._ZN9rocsparseL19gebsrmvn_4xn_kernelILj128ELj7ELj16E21rocsparse_complex_numIfEEEvi20rocsparse_direction_NS_24const_host_device_scalarIT2_EEPKiS8_PKS5_SA_S6_PS5_21rocsparse_index_base_b,"axG",@progbits,_ZN9rocsparseL19gebsrmvn_4xn_kernelILj128ELj7ELj16E21rocsparse_complex_numIfEEEvi20rocsparse_direction_NS_24const_host_device_scalarIT2_EEPKiS8_PKS5_SA_S6_PS5_21rocsparse_index_base_b,comdat
.Lfunc_end101:
	.size	_ZN9rocsparseL19gebsrmvn_4xn_kernelILj128ELj7ELj16E21rocsparse_complex_numIfEEEvi20rocsparse_direction_NS_24const_host_device_scalarIT2_EEPKiS8_PKS5_SA_S6_PS5_21rocsparse_index_base_b, .Lfunc_end101-_ZN9rocsparseL19gebsrmvn_4xn_kernelILj128ELj7ELj16E21rocsparse_complex_numIfEEEvi20rocsparse_direction_NS_24const_host_device_scalarIT2_EEPKiS8_PKS5_SA_S6_PS5_21rocsparse_index_base_b
                                        ; -- End function
	.set _ZN9rocsparseL19gebsrmvn_4xn_kernelILj128ELj7ELj16E21rocsparse_complex_numIfEEEvi20rocsparse_direction_NS_24const_host_device_scalarIT2_EEPKiS8_PKS5_SA_S6_PS5_21rocsparse_index_base_b.num_vgpr, 89
	.set _ZN9rocsparseL19gebsrmvn_4xn_kernelILj128ELj7ELj16E21rocsparse_complex_numIfEEEvi20rocsparse_direction_NS_24const_host_device_scalarIT2_EEPKiS8_PKS5_SA_S6_PS5_21rocsparse_index_base_b.num_agpr, 0
	.set _ZN9rocsparseL19gebsrmvn_4xn_kernelILj128ELj7ELj16E21rocsparse_complex_numIfEEEvi20rocsparse_direction_NS_24const_host_device_scalarIT2_EEPKiS8_PKS5_SA_S6_PS5_21rocsparse_index_base_b.numbered_sgpr, 14
	.set _ZN9rocsparseL19gebsrmvn_4xn_kernelILj128ELj7ELj16E21rocsparse_complex_numIfEEEvi20rocsparse_direction_NS_24const_host_device_scalarIT2_EEPKiS8_PKS5_SA_S6_PS5_21rocsparse_index_base_b.num_named_barrier, 0
	.set _ZN9rocsparseL19gebsrmvn_4xn_kernelILj128ELj7ELj16E21rocsparse_complex_numIfEEEvi20rocsparse_direction_NS_24const_host_device_scalarIT2_EEPKiS8_PKS5_SA_S6_PS5_21rocsparse_index_base_b.private_seg_size, 0
	.set _ZN9rocsparseL19gebsrmvn_4xn_kernelILj128ELj7ELj16E21rocsparse_complex_numIfEEEvi20rocsparse_direction_NS_24const_host_device_scalarIT2_EEPKiS8_PKS5_SA_S6_PS5_21rocsparse_index_base_b.uses_vcc, 1
	.set _ZN9rocsparseL19gebsrmvn_4xn_kernelILj128ELj7ELj16E21rocsparse_complex_numIfEEEvi20rocsparse_direction_NS_24const_host_device_scalarIT2_EEPKiS8_PKS5_SA_S6_PS5_21rocsparse_index_base_b.uses_flat_scratch, 0
	.set _ZN9rocsparseL19gebsrmvn_4xn_kernelILj128ELj7ELj16E21rocsparse_complex_numIfEEEvi20rocsparse_direction_NS_24const_host_device_scalarIT2_EEPKiS8_PKS5_SA_S6_PS5_21rocsparse_index_base_b.has_dyn_sized_stack, 0
	.set _ZN9rocsparseL19gebsrmvn_4xn_kernelILj128ELj7ELj16E21rocsparse_complex_numIfEEEvi20rocsparse_direction_NS_24const_host_device_scalarIT2_EEPKiS8_PKS5_SA_S6_PS5_21rocsparse_index_base_b.has_recursion, 0
	.set _ZN9rocsparseL19gebsrmvn_4xn_kernelILj128ELj7ELj16E21rocsparse_complex_numIfEEEvi20rocsparse_direction_NS_24const_host_device_scalarIT2_EEPKiS8_PKS5_SA_S6_PS5_21rocsparse_index_base_b.has_indirect_call, 0
	.section	.AMDGPU.csdata,"",@progbits
; Kernel info:
; codeLenInByte = 5252
; TotalNumSgprs: 16
; NumVgprs: 89
; ScratchSize: 0
; MemoryBound: 0
; FloatMode: 240
; IeeeMode: 1
; LDSByteSize: 0 bytes/workgroup (compile time only)
; SGPRBlocks: 0
; VGPRBlocks: 11
; NumSGPRsForWavesPerEU: 16
; NumVGPRsForWavesPerEU: 89
; Occupancy: 16
; WaveLimiterHint : 1
; COMPUTE_PGM_RSRC2:SCRATCH_EN: 0
; COMPUTE_PGM_RSRC2:USER_SGPR: 2
; COMPUTE_PGM_RSRC2:TRAP_HANDLER: 0
; COMPUTE_PGM_RSRC2:TGID_X_EN: 1
; COMPUTE_PGM_RSRC2:TGID_Y_EN: 0
; COMPUTE_PGM_RSRC2:TGID_Z_EN: 0
; COMPUTE_PGM_RSRC2:TIDIG_COMP_CNT: 0
	.section	.text._ZN9rocsparseL19gebsrmvn_4xn_kernelILj128ELj7ELj32E21rocsparse_complex_numIfEEEvi20rocsparse_direction_NS_24const_host_device_scalarIT2_EEPKiS8_PKS5_SA_S6_PS5_21rocsparse_index_base_b,"axG",@progbits,_ZN9rocsparseL19gebsrmvn_4xn_kernelILj128ELj7ELj32E21rocsparse_complex_numIfEEEvi20rocsparse_direction_NS_24const_host_device_scalarIT2_EEPKiS8_PKS5_SA_S6_PS5_21rocsparse_index_base_b,comdat
	.globl	_ZN9rocsparseL19gebsrmvn_4xn_kernelILj128ELj7ELj32E21rocsparse_complex_numIfEEEvi20rocsparse_direction_NS_24const_host_device_scalarIT2_EEPKiS8_PKS5_SA_S6_PS5_21rocsparse_index_base_b ; -- Begin function _ZN9rocsparseL19gebsrmvn_4xn_kernelILj128ELj7ELj32E21rocsparse_complex_numIfEEEvi20rocsparse_direction_NS_24const_host_device_scalarIT2_EEPKiS8_PKS5_SA_S6_PS5_21rocsparse_index_base_b
	.p2align	8
	.type	_ZN9rocsparseL19gebsrmvn_4xn_kernelILj128ELj7ELj32E21rocsparse_complex_numIfEEEvi20rocsparse_direction_NS_24const_host_device_scalarIT2_EEPKiS8_PKS5_SA_S6_PS5_21rocsparse_index_base_b,@function
_ZN9rocsparseL19gebsrmvn_4xn_kernelILj128ELj7ELj32E21rocsparse_complex_numIfEEEvi20rocsparse_direction_NS_24const_host_device_scalarIT2_EEPKiS8_PKS5_SA_S6_PS5_21rocsparse_index_base_b: ; @_ZN9rocsparseL19gebsrmvn_4xn_kernelILj128ELj7ELj32E21rocsparse_complex_numIfEEEvi20rocsparse_direction_NS_24const_host_device_scalarIT2_EEPKiS8_PKS5_SA_S6_PS5_21rocsparse_index_base_b
; %bb.0:
	s_clause 0x2
	s_load_b64 s[12:13], s[0:1], 0x40
	s_load_b64 s[2:3], s[0:1], 0x8
	;; [unrolled: 1-line block ×3, first 2 shown]
	s_add_nc_u64 s[6:7], s[0:1], 8
	s_wait_kmcnt 0x0
	s_bitcmp1_b32 s13, 0
	s_cselect_b32 s2, s6, s2
	s_cselect_b32 s3, s7, s3
	s_delay_alu instid0(SALU_CYCLE_1)
	v_dual_mov_b32 v1, s2 :: v_dual_mov_b32 v2, s3
	s_add_nc_u64 s[2:3], s[0:1], 48
	s_wait_alu 0xfffe
	s_cselect_b32 s2, s2, s4
	s_cselect_b32 s3, s3, s5
	flat_load_b64 v[1:2], v[1:2]
	s_wait_alu 0xfffe
	v_dual_mov_b32 v3, s2 :: v_dual_mov_b32 v4, s3
	flat_load_b64 v[3:4], v[3:4]
	s_wait_loadcnt_dscnt 0x101
	v_cmp_eq_f32_e32 vcc_lo, 0, v1
	v_cmp_eq_f32_e64 s2, 0, v2
	s_and_b32 s4, vcc_lo, s2
	s_mov_b32 s2, -1
	s_and_saveexec_b32 s3, s4
	s_cbranch_execz .LBB102_2
; %bb.1:
	s_wait_loadcnt_dscnt 0x0
	v_cmp_neq_f32_e32 vcc_lo, 1.0, v3
	v_cmp_neq_f32_e64 s2, 0, v4
	s_wait_alu 0xfffe
	s_or_b32 s2, vcc_lo, s2
	s_wait_alu 0xfffe
	s_or_not1_b32 s2, s2, exec_lo
.LBB102_2:
	s_wait_alu 0xfffe
	s_or_b32 exec_lo, exec_lo, s3
	s_and_saveexec_b32 s3, s2
	s_cbranch_execz .LBB102_21
; %bb.3:
	s_load_b64 s[2:3], s[0:1], 0x0
	v_lshrrev_b32_e32 v5, 5, v0
	s_delay_alu instid0(VALU_DEP_1) | instskip(SKIP_1) | instid1(VALU_DEP_1)
	v_lshl_or_b32 v5, ttmp9, 2, v5
	s_wait_kmcnt 0x0
	v_cmp_gt_i32_e32 vcc_lo, s2, v5
	s_and_b32 exec_lo, exec_lo, vcc_lo
	s_cbranch_execz .LBB102_21
; %bb.4:
	s_load_b256 s[4:11], s[0:1], 0x10
	v_ashrrev_i32_e32 v6, 31, v5
	v_and_b32_e32 v0, 31, v0
	s_cmp_lg_u32 s3, 0
	s_delay_alu instid0(VALU_DEP_2) | instskip(SKIP_1) | instid1(VALU_DEP_1)
	v_lshlrev_b64_e32 v[6:7], 2, v[5:6]
	s_wait_kmcnt 0x0
	v_add_co_u32 v6, vcc_lo, s4, v6
	s_delay_alu instid0(VALU_DEP_1) | instskip(SKIP_4) | instid1(VALU_DEP_2)
	v_add_co_ci_u32_e64 v7, null, s5, v7, vcc_lo
	global_load_b64 v[6:7], v[6:7], off
	s_wait_loadcnt 0x0
	v_subrev_nc_u32_e32 v6, s12, v6
	v_subrev_nc_u32_e32 v18, s12, v7
	v_add_nc_u32_e32 v6, v6, v0
	s_delay_alu instid0(VALU_DEP_1)
	v_cmp_lt_i32_e64 s2, v6, v18
	s_cbranch_scc0 .LBB102_10
; %bb.5:
	v_dual_mov_b32 v14, 0 :: v_dual_mov_b32 v19, 0
	v_dual_mov_b32 v20, 0 :: v_dual_mov_b32 v15, 0
	;; [unrolled: 1-line block ×4, first 2 shown]
	s_and_saveexec_b32 s3, s2
	s_cbranch_execz .LBB102_9
; %bb.6:
	v_mad_co_u64_u32 v[7:8], null, v6, 28, 24
	v_dual_mov_b32 v10, 0 :: v_dual_mov_b32 v11, v6
	v_dual_mov_b32 v14, 0 :: v_dual_mov_b32 v19, 0
	;; [unrolled: 1-line block ×5, first 2 shown]
	s_mov_b32 s4, 0
.LBB102_7:                              ; =>This Inner Loop Header: Depth=1
	v_ashrrev_i32_e32 v12, 31, v11
	v_mov_b32_e32 v13, v10
	s_delay_alu instid0(VALU_DEP_2) | instskip(NEXT) | instid1(VALU_DEP_1)
	v_lshlrev_b64_e32 v[8:9], 2, v[11:12]
	v_add_co_u32 v8, vcc_lo, s6, v8
	s_wait_alu 0xfffd
	s_delay_alu instid0(VALU_DEP_2) | instskip(SKIP_3) | instid1(VALU_DEP_2)
	v_add_co_ci_u32_e64 v9, null, s7, v9, vcc_lo
	global_load_b32 v12, v[8:9], off
	v_subrev_nc_u32_e32 v9, 24, v7
	v_mov_b32_e32 v8, v10
	v_lshlrev_b64_e32 v[23:24], 3, v[9:10]
	v_subrev_nc_u32_e32 v9, 20, v7
	s_delay_alu instid0(VALU_DEP_3) | instskip(NEXT) | instid1(VALU_DEP_2)
	v_lshlrev_b64_e32 v[25:26], 3, v[7:8]
	v_lshlrev_b64_e32 v[8:9], 3, v[9:10]
	s_delay_alu instid0(VALU_DEP_4) | instskip(SKIP_2) | instid1(VALU_DEP_4)
	v_add_co_u32 v27, vcc_lo, s8, v23
	s_wait_alu 0xfffd
	v_add_co_ci_u32_e64 v28, null, s9, v24, vcc_lo
	v_add_co_u32 v35, vcc_lo, s8, v25
	s_wait_alu 0xfffd
	v_add_co_ci_u32_e64 v36, null, s9, v26, vcc_lo
	;; [unrolled: 3-line block ×3, first 2 shown]
	s_clause 0x5
	global_load_b128 v[23:26], v[27:28], off offset:16
	global_load_b128 v[27:30], v[27:28], off
	global_load_b128 v[31:34], v[35:36], off offset:16
	global_load_b128 v[35:38], v[35:36], off
	;; [unrolled: 2-line block ×3, first 2 shown]
	s_wait_loadcnt 0x6
	v_subrev_nc_u32_e32 v8, s12, v12
	s_delay_alu instid0(VALU_DEP_1) | instskip(NEXT) | instid1(VALU_DEP_1)
	v_mul_lo_u32 v12, v8, 7
	v_lshlrev_b64_e32 v[47:48], 3, v[12:13]
	s_delay_alu instid0(VALU_DEP_1) | instskip(SKIP_1) | instid1(VALU_DEP_2)
	v_add_co_u32 v47, vcc_lo, s10, v47
	s_wait_alu 0xfffd
	v_add_co_ci_u32_e64 v48, null, s11, v48, vcc_lo
	global_load_b64 v[79:80], v[47:48], off
	s_wait_loadcnt 0x0
	v_dual_fmac_f32 v14, v28, v79 :: v_dual_add_nc_u32 v9, 1, v12
	s_delay_alu instid0(VALU_DEP_1)
	v_lshlrev_b64_e32 v[49:50], 3, v[9:10]
	v_add_nc_u32_e32 v9, -16, v7
	v_fmac_f32_e32 v16, v24, v79
	v_fmac_f32_e32 v22, v29, v79
	;; [unrolled: 1-line block ×4, first 2 shown]
	v_add_co_u32 v47, vcc_lo, s10, v49
	s_wait_alu 0xfffd
	v_add_co_ci_u32_e64 v48, null, s11, v50, vcc_lo
	v_lshlrev_b64_e32 v[51:52], 3, v[9:10]
	v_add_nc_u32_e32 v9, 2, v12
	v_fmac_f32_e32 v16, v23, v80
	global_load_b64 v[81:82], v[47:48], off
	v_fma_f32 v22, -v30, v80, v22
	v_fma_f32 v20, -v26, v80, v20
	v_lshlrev_b64_e32 v[49:50], 3, v[9:10]
	v_add_nc_u32_e32 v9, -12, v7
	v_add_co_u32 v51, vcc_lo, s8, v51
	s_wait_alu 0xfffd
	v_add_co_ci_u32_e64 v52, null, s9, v52, vcc_lo
	s_delay_alu instid0(VALU_DEP_3) | instskip(SKIP_4) | instid1(VALU_DEP_3)
	v_lshlrev_b64_e32 v[55:56], 3, v[9:10]
	v_add_nc_u32_e32 v9, 3, v12
	v_add_co_u32 v57, vcc_lo, s10, v49
	s_wait_alu 0xfffd
	v_add_co_ci_u32_e64 v58, null, s11, v50, vcc_lo
	v_lshlrev_b64_e32 v[59:60], 3, v[9:10]
	s_clause 0x1
	global_load_b128 v[47:50], v[51:52], off offset:16
	global_load_b128 v[51:54], v[51:52], off
	v_add_co_u32 v61, vcc_lo, s8, v55
	global_load_b64 v[83:84], v[57:58], off
	s_wait_alu 0xfffd
	v_add_co_ci_u32_e64 v62, null, s9, v56, vcc_lo
	v_add_co_u32 v65, vcc_lo, s10, v59
	s_wait_alu 0xfffd
	v_add_co_ci_u32_e64 v66, null, s11, v60, vcc_lo
	s_clause 0x1
	global_load_b128 v[55:58], v[61:62], off offset:16
	global_load_b128 v[59:62], v[61:62], off
	v_add_nc_u32_e32 v9, -8, v7
	global_load_b64 v[85:86], v[65:66], off
	s_wait_loadcnt 0x6
	v_fmac_f32_e32 v14, v44, v81
	v_lshlrev_b64_e32 v[63:64], 3, v[9:10]
	v_dual_fmac_f32 v22, v45, v81 :: v_dual_add_nc_u32 v9, 4, v12
	v_dual_fmac_f32 v16, v40, v81 :: v_dual_add_nc_u32 v11, 32, v11
	v_fmac_f32_e32 v20, v41, v81
	s_delay_alu instid0(VALU_DEP_3) | instskip(SKIP_4) | instid1(VALU_DEP_4)
	v_lshlrev_b64_e32 v[67:68], 3, v[9:10]
	v_add_nc_u32_e32 v9, -4, v7
	v_add_co_u32 v69, vcc_lo, s8, v63
	s_wait_alu 0xfffd
	v_add_co_ci_u32_e64 v70, null, s9, v64, vcc_lo
	v_add_co_u32 v73, vcc_lo, s10, v67
	v_lshlrev_b64_e32 v[71:72], 3, v[9:10]
	v_add_nc_u32_e32 v9, 5, v12
	s_wait_alu 0xfffd
	v_add_co_ci_u32_e64 v74, null, s11, v68, vcc_lo
	s_clause 0x1
	global_load_b128 v[63:66], v[69:70], off offset:16
	global_load_b128 v[67:70], v[69:70], off
	v_fmac_f32_e32 v14, v43, v82
	v_lshlrev_b64_e32 v[75:76], 3, v[9:10]
	v_add_nc_u32_e32 v9, 6, v12
	global_load_b64 v[12:13], v[73:74], off
	v_add_co_u32 v77, vcc_lo, s8, v71
	s_wait_alu 0xfffd
	v_add_co_ci_u32_e64 v78, null, s9, v72, vcc_lo
	v_add_co_u32 v87, vcc_lo, s10, v75
	s_wait_alu 0xfffd
	v_add_co_ci_u32_e64 v88, null, s11, v76, vcc_lo
	s_clause 0x1
	global_load_b128 v[71:74], v[77:78], off offset:16
	global_load_b128 v[75:78], v[77:78], off
	global_load_b64 v[87:88], v[87:88], off
	v_lshlrev_b64_e32 v[8:9], 3, v[9:10]
	v_fmac_f32_e32 v16, v39, v82
	s_wait_loadcnt 0x9
	v_fmac_f32_e32 v14, v52, v83
	v_add_nc_u32_e32 v7, 0x380, v7
	v_fma_f32 v22, -v46, v82, v22
	v_fma_f32 v20, -v42, v82, v20
	v_add_co_u32 v8, vcc_lo, s10, v8
	s_wait_alu 0xfffd
	v_add_co_ci_u32_e64 v9, null, s11, v9, vcc_lo
	v_fmac_f32_e32 v16, v48, v83
	v_dual_fmac_f32 v17, v30, v79 :: v_dual_fmac_f32 v14, v51, v84
	global_load_b64 v[8:9], v[8:9], off
	v_fmac_f32_e32 v19, v27, v79
	v_dual_fmac_f32 v16, v47, v84 :: v_dual_fmac_f32 v15, v26, v79
	s_wait_loadcnt 0x7
	v_fmac_f32_e32 v14, v60, v85
	v_fmac_f32_e32 v22, v53, v83
	v_fma_f32 v19, -v28, v80, v19
	v_dual_fmac_f32 v16, v56, v85 :: v_dual_fmac_f32 v15, v25, v80
	v_fmac_f32_e32 v17, v29, v80
	s_delay_alu instid0(VALU_DEP_4) | instskip(NEXT) | instid1(VALU_DEP_4)
	v_fma_f32 v22, -v54, v84, v22
	v_fmac_f32_e32 v19, v43, v81
	v_fmac_f32_e32 v21, v23, v79
	s_delay_alu instid0(VALU_DEP_4) | instskip(NEXT) | instid1(VALU_DEP_4)
	v_dual_fmac_f32 v20, v49, v83 :: v_dual_fmac_f32 v17, v46, v81
	v_fmac_f32_e32 v22, v61, v85
	v_dual_fmac_f32 v15, v42, v81 :: v_dual_fmac_f32 v14, v59, v86
	s_delay_alu instid0(VALU_DEP_4)
	v_fma_f32 v21, -v24, v80, v21
	v_fma_f32 v19, -v44, v82, v19
	;; [unrolled: 1-line block ×4, first 2 shown]
	v_cmp_ge_i32_e32 vcc_lo, v11, v18
	v_fmac_f32_e32 v21, v39, v81
	s_delay_alu instid0(VALU_DEP_4)
	v_dual_fmac_f32 v19, v51, v83 :: v_dual_fmac_f32 v20, v57, v85
	v_fmac_f32_e32 v16, v55, v86
	v_fmac_f32_e32 v17, v45, v82
	s_wait_alu 0xfffe
	s_or_b32 s4, vcc_lo, s4
	v_fma_f32 v19, -v52, v84, v19
	v_fma_f32 v20, -v58, v86, v20
	s_wait_loadcnt 0x4
	v_fmac_f32_e32 v14, v68, v12
	v_fma_f32 v21, -v40, v82, v21
	v_fmac_f32_e32 v15, v41, v82
	v_fmac_f32_e32 v20, v65, v12
	;; [unrolled: 1-line block ×6, first 2 shown]
	v_dual_fmac_f32 v17, v54, v83 :: v_dual_fmac_f32 v22, v69, v12
	v_fmac_f32_e32 v16, v63, v13
	s_delay_alu instid0(VALU_DEP_4) | instskip(NEXT) | instid1(VALU_DEP_4)
	v_fma_f32 v21, -v48, v84, v21
	v_fmac_f32_e32 v15, v49, v84
	s_delay_alu instid0(VALU_DEP_4)
	v_fmac_f32_e32 v17, v53, v84
	s_wait_loadcnt 0x1
	v_dual_fmac_f32 v19, v59, v85 :: v_dual_fmac_f32 v14, v76, v87
	v_dual_fmac_f32 v21, v55, v85 :: v_dual_fmac_f32 v16, v72, v87
	v_fma_f32 v20, -v66, v13, v20
	v_fmac_f32_e32 v15, v58, v85
	v_fmac_f32_e32 v17, v62, v85
	s_delay_alu instid0(VALU_DEP_4) | instskip(SKIP_3) | instid1(VALU_DEP_4)
	v_fma_f32 v21, -v56, v86, v21
	v_fma_f32 v19, -v60, v86, v19
	v_fmac_f32_e32 v20, v73, v87
	v_dual_fmac_f32 v15, v57, v86 :: v_dual_fmac_f32 v16, v71, v88
	v_fmac_f32_e32 v21, v63, v12
	v_dual_fmac_f32 v17, v61, v86 :: v_dual_fmac_f32 v14, v75, v88
	v_fmac_f32_e32 v19, v67, v12
	s_wait_loadcnt 0x0
	v_fmac_f32_e32 v16, v32, v8
	v_fma_f32 v21, -v64, v13, v21
	v_fmac_f32_e32 v15, v66, v12
	v_fma_f32 v20, -v74, v88, v20
	v_fmac_f32_e32 v14, v36, v8
	v_fmac_f32_e32 v17, v70, v12
	;; [unrolled: 1-line block ×3, first 2 shown]
	v_fma_f32 v12, -v68, v13, v19
	v_fmac_f32_e32 v16, v31, v9
	v_fmac_f32_e32 v15, v65, v13
	v_fma_f32 v19, -v70, v13, v22
	v_fmac_f32_e32 v14, v35, v9
	v_fmac_f32_e32 v12, v75, v87
	;; [unrolled: 3-line block ×3, first 2 shown]
	v_fmac_f32_e32 v20, v33, v8
	v_fma_f32 v12, -v76, v88, v12
	v_fmac_f32_e32 v17, v69, v13
	v_fmac_f32_e32 v15, v73, v88
	v_fma_f32 v13, -v78, v88, v19
	v_fmac_f32_e32 v21, v31, v8
	s_delay_alu instid0(VALU_DEP_4) | instskip(NEXT) | instid1(VALU_DEP_4)
	v_dual_fmac_f32 v12, v35, v8 :: v_dual_fmac_f32 v17, v78, v87
	v_fmac_f32_e32 v15, v34, v8
	s_delay_alu instid0(VALU_DEP_4) | instskip(NEXT) | instid1(VALU_DEP_4)
	v_fmac_f32_e32 v13, v37, v8
	v_fma_f32 v21, -v32, v9, v21
	s_delay_alu instid0(VALU_DEP_4) | instskip(SKIP_4) | instid1(VALU_DEP_4)
	v_fma_f32 v19, -v36, v9, v12
	v_fmac_f32_e32 v17, v77, v88
	v_fma_f32 v20, -v34, v9, v20
	v_fma_f32 v22, -v38, v9, v13
	v_fmac_f32_e32 v15, v33, v9
	v_fmac_f32_e32 v17, v38, v8
	s_delay_alu instid0(VALU_DEP_1)
	v_fmac_f32_e32 v17, v37, v9
	s_wait_alu 0xfffe
	s_and_not1_b32 exec_lo, exec_lo, s4
	s_cbranch_execnz .LBB102_7
; %bb.8:
	s_or_b32 exec_lo, exec_lo, s4
.LBB102_9:
	s_wait_alu 0xfffe
	s_or_b32 exec_lo, exec_lo, s3
	s_cbranch_execz .LBB102_11
	s_branch .LBB102_16
.LBB102_10:
                                        ; implicit-def: $vgpr14
                                        ; implicit-def: $vgpr19
                                        ; implicit-def: $vgpr20
                                        ; implicit-def: $vgpr15
                                        ; implicit-def: $vgpr21
                                        ; implicit-def: $vgpr16
                                        ; implicit-def: $vgpr22
                                        ; implicit-def: $vgpr17
.LBB102_11:
	v_dual_mov_b32 v14, 0 :: v_dual_mov_b32 v19, 0
	v_dual_mov_b32 v20, 0 :: v_dual_mov_b32 v15, 0
	;; [unrolled: 1-line block ×4, first 2 shown]
	s_and_saveexec_b32 s3, s2
	s_cbranch_execz .LBB102_15
; %bb.12:
	v_mad_co_u64_u32 v[8:9], null, v6, 28, 27
	v_dual_mov_b32 v11, 0 :: v_dual_mov_b32 v14, 0
	v_dual_mov_b32 v19, 0 :: v_dual_mov_b32 v20, 0
	;; [unrolled: 1-line block ×4, first 2 shown]
	v_mov_b32_e32 v17, 0
	s_mov_b32 s2, 0
.LBB102_13:                             ; =>This Inner Loop Header: Depth=1
	v_ashrrev_i32_e32 v7, 31, v6
	v_subrev_nc_u32_e32 v23, 20, v8
	v_dual_mov_b32 v24, v11 :: v_dual_add_nc_u32 v25, -13, v8
	v_dual_mov_b32 v26, v11 :: v_dual_add_nc_u32 v27, -6, v8
	s_delay_alu instid0(VALU_DEP_4) | instskip(SKIP_1) | instid1(VALU_DEP_4)
	v_lshlrev_b64_e32 v[9:10], 2, v[6:7]
	v_dual_mov_b32 v13, v11 :: v_dual_mov_b32 v28, v11
	v_lshlrev_b64_e32 v[23:24], 3, v[23:24]
	s_delay_alu instid0(VALU_DEP_4) | instskip(NEXT) | instid1(VALU_DEP_4)
	v_lshlrev_b64_e32 v[25:26], 3, v[25:26]
	v_add_co_u32 v9, vcc_lo, s6, v9
	s_wait_alu 0xfffd
	v_add_co_ci_u32_e64 v10, null, s7, v10, vcc_lo
	v_lshlrev_b64_e32 v[27:28], 3, v[27:28]
	global_load_b32 v7, v[9:10], off
	v_subrev_nc_u32_e32 v10, 27, v8
	s_delay_alu instid0(VALU_DEP_1) | instskip(NEXT) | instid1(VALU_DEP_1)
	v_lshlrev_b64_e32 v[29:30], 3, v[10:11]
	v_add_co_u32 v29, vcc_lo, s8, v29
	s_wait_alu 0xfffd
	s_delay_alu instid0(VALU_DEP_2)
	v_add_co_ci_u32_e64 v30, null, s9, v30, vcc_lo
	v_add_co_u32 v31, vcc_lo, s8, v23
	s_wait_alu 0xfffd
	v_add_co_ci_u32_e64 v32, null, s9, v24, vcc_lo
	v_add_co_u32 v33, vcc_lo, s8, v25
	s_wait_alu 0xfffd
	v_add_co_ci_u32_e64 v34, null, s9, v26, vcc_lo
	v_add_co_u32 v35, vcc_lo, s8, v27
	s_wait_alu 0xfffd
	v_add_co_ci_u32_e64 v36, null, s9, v28, vcc_lo
	s_clause 0x4
	global_load_b128 v[23:26], v[29:30], off offset:16
	global_load_b128 v[27:30], v[29:30], off
	global_load_b64 v[31:32], v[31:32], off
	global_load_b64 v[33:34], v[33:34], off
	;; [unrolled: 1-line block ×3, first 2 shown]
	s_wait_loadcnt 0x5
	v_subrev_nc_u32_e32 v7, s12, v7
	s_delay_alu instid0(VALU_DEP_1) | instskip(SKIP_1) | instid1(VALU_DEP_1)
	v_mul_lo_u32 v12, v7, 7
	v_mov_b32_e32 v9, v11
	v_lshlrev_b64_e32 v[9:10], 3, v[8:9]
	s_delay_alu instid0(VALU_DEP_3) | instskip(NEXT) | instid1(VALU_DEP_2)
	v_lshlrev_b64_e32 v[39:40], 3, v[12:13]
	v_add_co_u32 v37, vcc_lo, s8, v9
	s_wait_alu 0xfffd
	s_delay_alu instid0(VALU_DEP_3) | instskip(NEXT) | instid1(VALU_DEP_3)
	v_add_co_ci_u32_e64 v38, null, s9, v10, vcc_lo
	v_add_co_u32 v39, vcc_lo, s10, v39
	s_wait_alu 0xfffd
	v_add_co_ci_u32_e64 v40, null, s11, v40, vcc_lo
	v_add_nc_u32_e32 v10, 1, v12
	global_load_b64 v[39:40], v[39:40], off
	v_lshlrev_b64_e32 v[41:42], 3, v[10:11]
	v_subrev_nc_u32_e32 v10, 19, v8
	s_delay_alu instid0(VALU_DEP_2) | instskip(SKIP_1) | instid1(VALU_DEP_3)
	v_add_co_u32 v41, vcc_lo, s10, v41
	s_wait_alu 0xfffd
	v_add_co_ci_u32_e64 v42, null, s11, v42, vcc_lo
	s_delay_alu instid0(VALU_DEP_3)
	v_lshlrev_b64_e32 v[43:44], 3, v[10:11]
	global_load_b64 v[41:42], v[41:42], off
	v_add_nc_u32_e32 v10, -12, v8
	v_add_co_u32 v43, vcc_lo, s8, v43
	s_wait_alu 0xfffd
	v_add_co_ci_u32_e64 v44, null, s9, v44, vcc_lo
	global_load_b64 v[43:44], v[43:44], off
	s_wait_loadcnt 0x2
	v_fmac_f32_e32 v19, v27, v39
	v_lshlrev_b64_e32 v[45:46], 3, v[10:11]
	v_dual_fmac_f32 v17, v32, v39 :: v_dual_add_nc_u32 v10, -5, v8
	v_fmac_f32_e32 v21, v33, v39
	s_delay_alu instid0(VALU_DEP_4) | instskip(SKIP_1) | instid1(VALU_DEP_4)
	v_fma_f32 v7, -v28, v40, v19
	v_fmac_f32_e32 v22, v31, v39
	v_lshlrev_b64_e32 v[47:48], 3, v[10:11]
	v_add_co_u32 v45, vcc_lo, s8, v45
	s_wait_alu 0xfffd
	v_add_co_ci_u32_e64 v46, null, s9, v46, vcc_lo
	v_add_nc_u32_e32 v10, 2, v12
	s_delay_alu instid0(VALU_DEP_4)
	v_add_co_u32 v47, vcc_lo, s8, v47
	s_wait_alu 0xfffd
	v_add_co_ci_u32_e64 v48, null, s9, v48, vcc_lo
	global_load_b64 v[45:46], v[45:46], off
	v_lshlrev_b64_e32 v[49:50], 3, v[10:11]
	v_subrev_nc_u32_e32 v10, 18, v8
	global_load_b64 v[47:48], v[47:48], off
	v_fmac_f32_e32 v15, v36, v39
	s_wait_loadcnt 0x3
	v_fmac_f32_e32 v7, v29, v41
	v_fma_f32 v19, -v32, v40, v22
	v_add_co_u32 v49, vcc_lo, s10, v49
	s_wait_alu 0xfffd
	v_add_co_ci_u32_e64 v50, null, s11, v50, vcc_lo
	v_lshlrev_b64_e32 v[51:52], 3, v[10:11]
	s_wait_loadcnt 0x2
	v_dual_fmac_f32 v19, v43, v41 :: v_dual_add_nc_u32 v10, -11, v8
	global_load_b64 v[49:50], v[49:50], off
	v_dual_fmac_f32 v17, v31, v40 :: v_dual_add_nc_u32 v6, 32, v6
	v_add_co_u32 v51, vcc_lo, s8, v51
	s_wait_alu 0xfffd
	v_add_co_ci_u32_e64 v52, null, s9, v52, vcc_lo
	v_lshlrev_b64_e32 v[53:54], 3, v[10:11]
	v_dual_fmac_f32 v17, v44, v41 :: v_dual_add_nc_u32 v10, -4, v8
	global_load_b64 v[51:52], v[51:52], off
	v_fma_f32 v21, -v34, v40, v21
	v_dual_fmac_f32 v14, v28, v39 :: v_dual_fmac_f32 v15, v35, v40
	v_add_co_u32 v53, vcc_lo, s8, v53
	s_wait_alu 0xfffd
	v_add_co_ci_u32_e64 v54, null, s9, v54, vcc_lo
	v_lshlrev_b64_e32 v[55:56], 3, v[10:11]
	v_dual_fmac_f32 v17, v43, v42 :: v_dual_add_nc_u32 v10, 3, v12
	global_load_b64 v[53:54], v[53:54], off
	v_fma_f32 v7, -v30, v42, v7
	v_fma_f32 v19, -v44, v42, v19
	v_add_co_u32 v55, vcc_lo, s8, v55
	s_wait_alu 0xfffd
	v_add_co_ci_u32_e64 v56, null, s9, v56, vcc_lo
	v_lshlrev_b64_e32 v[57:58], 3, v[10:11]
	v_subrev_nc_u32_e32 v10, 17, v8
	global_load_b64 v[55:56], v[55:56], off
	v_add_co_u32 v57, vcc_lo, s10, v57
	s_wait_alu 0xfffd
	v_add_co_ci_u32_e64 v58, null, s11, v58, vcc_lo
	v_lshlrev_b64_e32 v[59:60], 3, v[10:11]
	v_add_nc_u32_e32 v10, -10, v8
	global_load_b64 v[57:58], v[57:58], off
	v_lshlrev_b64_e32 v[61:62], 3, v[10:11]
	v_add_nc_u32_e32 v10, -3, v8
	v_add_co_u32 v59, vcc_lo, s8, v59
	s_wait_alu 0xfffd
	v_add_co_ci_u32_e64 v60, null, s9, v60, vcc_lo
	s_delay_alu instid0(VALU_DEP_3) | instskip(SKIP_4) | instid1(VALU_DEP_3)
	v_lshlrev_b64_e32 v[63:64], 3, v[10:11]
	v_subrev_nc_u32_e32 v10, 23, v8
	v_add_co_u32 v61, vcc_lo, s8, v61
	s_wait_alu 0xfffd
	v_add_co_ci_u32_e64 v62, null, s9, v62, vcc_lo
	v_lshlrev_b64_e32 v[65:66], 3, v[10:11]
	v_add_nc_u32_e32 v10, 4, v12
	v_add_co_u32 v63, vcc_lo, s8, v63
	s_wait_alu 0xfffd
	v_add_co_ci_u32_e64 v64, null, s9, v64, vcc_lo
	s_delay_alu instid0(VALU_DEP_4)
	v_add_co_u32 v65, vcc_lo, s8, v65
	s_clause 0x2
	global_load_b64 v[59:60], v[59:60], off
	global_load_b64 v[61:62], v[61:62], off
	;; [unrolled: 1-line block ×3, first 2 shown]
	s_wait_alu 0xfffd
	v_add_co_ci_u32_e64 v66, null, s9, v66, vcc_lo
	global_load_b64 v[65:66], v[65:66], off
	s_wait_loadcnt 0xa
	v_fmac_f32_e32 v21, v45, v41
	v_lshlrev_b64_e32 v[67:68], 3, v[10:11]
	s_wait_loadcnt 0x9
	v_dual_fmac_f32 v15, v48, v41 :: v_dual_add_nc_u32 v10, -16, v8
	s_delay_alu instid0(VALU_DEP_3) | instskip(NEXT) | instid1(VALU_DEP_2)
	v_fma_f32 v21, -v46, v42, v21
	v_lshlrev_b64_e32 v[69:70], 3, v[10:11]
	s_delay_alu instid0(VALU_DEP_3) | instskip(SKIP_3) | instid1(VALU_DEP_3)
	v_dual_fmac_f32 v15, v47, v42 :: v_dual_add_nc_u32 v10, -9, v8
	v_add_co_u32 v67, vcc_lo, s10, v67
	s_wait_alu 0xfffd
	v_add_co_ci_u32_e64 v68, null, s11, v68, vcc_lo
	v_lshlrev_b64_e32 v[71:72], 3, v[10:11]
	s_wait_loadcnt 0x8
	v_dual_fmac_f32 v7, v23, v49 :: v_dual_add_nc_u32 v10, -2, v8
	v_add_co_u32 v69, vcc_lo, s8, v69
	s_wait_alu 0xfffd
	v_add_co_ci_u32_e64 v70, null, s9, v70, vcc_lo
	s_delay_alu instid0(VALU_DEP_3)
	v_lshlrev_b64_e32 v[73:74], 3, v[10:11]
	v_subrev_nc_u32_e32 v10, 22, v8
	v_add_co_u32 v71, vcc_lo, s8, v71
	s_wait_loadcnt 0x7
	v_fmac_f32_e32 v19, v51, v49
	v_fmac_f32_e32 v17, v52, v49
	v_lshlrev_b64_e32 v[75:76], 3, v[10:11]
	v_add_nc_u32_e32 v10, 5, v12
	s_wait_alu 0xfffd
	v_add_co_ci_u32_e64 v72, null, s9, v72, vcc_lo
	v_add_co_u32 v73, vcc_lo, s8, v73
	s_delay_alu instid0(VALU_DEP_3) | instskip(SKIP_4) | instid1(VALU_DEP_3)
	v_lshlrev_b64_e32 v[77:78], 3, v[10:11]
	v_dual_fmac_f32 v17, v51, v50 :: v_dual_add_nc_u32 v10, -15, v8
	s_wait_alu 0xfffd
	v_add_co_ci_u32_e64 v74, null, s9, v74, vcc_lo
	v_add_co_u32 v75, vcc_lo, s8, v75
	v_lshlrev_b64_e32 v[79:80], 3, v[10:11]
	v_add_nc_u32_e32 v10, -8, v8
	global_load_b64 v[67:68], v[67:68], off
	s_clause 0x2
	global_load_b64 v[69:70], v[69:70], off
	global_load_b64 v[71:72], v[71:72], off
	;; [unrolled: 1-line block ×3, first 2 shown]
	v_lshlrev_b64_e32 v[81:82], 3, v[10:11]
	s_wait_loadcnt 0xa
	v_dual_fmac_f32 v21, v53, v49 :: v_dual_add_nc_u32 v10, -1, v8
	s_wait_alu 0xfffd
	v_add_co_ci_u32_e64 v76, null, s9, v76, vcc_lo
	v_add_co_u32 v77, vcc_lo, s10, v77
	s_delay_alu instid0(VALU_DEP_3)
	v_lshlrev_b64_e32 v[83:84], 3, v[10:11]
	v_subrev_nc_u32_e32 v10, 21, v8
	s_wait_alu 0xfffd
	v_add_co_ci_u32_e64 v78, null, s11, v78, vcc_lo
	v_add_co_u32 v79, vcc_lo, s8, v79
	s_wait_alu 0xfffd
	v_add_co_ci_u32_e64 v80, null, s9, v80, vcc_lo
	v_lshlrev_b64_e32 v[85:86], 3, v[10:11]
	s_wait_loadcnt 0x9
	v_dual_fmac_f32 v15, v56, v49 :: v_dual_add_nc_u32 v10, 6, v12
	v_add_co_u32 v81, vcc_lo, s8, v81
	global_load_b64 v[77:78], v[77:78], off
	global_load_b64 v[79:80], v[79:80], off
	s_wait_alu 0xfffd
	v_add_co_ci_u32_e64 v82, null, s9, v82, vcc_lo
	v_add_co_u32 v12, vcc_lo, s8, v83
	s_wait_alu 0xfffd
	v_add_co_ci_u32_e64 v13, null, s9, v84, vcc_lo
	v_lshlrev_b64_e32 v[83:84], 3, v[10:11]
	global_load_b64 v[75:76], v[75:76], off
	v_add_co_u32 v85, vcc_lo, s8, v85
	s_wait_alu 0xfffd
	v_add_co_ci_u32_e64 v86, null, s9, v86, vcc_lo
	v_add_co_u32 v83, vcc_lo, s10, v83
	v_dual_fmac_f32 v15, v55, v50 :: v_dual_add_nc_u32 v10, -14, v8
	s_wait_alu 0xfffd
	v_add_co_ci_u32_e64 v84, null, s11, v84, vcc_lo
	v_fma_f32 v7, -v24, v50, v7
	s_delay_alu instid0(VALU_DEP_3)
	v_lshlrev_b64_e32 v[87:88], 3, v[10:11]
	v_add_nc_u32_e32 v10, -7, v8
	s_clause 0x1
	global_load_b64 v[12:13], v[12:13], off
	global_load_b64 v[85:86], v[85:86], off
	;; [unrolled: 1-line block ×3, first 2 shown]
	s_wait_loadcnt 0xe
	v_fmac_f32_e32 v7, v25, v57
	v_lshlrev_b64_e32 v[9:10], 3, v[10:11]
	global_load_b64 v[81:82], v[81:82], off
	v_add_co_u32 v87, vcc_lo, s8, v87
	s_wait_alu 0xfffd
	v_add_co_ci_u32_e64 v88, null, s9, v88, vcc_lo
	v_add_co_u32 v9, vcc_lo, s8, v9
	s_wait_alu 0xfffd
	v_add_co_ci_u32_e64 v10, null, s9, v10, vcc_lo
	s_clause 0x2
	global_load_b64 v[87:88], v[87:88], off
	global_load_b64 v[9:10], v[9:10], off
	;; [unrolled: 1-line block ×3, first 2 shown]
	s_wait_loadcnt 0xf
	v_dual_fmac_f32 v14, v27, v40 :: v_dual_fmac_f32 v15, v64, v57
	v_fma_f32 v19, -v52, v50, v19
	v_dual_fmac_f32 v17, v60, v57 :: v_dual_fmac_f32 v16, v34, v39
	v_add_nc_u32_e32 v8, 0x380, v8
	v_fma_f32 v21, -v54, v50, v21
	v_fmac_f32_e32 v20, v35, v39
	v_fmac_f32_e32 v19, v59, v57
	v_fma_f32 v7, -v26, v58, v7
	v_dual_fmac_f32 v14, v30, v41 :: v_dual_fmac_f32 v17, v59, v58
	v_dual_fmac_f32 v16, v33, v40 :: v_dual_fmac_f32 v15, v63, v58
	s_delay_alu instid0(VALU_DEP_4) | instskip(SKIP_2) | instid1(VALU_DEP_4)
	v_fma_f32 v19, -v60, v58, v19
	v_fmac_f32_e32 v21, v61, v57
	v_fma_f32 v20, -v36, v40, v20
	v_fmac_f32_e32 v16, v46, v41
	v_cmp_ge_i32_e32 vcc_lo, v6, v18
	s_delay_alu instid0(VALU_DEP_4)
	v_fma_f32 v21, -v62, v58, v21
	s_wait_alu 0xfffe
	s_or_b32 s2, vcc_lo, s2
	s_wait_loadcnt 0xd
	v_fmac_f32_e32 v7, v65, v67
	s_wait_loadcnt 0xc
	v_dual_fmac_f32 v14, v29, v42 :: v_dual_fmac_f32 v17, v70, v67
	v_dual_fmac_f32 v20, v47, v41 :: v_dual_fmac_f32 v19, v69, v67
	s_wait_loadcnt 0xb
	v_dual_fmac_f32 v16, v45, v42 :: v_dual_fmac_f32 v21, v71, v67
	s_delay_alu instid0(VALU_DEP_3)
	v_dual_fmac_f32 v17, v69, v68 :: v_dual_fmac_f32 v14, v24, v49
	s_wait_loadcnt 0xa
	v_fmac_f32_e32 v15, v74, v67
	v_fma_f32 v7, -v66, v68, v7
	v_fma_f32 v20, -v48, v42, v20
	;; [unrolled: 1-line block ×3, first 2 shown]
	s_delay_alu instid0(VALU_DEP_4)
	v_dual_fmac_f32 v14, v23, v50 :: v_dual_fmac_f32 v15, v73, v68
	v_fma_f32 v21, -v72, v68, v21
	s_wait_loadcnt 0x8
	v_fmac_f32_e32 v17, v80, v77
	v_fmac_f32_e32 v16, v54, v49
	;; [unrolled: 1-line block ×3, first 2 shown]
	s_delay_alu instid0(VALU_DEP_3) | instskip(NEXT) | instid1(VALU_DEP_3)
	v_fmac_f32_e32 v17, v79, v78
	v_fmac_f32_e32 v16, v53, v50
	s_delay_alu instid0(VALU_DEP_3) | instskip(SKIP_2) | instid1(VALU_DEP_3)
	v_fma_f32 v22, -v80, v78, v19
	s_wait_loadcnt 0x7
	v_fmac_f32_e32 v7, v75, v77
	v_fmac_f32_e32 v16, v62, v57
	s_delay_alu instid0(VALU_DEP_2)
	v_fma_f32 v7, -v76, v78, v7
	v_fmac_f32_e32 v14, v26, v57
	s_wait_loadcnt 0x6
	v_fmac_f32_e32 v15, v13, v77
	s_wait_loadcnt 0x4
	v_dual_fmac_f32 v20, v55, v49 :: v_dual_fmac_f32 v7, v85, v83
	v_fmac_f32_e32 v14, v25, v58
	s_wait_loadcnt 0x3
	v_fmac_f32_e32 v21, v81, v77
	v_fmac_f32_e32 v15, v12, v78
	v_fma_f32 v20, -v56, v50, v20
	v_fmac_f32_e32 v14, v66, v67
	v_fma_f32 v19, -v86, v84, v7
	v_fma_f32 v21, -v82, v78, v21
	s_delay_alu instid0(VALU_DEP_4)
	v_fmac_f32_e32 v20, v63, v57
	s_wait_loadcnt 0x2
	v_dual_fmac_f32 v14, v65, v68 :: v_dual_fmac_f32 v17, v88, v83
	s_wait_loadcnt 0x1
	v_fmac_f32_e32 v21, v9, v83
	s_wait_loadcnt 0x0
	v_dual_fmac_f32 v16, v61, v58 :: v_dual_fmac_f32 v15, v38, v83
	v_fma_f32 v20, -v64, v58, v20
	v_dual_fmac_f32 v17, v87, v84 :: v_dual_fmac_f32 v14, v76, v77
	s_delay_alu instid0(VALU_DEP_3) | instskip(NEXT) | instid1(VALU_DEP_3)
	v_dual_fmac_f32 v16, v72, v67 :: v_dual_fmac_f32 v15, v37, v84
	v_fmac_f32_e32 v20, v73, v67
	v_fmac_f32_e32 v22, v87, v83
	s_delay_alu instid0(VALU_DEP_4) | instskip(SKIP_1) | instid1(VALU_DEP_4)
	v_fmac_f32_e32 v14, v75, v78
	v_fma_f32 v21, -v10, v84, v21
	v_fma_f32 v20, -v74, v68, v20
	s_delay_alu instid0(VALU_DEP_4) | instskip(NEXT) | instid1(VALU_DEP_4)
	v_fma_f32 v22, -v88, v84, v22
	v_fmac_f32_e32 v14, v86, v83
	s_delay_alu instid0(VALU_DEP_3) | instskip(NEXT) | instid1(VALU_DEP_2)
	v_fmac_f32_e32 v20, v12, v77
	v_fmac_f32_e32 v14, v85, v84
	s_delay_alu instid0(VALU_DEP_2) | instskip(NEXT) | instid1(VALU_DEP_1)
	v_fma_f32 v13, -v13, v78, v20
	v_dual_fmac_f32 v16, v71, v68 :: v_dual_fmac_f32 v13, v37, v83
	s_delay_alu instid0(VALU_DEP_1) | instskip(NEXT) | instid1(VALU_DEP_2)
	v_fmac_f32_e32 v16, v82, v77
	v_fma_f32 v20, -v38, v84, v13
	s_delay_alu instid0(VALU_DEP_2) | instskip(NEXT) | instid1(VALU_DEP_1)
	v_fmac_f32_e32 v16, v81, v78
	v_fmac_f32_e32 v16, v10, v83
	s_delay_alu instid0(VALU_DEP_1)
	v_fmac_f32_e32 v16, v9, v84
	s_wait_alu 0xfffe
	s_and_not1_b32 exec_lo, exec_lo, s2
	s_cbranch_execnz .LBB102_13
; %bb.14:
	s_or_b32 exec_lo, exec_lo, s2
.LBB102_15:
	s_wait_alu 0xfffe
	s_or_b32 exec_lo, exec_lo, s3
.LBB102_16:
	v_mbcnt_lo_u32_b32 v6, -1, 0
	s_delay_alu instid0(VALU_DEP_1) | instskip(SKIP_1) | instid1(VALU_DEP_2)
	v_xor_b32_e32 v7, 16, v6
	v_xor_b32_e32 v23, 8, v6
	v_cmp_gt_i32_e32 vcc_lo, 32, v7
	s_wait_alu 0xfffd
	v_cndmask_b32_e32 v7, v6, v7, vcc_lo
	s_delay_alu instid0(VALU_DEP_3) | instskip(NEXT) | instid1(VALU_DEP_2)
	v_cmp_gt_i32_e32 vcc_lo, 32, v23
	v_lshlrev_b32_e32 v7, 2, v7
	ds_bpermute_b32 v10, v7, v22
	s_wait_dscnt 0x0
	v_add_f32_e32 v10, v22, v10
	ds_bpermute_b32 v12, v7, v21
	ds_bpermute_b32 v8, v7, v19
	;; [unrolled: 1-line block ×5, first 2 shown]
	s_wait_alu 0xfffd
	v_cndmask_b32_e32 v23, v6, v23, vcc_lo
	ds_bpermute_b32 v13, v7, v16
	ds_bpermute_b32 v7, v7, v15
	s_wait_dscnt 0x6
	v_dual_add_f32 v12, v21, v12 :: v_dual_lshlrev_b32 v23, 2, v23
	s_wait_dscnt 0x4
	v_dual_add_f32 v8, v19, v8 :: v_dual_add_f32 v9, v14, v9
	s_wait_dscnt 0x2
	v_dual_add_f32 v11, v17, v11 :: v_dual_add_f32 v14, v20, v18
	ds_bpermute_b32 v17, v23, v10
	ds_bpermute_b32 v19, v23, v12
	;; [unrolled: 1-line block ×3, first 2 shown]
	s_wait_dscnt 0x3
	v_add_f32_e32 v7, v15, v7
	ds_bpermute_b32 v15, v23, v8
	s_wait_dscnt 0x3
	v_add_f32_e32 v10, v10, v17
	ds_bpermute_b32 v18, v23, v11
	s_wait_dscnt 0x3
	v_add_f32_e32 v12, v12, v19
	s_wait_dscnt 0x2
	v_add_f32_e32 v14, v14, v21
	ds_bpermute_b32 v22, v23, v7
	s_wait_dscnt 0x1
	v_dual_add_f32 v8, v8, v15 :: v_dual_add_f32 v11, v11, v18
	v_add_f32_e32 v13, v16, v13
	ds_bpermute_b32 v16, v23, v9
	s_wait_dscnt 0x1
	v_add_f32_e32 v7, v7, v22
	ds_bpermute_b32 v20, v23, v13
	v_xor_b32_e32 v23, 4, v6
	s_delay_alu instid0(VALU_DEP_1) | instskip(SKIP_2) | instid1(VALU_DEP_1)
	v_cmp_gt_i32_e32 vcc_lo, 32, v23
	s_wait_alu 0xfffd
	v_cndmask_b32_e32 v23, v6, v23, vcc_lo
	v_lshlrev_b32_e32 v23, 2, v23
	s_wait_dscnt 0x1
	v_add_f32_e32 v9, v9, v16
	ds_bpermute_b32 v18, v23, v11
	ds_bpermute_b32 v16, v23, v9
	;; [unrolled: 1-line block ×3, first 2 shown]
	s_wait_dscnt 0x1
	v_dual_add_f32 v9, v9, v16 :: v_dual_add_f32 v16, v11, v18
	s_wait_dscnt 0x0
	v_add_f32_e32 v18, v14, v21
	ds_bpermute_b32 v19, v23, v12
	v_add_f32_e32 v13, v13, v20
	ds_bpermute_b32 v15, v23, v8
	ds_bpermute_b32 v17, v23, v10
	;; [unrolled: 1-line block ×3, first 2 shown]
	s_wait_dscnt 0x3
	v_add_f32_e32 v12, v12, v19
	ds_bpermute_b32 v20, v23, v13
	v_xor_b32_e32 v23, 2, v6
	s_wait_dscnt 0x2
	v_dual_add_f32 v8, v8, v15 :: v_dual_add_f32 v15, v10, v17
	s_wait_dscnt 0x1
	v_add_f32_e32 v19, v7, v22
	v_cmp_gt_i32_e32 vcc_lo, 32, v23
	s_wait_alu 0xfffd
	v_cndmask_b32_e32 v23, v6, v23, vcc_lo
	s_delay_alu instid0(VALU_DEP_1)
	v_lshlrev_b32_e32 v23, 2, v23
	s_wait_dscnt 0x0
	v_add_f32_e32 v17, v13, v20
	ds_bpermute_b32 v7, v23, v8
	ds_bpermute_b32 v10, v23, v9
	;; [unrolled: 1-line block ×8, first 2 shown]
	v_xor_b32_e32 v23, 1, v6
	s_delay_alu instid0(VALU_DEP_1)
	v_cmp_gt_i32_e32 vcc_lo, 32, v23
	s_wait_alu 0xfffd
	v_cndmask_b32_e32 v6, v6, v23, vcc_lo
	v_cmp_eq_u32_e32 vcc_lo, 31, v0
	s_wait_dscnt 0x5
	v_add_f32_e32 v11, v15, v11
	s_delay_alu instid0(VALU_DEP_3)
	v_dual_add_f32 v6, v8, v7 :: v_dual_lshlrev_b32 v23, 2, v6
	s_wait_dscnt 0x4
	v_dual_add_f32 v10, v9, v10 :: v_dual_add_f32 v13, v16, v13
	s_wait_dscnt 0x2
	v_dual_add_f32 v14, v12, v14 :: v_dual_add_f32 v15, v17, v20
	s_wait_dscnt 0x1
	v_add_f32_e32 v7, v18, v21
	s_wait_dscnt 0x0
	v_add_f32_e32 v9, v19, v22
	ds_bpermute_b32 v8, v23, v6
	ds_bpermute_b32 v12, v23, v10
	;; [unrolled: 1-line block ×8, first 2 shown]
	s_and_b32 exec_lo, exec_lo, vcc_lo
	s_cbranch_execz .LBB102_21
; %bb.17:
	s_load_b64 s[2:3], s[0:1], 0x38
	v_cmp_eq_f32_e32 vcc_lo, 0, v3
	v_cmp_eq_f32_e64 s0, 0, v4
	s_wait_dscnt 0x7
	v_add_f32_e32 v8, v6, v8
	s_wait_dscnt 0x0
	v_dual_add_f32 v12, v10, v12 :: v_dual_add_f32 v9, v9, v17
	v_dual_add_f32 v0, v11, v18 :: v_dual_add_f32 v11, v13, v19
	v_add_f32_e32 v6, v14, v20
	v_add_f32_e32 v10, v15, v21
	v_add_f32_e32 v7, v7, v16
	s_and_b32 s0, vcc_lo, s0
	s_wait_alu 0xfffe
	s_and_saveexec_b32 s1, s0
	s_wait_alu 0xfffe
	s_xor_b32 s0, exec_lo, s1
	s_cbranch_execz .LBB102_19
; %bb.18:
	v_dual_mul_f32 v14, v1, v12 :: v_dual_lshlrev_b32 v3, 2, v5
	v_mul_f32_e64 v13, v12, -v2
	v_mul_f32_e64 v15, v11, -v2
	v_mul_f32_e32 v16, v1, v11
	s_delay_alu instid0(VALU_DEP_4)
	v_ashrrev_i32_e32 v4, 31, v3
	v_mul_f32_e64 v17, v10, -v2
	v_mul_f32_e32 v18, v1, v10
	v_mul_f32_e64 v19, v9, -v2
	v_mul_f32_e32 v20, v1, v9
	v_lshlrev_b64_e32 v[3:4], 3, v[3:4]
	s_delay_alu instid0(VALU_DEP_4) | instskip(SKIP_1) | instid1(VALU_DEP_4)
	v_dual_fmac_f32 v13, v1, v8 :: v_dual_fmac_f32 v18, v2, v6
	v_dual_fmac_f32 v14, v2, v8 :: v_dual_fmac_f32 v17, v1, v6
	;; [unrolled: 1-line block ×3, first 2 shown]
	s_wait_kmcnt 0x0
	s_delay_alu instid0(VALU_DEP_4)
	v_add_co_u32 v3, vcc_lo, s2, v3
	s_wait_alu 0xfffd
	v_add_co_ci_u32_e64 v4, null, s3, v4, vcc_lo
	v_dual_fmac_f32 v16, v2, v0 :: v_dual_fmac_f32 v19, v1, v7
	s_clause 0x1
	global_store_b128 v[3:4], v[13:16], off
	global_store_b128 v[3:4], v[17:20], off offset:16
                                        ; implicit-def: $vgpr5
                                        ; implicit-def: $vgpr8
                                        ; implicit-def: $vgpr12
                                        ; implicit-def: $vgpr0
                                        ; implicit-def: $vgpr11
                                        ; implicit-def: $vgpr6
                                        ; implicit-def: $vgpr10
                                        ; implicit-def: $vgpr7
                                        ; implicit-def: $vgpr9
                                        ; implicit-def: $vgpr1_vgpr2
                                        ; implicit-def: $vgpr3_vgpr4
.LBB102_19:
	s_wait_alu 0xfffe
	s_and_not1_saveexec_b32 s0, s0
	s_cbranch_execz .LBB102_21
; %bb.20:
	v_dual_mul_f32 v22, v1, v12 :: v_dual_lshlrev_b32 v13, 2, v5
	v_mul_f32_e64 v5, v12, -v2
	v_mul_f32_e64 v23, v11, -v2
	;; [unrolled: 1-line block ×3, first 2 shown]
	s_delay_alu instid0(VALU_DEP_4) | instskip(NEXT) | instid1(VALU_DEP_4)
	v_ashrrev_i32_e32 v14, 31, v13
	v_fmac_f32_e32 v5, v1, v8
	s_delay_alu instid0(VALU_DEP_2) | instskip(SKIP_1) | instid1(VALU_DEP_1)
	v_lshlrev_b64_e32 v[13:14], 3, v[13:14]
	s_wait_kmcnt 0x0
	v_add_co_u32 v25, vcc_lo, s2, v13
	s_wait_alu 0xfffd
	s_delay_alu instid0(VALU_DEP_2)
	v_add_co_ci_u32_e64 v26, null, s3, v14, vcc_lo
	s_clause 0x1
	global_load_b128 v[13:16], v[25:26], off
	global_load_b128 v[17:20], v[25:26], off offset:16
	v_mul_f32_e32 v24, v1, v11
	v_mul_f32_e64 v11, v10, -v2
	s_delay_alu instid0(VALU_DEP_1) | instskip(SKIP_1) | instid1(VALU_DEP_1)
	v_dual_fmac_f32 v22, v2, v8 :: v_dual_fmac_f32 v11, v1, v6
	s_wait_loadcnt 0x1
	v_dual_fmac_f32 v27, v1, v7 :: v_dual_fmac_f32 v22, v4, v13
	s_wait_loadcnt 0x0
	s_delay_alu instid0(VALU_DEP_1) | instskip(SKIP_3) | instid1(VALU_DEP_4)
	v_dual_mul_f32 v12, v1, v9 :: v_dual_fmac_f32 v27, v3, v19
	v_fmac_f32_e32 v23, v1, v0
	v_fmac_f32_e32 v11, v3, v17
	;; [unrolled: 1-line block ×4, first 2 shown]
	s_delay_alu instid0(VALU_DEP_4) | instskip(NEXT) | instid1(VALU_DEP_4)
	v_dual_mul_f32 v10, v1, v10 :: v_dual_fmac_f32 v23, v3, v15
	v_fma_f32 v9, -v4, v18, v11
	v_fma_f32 v11, -v4, v20, v27
	s_delay_alu instid0(VALU_DEP_4) | instskip(NEXT) | instid1(VALU_DEP_4)
	v_fmac_f32_e32 v12, v4, v19
	v_dual_fmac_f32 v10, v2, v6 :: v_dual_fmac_f32 v5, v3, v13
	v_fmac_f32_e32 v24, v2, v0
	v_fma_f32 v23, -v4, v16, v23
	s_delay_alu instid0(VALU_DEP_4) | instskip(NEXT) | instid1(VALU_DEP_4)
	v_fmac_f32_e32 v12, v3, v20
	v_fmac_f32_e32 v10, v4, v17
	v_fma_f32 v21, -v4, v14, v5
	v_fmac_f32_e32 v24, v4, v15
	s_delay_alu instid0(VALU_DEP_3) | instskip(NEXT) | instid1(VALU_DEP_2)
	v_fmac_f32_e32 v10, v3, v18
	v_fmac_f32_e32 v24, v3, v16
	s_clause 0x1
	global_store_b128 v[25:26], v[21:24], off
	global_store_b128 v[25:26], v[9:12], off offset:16
.LBB102_21:
	s_endpgm
	.section	.rodata,"a",@progbits
	.p2align	6, 0x0
	.amdhsa_kernel _ZN9rocsparseL19gebsrmvn_4xn_kernelILj128ELj7ELj32E21rocsparse_complex_numIfEEEvi20rocsparse_direction_NS_24const_host_device_scalarIT2_EEPKiS8_PKS5_SA_S6_PS5_21rocsparse_index_base_b
		.amdhsa_group_segment_fixed_size 0
		.amdhsa_private_segment_fixed_size 0
		.amdhsa_kernarg_size 72
		.amdhsa_user_sgpr_count 2
		.amdhsa_user_sgpr_dispatch_ptr 0
		.amdhsa_user_sgpr_queue_ptr 0
		.amdhsa_user_sgpr_kernarg_segment_ptr 1
		.amdhsa_user_sgpr_dispatch_id 0
		.amdhsa_user_sgpr_private_segment_size 0
		.amdhsa_wavefront_size32 1
		.amdhsa_uses_dynamic_stack 0
		.amdhsa_enable_private_segment 0
		.amdhsa_system_sgpr_workgroup_id_x 1
		.amdhsa_system_sgpr_workgroup_id_y 0
		.amdhsa_system_sgpr_workgroup_id_z 0
		.amdhsa_system_sgpr_workgroup_info 0
		.amdhsa_system_vgpr_workitem_id 0
		.amdhsa_next_free_vgpr 89
		.amdhsa_next_free_sgpr 14
		.amdhsa_reserve_vcc 1
		.amdhsa_float_round_mode_32 0
		.amdhsa_float_round_mode_16_64 0
		.amdhsa_float_denorm_mode_32 3
		.amdhsa_float_denorm_mode_16_64 3
		.amdhsa_fp16_overflow 0
		.amdhsa_workgroup_processor_mode 1
		.amdhsa_memory_ordered 1
		.amdhsa_forward_progress 1
		.amdhsa_inst_pref_size 43
		.amdhsa_round_robin_scheduling 0
		.amdhsa_exception_fp_ieee_invalid_op 0
		.amdhsa_exception_fp_denorm_src 0
		.amdhsa_exception_fp_ieee_div_zero 0
		.amdhsa_exception_fp_ieee_overflow 0
		.amdhsa_exception_fp_ieee_underflow 0
		.amdhsa_exception_fp_ieee_inexact 0
		.amdhsa_exception_int_div_zero 0
	.end_amdhsa_kernel
	.section	.text._ZN9rocsparseL19gebsrmvn_4xn_kernelILj128ELj7ELj32E21rocsparse_complex_numIfEEEvi20rocsparse_direction_NS_24const_host_device_scalarIT2_EEPKiS8_PKS5_SA_S6_PS5_21rocsparse_index_base_b,"axG",@progbits,_ZN9rocsparseL19gebsrmvn_4xn_kernelILj128ELj7ELj32E21rocsparse_complex_numIfEEEvi20rocsparse_direction_NS_24const_host_device_scalarIT2_EEPKiS8_PKS5_SA_S6_PS5_21rocsparse_index_base_b,comdat
.Lfunc_end102:
	.size	_ZN9rocsparseL19gebsrmvn_4xn_kernelILj128ELj7ELj32E21rocsparse_complex_numIfEEEvi20rocsparse_direction_NS_24const_host_device_scalarIT2_EEPKiS8_PKS5_SA_S6_PS5_21rocsparse_index_base_b, .Lfunc_end102-_ZN9rocsparseL19gebsrmvn_4xn_kernelILj128ELj7ELj32E21rocsparse_complex_numIfEEEvi20rocsparse_direction_NS_24const_host_device_scalarIT2_EEPKiS8_PKS5_SA_S6_PS5_21rocsparse_index_base_b
                                        ; -- End function
	.set _ZN9rocsparseL19gebsrmvn_4xn_kernelILj128ELj7ELj32E21rocsparse_complex_numIfEEEvi20rocsparse_direction_NS_24const_host_device_scalarIT2_EEPKiS8_PKS5_SA_S6_PS5_21rocsparse_index_base_b.num_vgpr, 89
	.set _ZN9rocsparseL19gebsrmvn_4xn_kernelILj128ELj7ELj32E21rocsparse_complex_numIfEEEvi20rocsparse_direction_NS_24const_host_device_scalarIT2_EEPKiS8_PKS5_SA_S6_PS5_21rocsparse_index_base_b.num_agpr, 0
	.set _ZN9rocsparseL19gebsrmvn_4xn_kernelILj128ELj7ELj32E21rocsparse_complex_numIfEEEvi20rocsparse_direction_NS_24const_host_device_scalarIT2_EEPKiS8_PKS5_SA_S6_PS5_21rocsparse_index_base_b.numbered_sgpr, 14
	.set _ZN9rocsparseL19gebsrmvn_4xn_kernelILj128ELj7ELj32E21rocsparse_complex_numIfEEEvi20rocsparse_direction_NS_24const_host_device_scalarIT2_EEPKiS8_PKS5_SA_S6_PS5_21rocsparse_index_base_b.num_named_barrier, 0
	.set _ZN9rocsparseL19gebsrmvn_4xn_kernelILj128ELj7ELj32E21rocsparse_complex_numIfEEEvi20rocsparse_direction_NS_24const_host_device_scalarIT2_EEPKiS8_PKS5_SA_S6_PS5_21rocsparse_index_base_b.private_seg_size, 0
	.set _ZN9rocsparseL19gebsrmvn_4xn_kernelILj128ELj7ELj32E21rocsparse_complex_numIfEEEvi20rocsparse_direction_NS_24const_host_device_scalarIT2_EEPKiS8_PKS5_SA_S6_PS5_21rocsparse_index_base_b.uses_vcc, 1
	.set _ZN9rocsparseL19gebsrmvn_4xn_kernelILj128ELj7ELj32E21rocsparse_complex_numIfEEEvi20rocsparse_direction_NS_24const_host_device_scalarIT2_EEPKiS8_PKS5_SA_S6_PS5_21rocsparse_index_base_b.uses_flat_scratch, 0
	.set _ZN9rocsparseL19gebsrmvn_4xn_kernelILj128ELj7ELj32E21rocsparse_complex_numIfEEEvi20rocsparse_direction_NS_24const_host_device_scalarIT2_EEPKiS8_PKS5_SA_S6_PS5_21rocsparse_index_base_b.has_dyn_sized_stack, 0
	.set _ZN9rocsparseL19gebsrmvn_4xn_kernelILj128ELj7ELj32E21rocsparse_complex_numIfEEEvi20rocsparse_direction_NS_24const_host_device_scalarIT2_EEPKiS8_PKS5_SA_S6_PS5_21rocsparse_index_base_b.has_recursion, 0
	.set _ZN9rocsparseL19gebsrmvn_4xn_kernelILj128ELj7ELj32E21rocsparse_complex_numIfEEEvi20rocsparse_direction_NS_24const_host_device_scalarIT2_EEPKiS8_PKS5_SA_S6_PS5_21rocsparse_index_base_b.has_indirect_call, 0
	.section	.AMDGPU.csdata,"",@progbits
; Kernel info:
; codeLenInByte = 5404
; TotalNumSgprs: 16
; NumVgprs: 89
; ScratchSize: 0
; MemoryBound: 0
; FloatMode: 240
; IeeeMode: 1
; LDSByteSize: 0 bytes/workgroup (compile time only)
; SGPRBlocks: 0
; VGPRBlocks: 11
; NumSGPRsForWavesPerEU: 16
; NumVGPRsForWavesPerEU: 89
; Occupancy: 16
; WaveLimiterHint : 1
; COMPUTE_PGM_RSRC2:SCRATCH_EN: 0
; COMPUTE_PGM_RSRC2:USER_SGPR: 2
; COMPUTE_PGM_RSRC2:TRAP_HANDLER: 0
; COMPUTE_PGM_RSRC2:TGID_X_EN: 1
; COMPUTE_PGM_RSRC2:TGID_Y_EN: 0
; COMPUTE_PGM_RSRC2:TGID_Z_EN: 0
; COMPUTE_PGM_RSRC2:TIDIG_COMP_CNT: 0
	.section	.text._ZN9rocsparseL19gebsrmvn_4xn_kernelILj128ELj7ELj64E21rocsparse_complex_numIfEEEvi20rocsparse_direction_NS_24const_host_device_scalarIT2_EEPKiS8_PKS5_SA_S6_PS5_21rocsparse_index_base_b,"axG",@progbits,_ZN9rocsparseL19gebsrmvn_4xn_kernelILj128ELj7ELj64E21rocsparse_complex_numIfEEEvi20rocsparse_direction_NS_24const_host_device_scalarIT2_EEPKiS8_PKS5_SA_S6_PS5_21rocsparse_index_base_b,comdat
	.globl	_ZN9rocsparseL19gebsrmvn_4xn_kernelILj128ELj7ELj64E21rocsparse_complex_numIfEEEvi20rocsparse_direction_NS_24const_host_device_scalarIT2_EEPKiS8_PKS5_SA_S6_PS5_21rocsparse_index_base_b ; -- Begin function _ZN9rocsparseL19gebsrmvn_4xn_kernelILj128ELj7ELj64E21rocsparse_complex_numIfEEEvi20rocsparse_direction_NS_24const_host_device_scalarIT2_EEPKiS8_PKS5_SA_S6_PS5_21rocsparse_index_base_b
	.p2align	8
	.type	_ZN9rocsparseL19gebsrmvn_4xn_kernelILj128ELj7ELj64E21rocsparse_complex_numIfEEEvi20rocsparse_direction_NS_24const_host_device_scalarIT2_EEPKiS8_PKS5_SA_S6_PS5_21rocsparse_index_base_b,@function
_ZN9rocsparseL19gebsrmvn_4xn_kernelILj128ELj7ELj64E21rocsparse_complex_numIfEEEvi20rocsparse_direction_NS_24const_host_device_scalarIT2_EEPKiS8_PKS5_SA_S6_PS5_21rocsparse_index_base_b: ; @_ZN9rocsparseL19gebsrmvn_4xn_kernelILj128ELj7ELj64E21rocsparse_complex_numIfEEEvi20rocsparse_direction_NS_24const_host_device_scalarIT2_EEPKiS8_PKS5_SA_S6_PS5_21rocsparse_index_base_b
; %bb.0:
	s_clause 0x2
	s_load_b64 s[12:13], s[0:1], 0x40
	s_load_b64 s[2:3], s[0:1], 0x8
	;; [unrolled: 1-line block ×3, first 2 shown]
	s_add_nc_u64 s[6:7], s[0:1], 8
	s_wait_kmcnt 0x0
	s_bitcmp1_b32 s13, 0
	s_cselect_b32 s2, s6, s2
	s_cselect_b32 s3, s7, s3
	s_delay_alu instid0(SALU_CYCLE_1)
	v_dual_mov_b32 v1, s2 :: v_dual_mov_b32 v2, s3
	s_add_nc_u64 s[2:3], s[0:1], 48
	s_wait_alu 0xfffe
	s_cselect_b32 s2, s2, s4
	s_cselect_b32 s3, s3, s5
	flat_load_b64 v[1:2], v[1:2]
	s_wait_alu 0xfffe
	v_dual_mov_b32 v3, s2 :: v_dual_mov_b32 v4, s3
	flat_load_b64 v[3:4], v[3:4]
	s_wait_loadcnt_dscnt 0x101
	v_cmp_eq_f32_e32 vcc_lo, 0, v1
	v_cmp_eq_f32_e64 s2, 0, v2
	s_and_b32 s4, vcc_lo, s2
	s_mov_b32 s2, -1
	s_and_saveexec_b32 s3, s4
	s_cbranch_execz .LBB103_2
; %bb.1:
	s_wait_loadcnt_dscnt 0x0
	v_cmp_neq_f32_e32 vcc_lo, 1.0, v3
	v_cmp_neq_f32_e64 s2, 0, v4
	s_wait_alu 0xfffe
	s_or_b32 s2, vcc_lo, s2
	s_wait_alu 0xfffe
	s_or_not1_b32 s2, s2, exec_lo
.LBB103_2:
	s_wait_alu 0xfffe
	s_or_b32 exec_lo, exec_lo, s3
	s_and_saveexec_b32 s3, s2
	s_cbranch_execz .LBB103_21
; %bb.3:
	s_load_b64 s[2:3], s[0:1], 0x0
	v_lshrrev_b32_e32 v5, 6, v0
	s_delay_alu instid0(VALU_DEP_1) | instskip(SKIP_1) | instid1(VALU_DEP_1)
	v_lshl_or_b32 v5, ttmp9, 1, v5
	s_wait_kmcnt 0x0
	v_cmp_gt_i32_e32 vcc_lo, s2, v5
	s_and_b32 exec_lo, exec_lo, vcc_lo
	s_cbranch_execz .LBB103_21
; %bb.4:
	s_load_b256 s[4:11], s[0:1], 0x10
	v_ashrrev_i32_e32 v6, 31, v5
	v_and_b32_e32 v0, 63, v0
	s_cmp_lg_u32 s3, 0
	s_delay_alu instid0(VALU_DEP_2) | instskip(SKIP_1) | instid1(VALU_DEP_1)
	v_lshlrev_b64_e32 v[6:7], 2, v[5:6]
	s_wait_kmcnt 0x0
	v_add_co_u32 v6, vcc_lo, s4, v6
	s_delay_alu instid0(VALU_DEP_1) | instskip(SKIP_4) | instid1(VALU_DEP_2)
	v_add_co_ci_u32_e64 v7, null, s5, v7, vcc_lo
	global_load_b64 v[6:7], v[6:7], off
	s_wait_loadcnt 0x0
	v_subrev_nc_u32_e32 v6, s12, v6
	v_subrev_nc_u32_e32 v18, s12, v7
	v_add_nc_u32_e32 v6, v6, v0
	s_delay_alu instid0(VALU_DEP_1)
	v_cmp_lt_i32_e64 s2, v6, v18
	s_cbranch_scc0 .LBB103_10
; %bb.5:
	v_dual_mov_b32 v14, 0 :: v_dual_mov_b32 v19, 0
	v_dual_mov_b32 v20, 0 :: v_dual_mov_b32 v15, 0
	;; [unrolled: 1-line block ×4, first 2 shown]
	s_and_saveexec_b32 s3, s2
	s_cbranch_execz .LBB103_9
; %bb.6:
	v_mad_co_u64_u32 v[7:8], null, v6, 28, 24
	v_dual_mov_b32 v10, 0 :: v_dual_mov_b32 v11, v6
	v_dual_mov_b32 v14, 0 :: v_dual_mov_b32 v19, 0
	;; [unrolled: 1-line block ×5, first 2 shown]
	s_mov_b32 s4, 0
.LBB103_7:                              ; =>This Inner Loop Header: Depth=1
	v_ashrrev_i32_e32 v12, 31, v11
	v_mov_b32_e32 v13, v10
	s_delay_alu instid0(VALU_DEP_2) | instskip(NEXT) | instid1(VALU_DEP_1)
	v_lshlrev_b64_e32 v[8:9], 2, v[11:12]
	v_add_co_u32 v8, vcc_lo, s6, v8
	s_wait_alu 0xfffd
	s_delay_alu instid0(VALU_DEP_2) | instskip(SKIP_3) | instid1(VALU_DEP_2)
	v_add_co_ci_u32_e64 v9, null, s7, v9, vcc_lo
	global_load_b32 v12, v[8:9], off
	v_subrev_nc_u32_e32 v9, 24, v7
	v_mov_b32_e32 v8, v10
	v_lshlrev_b64_e32 v[23:24], 3, v[9:10]
	v_subrev_nc_u32_e32 v9, 20, v7
	s_delay_alu instid0(VALU_DEP_3) | instskip(NEXT) | instid1(VALU_DEP_2)
	v_lshlrev_b64_e32 v[25:26], 3, v[7:8]
	v_lshlrev_b64_e32 v[8:9], 3, v[9:10]
	s_delay_alu instid0(VALU_DEP_4) | instskip(SKIP_2) | instid1(VALU_DEP_4)
	v_add_co_u32 v27, vcc_lo, s8, v23
	s_wait_alu 0xfffd
	v_add_co_ci_u32_e64 v28, null, s9, v24, vcc_lo
	v_add_co_u32 v35, vcc_lo, s8, v25
	s_wait_alu 0xfffd
	v_add_co_ci_u32_e64 v36, null, s9, v26, vcc_lo
	;; [unrolled: 3-line block ×3, first 2 shown]
	s_clause 0x5
	global_load_b128 v[23:26], v[27:28], off offset:16
	global_load_b128 v[27:30], v[27:28], off
	global_load_b128 v[31:34], v[35:36], off offset:16
	global_load_b128 v[35:38], v[35:36], off
	;; [unrolled: 2-line block ×3, first 2 shown]
	s_wait_loadcnt 0x6
	v_subrev_nc_u32_e32 v8, s12, v12
	s_delay_alu instid0(VALU_DEP_1) | instskip(NEXT) | instid1(VALU_DEP_1)
	v_mul_lo_u32 v12, v8, 7
	v_lshlrev_b64_e32 v[47:48], 3, v[12:13]
	s_delay_alu instid0(VALU_DEP_1) | instskip(SKIP_1) | instid1(VALU_DEP_2)
	v_add_co_u32 v47, vcc_lo, s10, v47
	s_wait_alu 0xfffd
	v_add_co_ci_u32_e64 v48, null, s11, v48, vcc_lo
	global_load_b64 v[79:80], v[47:48], off
	s_wait_loadcnt 0x0
	v_dual_fmac_f32 v14, v28, v79 :: v_dual_add_nc_u32 v9, 1, v12
	s_delay_alu instid0(VALU_DEP_1)
	v_lshlrev_b64_e32 v[49:50], 3, v[9:10]
	v_add_nc_u32_e32 v9, -16, v7
	v_fmac_f32_e32 v16, v24, v79
	v_fmac_f32_e32 v22, v29, v79
	;; [unrolled: 1-line block ×4, first 2 shown]
	v_add_co_u32 v47, vcc_lo, s10, v49
	s_wait_alu 0xfffd
	v_add_co_ci_u32_e64 v48, null, s11, v50, vcc_lo
	v_lshlrev_b64_e32 v[51:52], 3, v[9:10]
	v_add_nc_u32_e32 v9, 2, v12
	v_fmac_f32_e32 v16, v23, v80
	global_load_b64 v[81:82], v[47:48], off
	v_fma_f32 v22, -v30, v80, v22
	v_fma_f32 v20, -v26, v80, v20
	v_lshlrev_b64_e32 v[49:50], 3, v[9:10]
	v_add_nc_u32_e32 v9, -12, v7
	v_add_co_u32 v51, vcc_lo, s8, v51
	s_wait_alu 0xfffd
	v_add_co_ci_u32_e64 v52, null, s9, v52, vcc_lo
	s_delay_alu instid0(VALU_DEP_3) | instskip(SKIP_4) | instid1(VALU_DEP_3)
	v_lshlrev_b64_e32 v[55:56], 3, v[9:10]
	v_add_nc_u32_e32 v9, 3, v12
	v_add_co_u32 v57, vcc_lo, s10, v49
	s_wait_alu 0xfffd
	v_add_co_ci_u32_e64 v58, null, s11, v50, vcc_lo
	v_lshlrev_b64_e32 v[59:60], 3, v[9:10]
	s_clause 0x1
	global_load_b128 v[47:50], v[51:52], off offset:16
	global_load_b128 v[51:54], v[51:52], off
	v_add_co_u32 v61, vcc_lo, s8, v55
	global_load_b64 v[83:84], v[57:58], off
	s_wait_alu 0xfffd
	v_add_co_ci_u32_e64 v62, null, s9, v56, vcc_lo
	v_add_co_u32 v65, vcc_lo, s10, v59
	s_wait_alu 0xfffd
	v_add_co_ci_u32_e64 v66, null, s11, v60, vcc_lo
	s_clause 0x1
	global_load_b128 v[55:58], v[61:62], off offset:16
	global_load_b128 v[59:62], v[61:62], off
	v_add_nc_u32_e32 v9, -8, v7
	global_load_b64 v[85:86], v[65:66], off
	s_wait_loadcnt 0x6
	v_fmac_f32_e32 v14, v44, v81
	v_lshlrev_b64_e32 v[63:64], 3, v[9:10]
	v_dual_fmac_f32 v22, v45, v81 :: v_dual_add_nc_u32 v9, 4, v12
	v_dual_fmac_f32 v16, v40, v81 :: v_dual_add_nc_u32 v11, 64, v11
	v_fmac_f32_e32 v20, v41, v81
	s_delay_alu instid0(VALU_DEP_3) | instskip(SKIP_4) | instid1(VALU_DEP_4)
	v_lshlrev_b64_e32 v[67:68], 3, v[9:10]
	v_add_nc_u32_e32 v9, -4, v7
	v_add_co_u32 v69, vcc_lo, s8, v63
	s_wait_alu 0xfffd
	v_add_co_ci_u32_e64 v70, null, s9, v64, vcc_lo
	v_add_co_u32 v73, vcc_lo, s10, v67
	v_lshlrev_b64_e32 v[71:72], 3, v[9:10]
	v_add_nc_u32_e32 v9, 5, v12
	s_wait_alu 0xfffd
	v_add_co_ci_u32_e64 v74, null, s11, v68, vcc_lo
	s_clause 0x1
	global_load_b128 v[63:66], v[69:70], off offset:16
	global_load_b128 v[67:70], v[69:70], off
	v_fmac_f32_e32 v14, v43, v82
	v_lshlrev_b64_e32 v[75:76], 3, v[9:10]
	v_add_nc_u32_e32 v9, 6, v12
	global_load_b64 v[12:13], v[73:74], off
	v_add_co_u32 v77, vcc_lo, s8, v71
	s_wait_alu 0xfffd
	v_add_co_ci_u32_e64 v78, null, s9, v72, vcc_lo
	v_add_co_u32 v87, vcc_lo, s10, v75
	s_wait_alu 0xfffd
	v_add_co_ci_u32_e64 v88, null, s11, v76, vcc_lo
	s_clause 0x1
	global_load_b128 v[71:74], v[77:78], off offset:16
	global_load_b128 v[75:78], v[77:78], off
	global_load_b64 v[87:88], v[87:88], off
	v_lshlrev_b64_e32 v[8:9], 3, v[9:10]
	v_fmac_f32_e32 v16, v39, v82
	s_wait_loadcnt 0x9
	v_fmac_f32_e32 v14, v52, v83
	v_add_nc_u32_e32 v7, 0x700, v7
	v_fma_f32 v22, -v46, v82, v22
	v_fma_f32 v20, -v42, v82, v20
	v_add_co_u32 v8, vcc_lo, s10, v8
	s_wait_alu 0xfffd
	v_add_co_ci_u32_e64 v9, null, s11, v9, vcc_lo
	v_fmac_f32_e32 v16, v48, v83
	v_dual_fmac_f32 v17, v30, v79 :: v_dual_fmac_f32 v14, v51, v84
	global_load_b64 v[8:9], v[8:9], off
	v_fmac_f32_e32 v19, v27, v79
	v_dual_fmac_f32 v16, v47, v84 :: v_dual_fmac_f32 v15, v26, v79
	s_wait_loadcnt 0x7
	v_fmac_f32_e32 v14, v60, v85
	v_fmac_f32_e32 v22, v53, v83
	v_fma_f32 v19, -v28, v80, v19
	v_dual_fmac_f32 v16, v56, v85 :: v_dual_fmac_f32 v15, v25, v80
	v_fmac_f32_e32 v17, v29, v80
	s_delay_alu instid0(VALU_DEP_4) | instskip(NEXT) | instid1(VALU_DEP_4)
	v_fma_f32 v22, -v54, v84, v22
	v_fmac_f32_e32 v19, v43, v81
	v_fmac_f32_e32 v21, v23, v79
	s_delay_alu instid0(VALU_DEP_4) | instskip(NEXT) | instid1(VALU_DEP_4)
	v_dual_fmac_f32 v20, v49, v83 :: v_dual_fmac_f32 v17, v46, v81
	v_fmac_f32_e32 v22, v61, v85
	v_dual_fmac_f32 v15, v42, v81 :: v_dual_fmac_f32 v14, v59, v86
	s_delay_alu instid0(VALU_DEP_4)
	v_fma_f32 v21, -v24, v80, v21
	v_fma_f32 v19, -v44, v82, v19
	;; [unrolled: 1-line block ×4, first 2 shown]
	v_cmp_ge_i32_e32 vcc_lo, v11, v18
	v_fmac_f32_e32 v21, v39, v81
	s_delay_alu instid0(VALU_DEP_4)
	v_dual_fmac_f32 v19, v51, v83 :: v_dual_fmac_f32 v20, v57, v85
	v_fmac_f32_e32 v16, v55, v86
	v_fmac_f32_e32 v17, v45, v82
	s_wait_alu 0xfffe
	s_or_b32 s4, vcc_lo, s4
	v_fma_f32 v19, -v52, v84, v19
	v_fma_f32 v20, -v58, v86, v20
	s_wait_loadcnt 0x4
	v_fmac_f32_e32 v14, v68, v12
	v_fma_f32 v21, -v40, v82, v21
	v_fmac_f32_e32 v15, v41, v82
	v_fmac_f32_e32 v20, v65, v12
	;; [unrolled: 1-line block ×6, first 2 shown]
	v_dual_fmac_f32 v17, v54, v83 :: v_dual_fmac_f32 v22, v69, v12
	v_fmac_f32_e32 v16, v63, v13
	s_delay_alu instid0(VALU_DEP_4) | instskip(NEXT) | instid1(VALU_DEP_4)
	v_fma_f32 v21, -v48, v84, v21
	v_fmac_f32_e32 v15, v49, v84
	s_delay_alu instid0(VALU_DEP_4)
	v_fmac_f32_e32 v17, v53, v84
	s_wait_loadcnt 0x1
	v_dual_fmac_f32 v19, v59, v85 :: v_dual_fmac_f32 v14, v76, v87
	v_dual_fmac_f32 v21, v55, v85 :: v_dual_fmac_f32 v16, v72, v87
	v_fma_f32 v20, -v66, v13, v20
	v_fmac_f32_e32 v15, v58, v85
	v_fmac_f32_e32 v17, v62, v85
	s_delay_alu instid0(VALU_DEP_4) | instskip(SKIP_3) | instid1(VALU_DEP_4)
	v_fma_f32 v21, -v56, v86, v21
	v_fma_f32 v19, -v60, v86, v19
	v_fmac_f32_e32 v20, v73, v87
	v_dual_fmac_f32 v15, v57, v86 :: v_dual_fmac_f32 v16, v71, v88
	v_fmac_f32_e32 v21, v63, v12
	v_dual_fmac_f32 v17, v61, v86 :: v_dual_fmac_f32 v14, v75, v88
	v_fmac_f32_e32 v19, v67, v12
	s_wait_loadcnt 0x0
	v_fmac_f32_e32 v16, v32, v8
	v_fma_f32 v21, -v64, v13, v21
	v_fmac_f32_e32 v15, v66, v12
	v_fma_f32 v20, -v74, v88, v20
	v_fmac_f32_e32 v14, v36, v8
	v_fmac_f32_e32 v17, v70, v12
	;; [unrolled: 1-line block ×3, first 2 shown]
	v_fma_f32 v12, -v68, v13, v19
	v_fmac_f32_e32 v16, v31, v9
	v_fmac_f32_e32 v15, v65, v13
	v_fma_f32 v19, -v70, v13, v22
	v_fmac_f32_e32 v14, v35, v9
	v_fmac_f32_e32 v12, v75, v87
	;; [unrolled: 3-line block ×3, first 2 shown]
	v_fmac_f32_e32 v20, v33, v8
	v_fma_f32 v12, -v76, v88, v12
	v_fmac_f32_e32 v17, v69, v13
	v_fmac_f32_e32 v15, v73, v88
	v_fma_f32 v13, -v78, v88, v19
	v_fmac_f32_e32 v21, v31, v8
	s_delay_alu instid0(VALU_DEP_4) | instskip(NEXT) | instid1(VALU_DEP_4)
	v_dual_fmac_f32 v12, v35, v8 :: v_dual_fmac_f32 v17, v78, v87
	v_fmac_f32_e32 v15, v34, v8
	s_delay_alu instid0(VALU_DEP_4) | instskip(NEXT) | instid1(VALU_DEP_4)
	v_fmac_f32_e32 v13, v37, v8
	v_fma_f32 v21, -v32, v9, v21
	s_delay_alu instid0(VALU_DEP_4) | instskip(SKIP_4) | instid1(VALU_DEP_4)
	v_fma_f32 v19, -v36, v9, v12
	v_fmac_f32_e32 v17, v77, v88
	v_fma_f32 v20, -v34, v9, v20
	v_fma_f32 v22, -v38, v9, v13
	v_fmac_f32_e32 v15, v33, v9
	v_fmac_f32_e32 v17, v38, v8
	s_delay_alu instid0(VALU_DEP_1)
	v_fmac_f32_e32 v17, v37, v9
	s_wait_alu 0xfffe
	s_and_not1_b32 exec_lo, exec_lo, s4
	s_cbranch_execnz .LBB103_7
; %bb.8:
	s_or_b32 exec_lo, exec_lo, s4
.LBB103_9:
	s_wait_alu 0xfffe
	s_or_b32 exec_lo, exec_lo, s3
	s_cbranch_execz .LBB103_11
	s_branch .LBB103_16
.LBB103_10:
                                        ; implicit-def: $vgpr14
                                        ; implicit-def: $vgpr19
                                        ; implicit-def: $vgpr20
                                        ; implicit-def: $vgpr15
                                        ; implicit-def: $vgpr21
                                        ; implicit-def: $vgpr16
                                        ; implicit-def: $vgpr22
                                        ; implicit-def: $vgpr17
.LBB103_11:
	v_dual_mov_b32 v14, 0 :: v_dual_mov_b32 v19, 0
	v_dual_mov_b32 v20, 0 :: v_dual_mov_b32 v15, 0
	;; [unrolled: 1-line block ×4, first 2 shown]
	s_and_saveexec_b32 s3, s2
	s_cbranch_execz .LBB103_15
; %bb.12:
	v_mad_co_u64_u32 v[8:9], null, v6, 28, 27
	v_dual_mov_b32 v11, 0 :: v_dual_mov_b32 v14, 0
	v_dual_mov_b32 v19, 0 :: v_dual_mov_b32 v20, 0
	;; [unrolled: 1-line block ×4, first 2 shown]
	v_mov_b32_e32 v17, 0
	s_mov_b32 s2, 0
.LBB103_13:                             ; =>This Inner Loop Header: Depth=1
	v_ashrrev_i32_e32 v7, 31, v6
	v_subrev_nc_u32_e32 v23, 20, v8
	v_dual_mov_b32 v24, v11 :: v_dual_add_nc_u32 v25, -13, v8
	v_dual_mov_b32 v26, v11 :: v_dual_add_nc_u32 v27, -6, v8
	s_delay_alu instid0(VALU_DEP_4) | instskip(SKIP_1) | instid1(VALU_DEP_4)
	v_lshlrev_b64_e32 v[9:10], 2, v[6:7]
	v_dual_mov_b32 v13, v11 :: v_dual_mov_b32 v28, v11
	v_lshlrev_b64_e32 v[23:24], 3, v[23:24]
	s_delay_alu instid0(VALU_DEP_4) | instskip(NEXT) | instid1(VALU_DEP_4)
	v_lshlrev_b64_e32 v[25:26], 3, v[25:26]
	v_add_co_u32 v9, vcc_lo, s6, v9
	s_wait_alu 0xfffd
	v_add_co_ci_u32_e64 v10, null, s7, v10, vcc_lo
	v_lshlrev_b64_e32 v[27:28], 3, v[27:28]
	global_load_b32 v7, v[9:10], off
	v_subrev_nc_u32_e32 v10, 27, v8
	s_delay_alu instid0(VALU_DEP_1) | instskip(NEXT) | instid1(VALU_DEP_1)
	v_lshlrev_b64_e32 v[29:30], 3, v[10:11]
	v_add_co_u32 v29, vcc_lo, s8, v29
	s_wait_alu 0xfffd
	s_delay_alu instid0(VALU_DEP_2)
	v_add_co_ci_u32_e64 v30, null, s9, v30, vcc_lo
	v_add_co_u32 v31, vcc_lo, s8, v23
	s_wait_alu 0xfffd
	v_add_co_ci_u32_e64 v32, null, s9, v24, vcc_lo
	v_add_co_u32 v33, vcc_lo, s8, v25
	s_wait_alu 0xfffd
	;; [unrolled: 3-line block ×3, first 2 shown]
	v_add_co_ci_u32_e64 v36, null, s9, v28, vcc_lo
	s_clause 0x4
	global_load_b128 v[23:26], v[29:30], off offset:16
	global_load_b128 v[27:30], v[29:30], off
	global_load_b64 v[31:32], v[31:32], off
	global_load_b64 v[33:34], v[33:34], off
	;; [unrolled: 1-line block ×3, first 2 shown]
	s_wait_loadcnt 0x5
	v_subrev_nc_u32_e32 v7, s12, v7
	s_delay_alu instid0(VALU_DEP_1) | instskip(SKIP_1) | instid1(VALU_DEP_1)
	v_mul_lo_u32 v12, v7, 7
	v_mov_b32_e32 v9, v11
	v_lshlrev_b64_e32 v[9:10], 3, v[8:9]
	s_delay_alu instid0(VALU_DEP_3) | instskip(NEXT) | instid1(VALU_DEP_2)
	v_lshlrev_b64_e32 v[39:40], 3, v[12:13]
	v_add_co_u32 v37, vcc_lo, s8, v9
	s_wait_alu 0xfffd
	s_delay_alu instid0(VALU_DEP_3) | instskip(NEXT) | instid1(VALU_DEP_3)
	v_add_co_ci_u32_e64 v38, null, s9, v10, vcc_lo
	v_add_co_u32 v39, vcc_lo, s10, v39
	s_wait_alu 0xfffd
	v_add_co_ci_u32_e64 v40, null, s11, v40, vcc_lo
	v_add_nc_u32_e32 v10, 1, v12
	global_load_b64 v[39:40], v[39:40], off
	v_lshlrev_b64_e32 v[41:42], 3, v[10:11]
	v_subrev_nc_u32_e32 v10, 19, v8
	s_delay_alu instid0(VALU_DEP_2) | instskip(SKIP_1) | instid1(VALU_DEP_3)
	v_add_co_u32 v41, vcc_lo, s10, v41
	s_wait_alu 0xfffd
	v_add_co_ci_u32_e64 v42, null, s11, v42, vcc_lo
	s_delay_alu instid0(VALU_DEP_3)
	v_lshlrev_b64_e32 v[43:44], 3, v[10:11]
	global_load_b64 v[41:42], v[41:42], off
	v_add_nc_u32_e32 v10, -12, v8
	v_add_co_u32 v43, vcc_lo, s8, v43
	s_wait_alu 0xfffd
	v_add_co_ci_u32_e64 v44, null, s9, v44, vcc_lo
	global_load_b64 v[43:44], v[43:44], off
	s_wait_loadcnt 0x2
	v_fmac_f32_e32 v19, v27, v39
	v_lshlrev_b64_e32 v[45:46], 3, v[10:11]
	v_dual_fmac_f32 v17, v32, v39 :: v_dual_add_nc_u32 v10, -5, v8
	v_fmac_f32_e32 v21, v33, v39
	s_delay_alu instid0(VALU_DEP_4) | instskip(SKIP_1) | instid1(VALU_DEP_4)
	v_fma_f32 v7, -v28, v40, v19
	v_fmac_f32_e32 v22, v31, v39
	v_lshlrev_b64_e32 v[47:48], 3, v[10:11]
	v_add_co_u32 v45, vcc_lo, s8, v45
	s_wait_alu 0xfffd
	v_add_co_ci_u32_e64 v46, null, s9, v46, vcc_lo
	v_add_nc_u32_e32 v10, 2, v12
	s_delay_alu instid0(VALU_DEP_4)
	v_add_co_u32 v47, vcc_lo, s8, v47
	s_wait_alu 0xfffd
	v_add_co_ci_u32_e64 v48, null, s9, v48, vcc_lo
	global_load_b64 v[45:46], v[45:46], off
	v_lshlrev_b64_e32 v[49:50], 3, v[10:11]
	v_subrev_nc_u32_e32 v10, 18, v8
	global_load_b64 v[47:48], v[47:48], off
	v_fmac_f32_e32 v15, v36, v39
	s_wait_loadcnt 0x3
	v_fmac_f32_e32 v7, v29, v41
	v_fma_f32 v19, -v32, v40, v22
	v_add_co_u32 v49, vcc_lo, s10, v49
	s_wait_alu 0xfffd
	v_add_co_ci_u32_e64 v50, null, s11, v50, vcc_lo
	v_lshlrev_b64_e32 v[51:52], 3, v[10:11]
	s_wait_loadcnt 0x2
	v_dual_fmac_f32 v19, v43, v41 :: v_dual_add_nc_u32 v10, -11, v8
	global_load_b64 v[49:50], v[49:50], off
	v_dual_fmac_f32 v17, v31, v40 :: v_dual_add_nc_u32 v6, 64, v6
	v_add_co_u32 v51, vcc_lo, s8, v51
	s_wait_alu 0xfffd
	v_add_co_ci_u32_e64 v52, null, s9, v52, vcc_lo
	v_lshlrev_b64_e32 v[53:54], 3, v[10:11]
	v_dual_fmac_f32 v17, v44, v41 :: v_dual_add_nc_u32 v10, -4, v8
	global_load_b64 v[51:52], v[51:52], off
	v_fma_f32 v21, -v34, v40, v21
	v_dual_fmac_f32 v14, v28, v39 :: v_dual_fmac_f32 v15, v35, v40
	v_add_co_u32 v53, vcc_lo, s8, v53
	s_wait_alu 0xfffd
	v_add_co_ci_u32_e64 v54, null, s9, v54, vcc_lo
	v_lshlrev_b64_e32 v[55:56], 3, v[10:11]
	v_dual_fmac_f32 v17, v43, v42 :: v_dual_add_nc_u32 v10, 3, v12
	global_load_b64 v[53:54], v[53:54], off
	v_fma_f32 v7, -v30, v42, v7
	v_fma_f32 v19, -v44, v42, v19
	v_add_co_u32 v55, vcc_lo, s8, v55
	s_wait_alu 0xfffd
	v_add_co_ci_u32_e64 v56, null, s9, v56, vcc_lo
	v_lshlrev_b64_e32 v[57:58], 3, v[10:11]
	v_subrev_nc_u32_e32 v10, 17, v8
	global_load_b64 v[55:56], v[55:56], off
	v_add_co_u32 v57, vcc_lo, s10, v57
	s_wait_alu 0xfffd
	v_add_co_ci_u32_e64 v58, null, s11, v58, vcc_lo
	v_lshlrev_b64_e32 v[59:60], 3, v[10:11]
	v_add_nc_u32_e32 v10, -10, v8
	global_load_b64 v[57:58], v[57:58], off
	v_lshlrev_b64_e32 v[61:62], 3, v[10:11]
	v_add_nc_u32_e32 v10, -3, v8
	v_add_co_u32 v59, vcc_lo, s8, v59
	s_wait_alu 0xfffd
	v_add_co_ci_u32_e64 v60, null, s9, v60, vcc_lo
	s_delay_alu instid0(VALU_DEP_3) | instskip(SKIP_4) | instid1(VALU_DEP_3)
	v_lshlrev_b64_e32 v[63:64], 3, v[10:11]
	v_subrev_nc_u32_e32 v10, 23, v8
	v_add_co_u32 v61, vcc_lo, s8, v61
	s_wait_alu 0xfffd
	v_add_co_ci_u32_e64 v62, null, s9, v62, vcc_lo
	v_lshlrev_b64_e32 v[65:66], 3, v[10:11]
	v_add_nc_u32_e32 v10, 4, v12
	v_add_co_u32 v63, vcc_lo, s8, v63
	s_wait_alu 0xfffd
	v_add_co_ci_u32_e64 v64, null, s9, v64, vcc_lo
	s_delay_alu instid0(VALU_DEP_4)
	v_add_co_u32 v65, vcc_lo, s8, v65
	s_clause 0x2
	global_load_b64 v[59:60], v[59:60], off
	global_load_b64 v[61:62], v[61:62], off
	;; [unrolled: 1-line block ×3, first 2 shown]
	s_wait_alu 0xfffd
	v_add_co_ci_u32_e64 v66, null, s9, v66, vcc_lo
	global_load_b64 v[65:66], v[65:66], off
	s_wait_loadcnt 0xa
	v_fmac_f32_e32 v21, v45, v41
	v_lshlrev_b64_e32 v[67:68], 3, v[10:11]
	s_wait_loadcnt 0x9
	v_dual_fmac_f32 v15, v48, v41 :: v_dual_add_nc_u32 v10, -16, v8
	s_delay_alu instid0(VALU_DEP_3) | instskip(NEXT) | instid1(VALU_DEP_2)
	v_fma_f32 v21, -v46, v42, v21
	v_lshlrev_b64_e32 v[69:70], 3, v[10:11]
	s_delay_alu instid0(VALU_DEP_3) | instskip(SKIP_3) | instid1(VALU_DEP_3)
	v_dual_fmac_f32 v15, v47, v42 :: v_dual_add_nc_u32 v10, -9, v8
	v_add_co_u32 v67, vcc_lo, s10, v67
	s_wait_alu 0xfffd
	v_add_co_ci_u32_e64 v68, null, s11, v68, vcc_lo
	v_lshlrev_b64_e32 v[71:72], 3, v[10:11]
	s_wait_loadcnt 0x8
	v_dual_fmac_f32 v7, v23, v49 :: v_dual_add_nc_u32 v10, -2, v8
	v_add_co_u32 v69, vcc_lo, s8, v69
	s_wait_alu 0xfffd
	v_add_co_ci_u32_e64 v70, null, s9, v70, vcc_lo
	s_delay_alu instid0(VALU_DEP_3)
	v_lshlrev_b64_e32 v[73:74], 3, v[10:11]
	v_subrev_nc_u32_e32 v10, 22, v8
	v_add_co_u32 v71, vcc_lo, s8, v71
	s_wait_loadcnt 0x7
	v_fmac_f32_e32 v19, v51, v49
	v_fmac_f32_e32 v17, v52, v49
	v_lshlrev_b64_e32 v[75:76], 3, v[10:11]
	v_add_nc_u32_e32 v10, 5, v12
	s_wait_alu 0xfffd
	v_add_co_ci_u32_e64 v72, null, s9, v72, vcc_lo
	v_add_co_u32 v73, vcc_lo, s8, v73
	s_delay_alu instid0(VALU_DEP_3) | instskip(SKIP_4) | instid1(VALU_DEP_3)
	v_lshlrev_b64_e32 v[77:78], 3, v[10:11]
	v_dual_fmac_f32 v17, v51, v50 :: v_dual_add_nc_u32 v10, -15, v8
	s_wait_alu 0xfffd
	v_add_co_ci_u32_e64 v74, null, s9, v74, vcc_lo
	v_add_co_u32 v75, vcc_lo, s8, v75
	v_lshlrev_b64_e32 v[79:80], 3, v[10:11]
	v_add_nc_u32_e32 v10, -8, v8
	global_load_b64 v[67:68], v[67:68], off
	s_clause 0x2
	global_load_b64 v[69:70], v[69:70], off
	global_load_b64 v[71:72], v[71:72], off
	global_load_b64 v[73:74], v[73:74], off
	v_lshlrev_b64_e32 v[81:82], 3, v[10:11]
	s_wait_loadcnt 0xa
	v_dual_fmac_f32 v21, v53, v49 :: v_dual_add_nc_u32 v10, -1, v8
	s_wait_alu 0xfffd
	v_add_co_ci_u32_e64 v76, null, s9, v76, vcc_lo
	v_add_co_u32 v77, vcc_lo, s10, v77
	s_delay_alu instid0(VALU_DEP_3)
	v_lshlrev_b64_e32 v[83:84], 3, v[10:11]
	v_subrev_nc_u32_e32 v10, 21, v8
	s_wait_alu 0xfffd
	v_add_co_ci_u32_e64 v78, null, s11, v78, vcc_lo
	v_add_co_u32 v79, vcc_lo, s8, v79
	s_wait_alu 0xfffd
	v_add_co_ci_u32_e64 v80, null, s9, v80, vcc_lo
	v_lshlrev_b64_e32 v[85:86], 3, v[10:11]
	s_wait_loadcnt 0x9
	v_dual_fmac_f32 v15, v56, v49 :: v_dual_add_nc_u32 v10, 6, v12
	v_add_co_u32 v81, vcc_lo, s8, v81
	global_load_b64 v[77:78], v[77:78], off
	global_load_b64 v[79:80], v[79:80], off
	s_wait_alu 0xfffd
	v_add_co_ci_u32_e64 v82, null, s9, v82, vcc_lo
	v_add_co_u32 v12, vcc_lo, s8, v83
	s_wait_alu 0xfffd
	v_add_co_ci_u32_e64 v13, null, s9, v84, vcc_lo
	v_lshlrev_b64_e32 v[83:84], 3, v[10:11]
	global_load_b64 v[75:76], v[75:76], off
	v_add_co_u32 v85, vcc_lo, s8, v85
	s_wait_alu 0xfffd
	v_add_co_ci_u32_e64 v86, null, s9, v86, vcc_lo
	v_add_co_u32 v83, vcc_lo, s10, v83
	v_dual_fmac_f32 v15, v55, v50 :: v_dual_add_nc_u32 v10, -14, v8
	s_wait_alu 0xfffd
	v_add_co_ci_u32_e64 v84, null, s11, v84, vcc_lo
	v_fma_f32 v7, -v24, v50, v7
	s_delay_alu instid0(VALU_DEP_3)
	v_lshlrev_b64_e32 v[87:88], 3, v[10:11]
	v_add_nc_u32_e32 v10, -7, v8
	s_clause 0x1
	global_load_b64 v[12:13], v[12:13], off
	global_load_b64 v[85:86], v[85:86], off
	;; [unrolled: 1-line block ×3, first 2 shown]
	s_wait_loadcnt 0xe
	v_fmac_f32_e32 v7, v25, v57
	v_lshlrev_b64_e32 v[9:10], 3, v[10:11]
	global_load_b64 v[81:82], v[81:82], off
	v_add_co_u32 v87, vcc_lo, s8, v87
	s_wait_alu 0xfffd
	v_add_co_ci_u32_e64 v88, null, s9, v88, vcc_lo
	v_add_co_u32 v9, vcc_lo, s8, v9
	s_wait_alu 0xfffd
	v_add_co_ci_u32_e64 v10, null, s9, v10, vcc_lo
	s_clause 0x2
	global_load_b64 v[87:88], v[87:88], off
	global_load_b64 v[9:10], v[9:10], off
	;; [unrolled: 1-line block ×3, first 2 shown]
	s_wait_loadcnt 0xf
	v_dual_fmac_f32 v14, v27, v40 :: v_dual_fmac_f32 v15, v64, v57
	v_fma_f32 v19, -v52, v50, v19
	v_dual_fmac_f32 v17, v60, v57 :: v_dual_fmac_f32 v16, v34, v39
	v_add_nc_u32_e32 v8, 0x700, v8
	v_fma_f32 v21, -v54, v50, v21
	v_fmac_f32_e32 v20, v35, v39
	v_fmac_f32_e32 v19, v59, v57
	v_fma_f32 v7, -v26, v58, v7
	v_dual_fmac_f32 v14, v30, v41 :: v_dual_fmac_f32 v17, v59, v58
	v_dual_fmac_f32 v16, v33, v40 :: v_dual_fmac_f32 v15, v63, v58
	s_delay_alu instid0(VALU_DEP_4) | instskip(SKIP_2) | instid1(VALU_DEP_4)
	v_fma_f32 v19, -v60, v58, v19
	v_fmac_f32_e32 v21, v61, v57
	v_fma_f32 v20, -v36, v40, v20
	v_fmac_f32_e32 v16, v46, v41
	v_cmp_ge_i32_e32 vcc_lo, v6, v18
	s_delay_alu instid0(VALU_DEP_4)
	v_fma_f32 v21, -v62, v58, v21
	s_wait_alu 0xfffe
	s_or_b32 s2, vcc_lo, s2
	s_wait_loadcnt 0xd
	v_fmac_f32_e32 v7, v65, v67
	s_wait_loadcnt 0xc
	v_dual_fmac_f32 v14, v29, v42 :: v_dual_fmac_f32 v17, v70, v67
	v_dual_fmac_f32 v20, v47, v41 :: v_dual_fmac_f32 v19, v69, v67
	s_wait_loadcnt 0xb
	v_dual_fmac_f32 v16, v45, v42 :: v_dual_fmac_f32 v21, v71, v67
	s_delay_alu instid0(VALU_DEP_3)
	v_dual_fmac_f32 v17, v69, v68 :: v_dual_fmac_f32 v14, v24, v49
	s_wait_loadcnt 0xa
	v_fmac_f32_e32 v15, v74, v67
	v_fma_f32 v7, -v66, v68, v7
	v_fma_f32 v20, -v48, v42, v20
	;; [unrolled: 1-line block ×3, first 2 shown]
	s_delay_alu instid0(VALU_DEP_4)
	v_dual_fmac_f32 v14, v23, v50 :: v_dual_fmac_f32 v15, v73, v68
	v_fma_f32 v21, -v72, v68, v21
	s_wait_loadcnt 0x8
	v_fmac_f32_e32 v17, v80, v77
	v_fmac_f32_e32 v16, v54, v49
	;; [unrolled: 1-line block ×3, first 2 shown]
	s_delay_alu instid0(VALU_DEP_3) | instskip(NEXT) | instid1(VALU_DEP_3)
	v_fmac_f32_e32 v17, v79, v78
	v_fmac_f32_e32 v16, v53, v50
	s_delay_alu instid0(VALU_DEP_3) | instskip(SKIP_2) | instid1(VALU_DEP_3)
	v_fma_f32 v22, -v80, v78, v19
	s_wait_loadcnt 0x7
	v_fmac_f32_e32 v7, v75, v77
	v_fmac_f32_e32 v16, v62, v57
	s_delay_alu instid0(VALU_DEP_2)
	v_fma_f32 v7, -v76, v78, v7
	v_fmac_f32_e32 v14, v26, v57
	s_wait_loadcnt 0x6
	v_fmac_f32_e32 v15, v13, v77
	s_wait_loadcnt 0x4
	v_dual_fmac_f32 v20, v55, v49 :: v_dual_fmac_f32 v7, v85, v83
	v_fmac_f32_e32 v14, v25, v58
	s_wait_loadcnt 0x3
	v_fmac_f32_e32 v21, v81, v77
	v_fmac_f32_e32 v15, v12, v78
	v_fma_f32 v20, -v56, v50, v20
	v_fmac_f32_e32 v14, v66, v67
	v_fma_f32 v19, -v86, v84, v7
	v_fma_f32 v21, -v82, v78, v21
	s_delay_alu instid0(VALU_DEP_4)
	v_fmac_f32_e32 v20, v63, v57
	s_wait_loadcnt 0x2
	v_dual_fmac_f32 v14, v65, v68 :: v_dual_fmac_f32 v17, v88, v83
	s_wait_loadcnt 0x1
	v_fmac_f32_e32 v21, v9, v83
	s_wait_loadcnt 0x0
	v_dual_fmac_f32 v16, v61, v58 :: v_dual_fmac_f32 v15, v38, v83
	v_fma_f32 v20, -v64, v58, v20
	v_dual_fmac_f32 v17, v87, v84 :: v_dual_fmac_f32 v14, v76, v77
	s_delay_alu instid0(VALU_DEP_3) | instskip(NEXT) | instid1(VALU_DEP_3)
	v_dual_fmac_f32 v16, v72, v67 :: v_dual_fmac_f32 v15, v37, v84
	v_fmac_f32_e32 v20, v73, v67
	v_fmac_f32_e32 v22, v87, v83
	s_delay_alu instid0(VALU_DEP_4) | instskip(SKIP_1) | instid1(VALU_DEP_4)
	v_fmac_f32_e32 v14, v75, v78
	v_fma_f32 v21, -v10, v84, v21
	v_fma_f32 v20, -v74, v68, v20
	s_delay_alu instid0(VALU_DEP_4) | instskip(NEXT) | instid1(VALU_DEP_4)
	v_fma_f32 v22, -v88, v84, v22
	v_fmac_f32_e32 v14, v86, v83
	s_delay_alu instid0(VALU_DEP_3) | instskip(NEXT) | instid1(VALU_DEP_2)
	v_fmac_f32_e32 v20, v12, v77
	v_fmac_f32_e32 v14, v85, v84
	s_delay_alu instid0(VALU_DEP_2) | instskip(NEXT) | instid1(VALU_DEP_1)
	v_fma_f32 v13, -v13, v78, v20
	v_dual_fmac_f32 v16, v71, v68 :: v_dual_fmac_f32 v13, v37, v83
	s_delay_alu instid0(VALU_DEP_1) | instskip(NEXT) | instid1(VALU_DEP_2)
	v_fmac_f32_e32 v16, v82, v77
	v_fma_f32 v20, -v38, v84, v13
	s_delay_alu instid0(VALU_DEP_2) | instskip(NEXT) | instid1(VALU_DEP_1)
	v_fmac_f32_e32 v16, v81, v78
	v_fmac_f32_e32 v16, v10, v83
	s_delay_alu instid0(VALU_DEP_1)
	v_fmac_f32_e32 v16, v9, v84
	s_wait_alu 0xfffe
	s_and_not1_b32 exec_lo, exec_lo, s2
	s_cbranch_execnz .LBB103_13
; %bb.14:
	s_or_b32 exec_lo, exec_lo, s2
.LBB103_15:
	s_wait_alu 0xfffe
	s_or_b32 exec_lo, exec_lo, s3
.LBB103_16:
	v_mbcnt_lo_u32_b32 v6, -1, 0
	s_delay_alu instid0(VALU_DEP_1) | instskip(SKIP_1) | instid1(VALU_DEP_2)
	v_or_b32_e32 v7, 32, v6
	v_xor_b32_e32 v23, 16, v6
	v_cmp_gt_i32_e32 vcc_lo, 32, v7
	s_wait_alu 0xfffd
	v_cndmask_b32_e32 v7, v6, v7, vcc_lo
	s_delay_alu instid0(VALU_DEP_3) | instskip(NEXT) | instid1(VALU_DEP_2)
	v_cmp_gt_i32_e32 vcc_lo, 32, v23
	v_lshlrev_b32_e32 v7, 2, v7
	ds_bpermute_b32 v10, v7, v22
	s_wait_dscnt 0x0
	v_add_f32_e32 v10, v22, v10
	ds_bpermute_b32 v8, v7, v19
	ds_bpermute_b32 v9, v7, v14
	;; [unrolled: 1-line block ×7, first 2 shown]
	s_wait_dscnt 0x6
	s_wait_alu 0xfffd
	v_dual_cndmask_b32 v23, v6, v23 :: v_dual_add_f32 v8, v19, v8
	s_wait_dscnt 0x4
	v_dual_add_f32 v9, v14, v9 :: v_dual_add_f32 v12, v21, v12
	s_wait_dscnt 0x3
	s_delay_alu instid0(VALU_DEP_2)
	v_dual_add_f32 v14, v20, v18 :: v_dual_lshlrev_b32 v23, 2, v23
	s_wait_dscnt 0x2
	v_add_f32_e32 v11, v17, v11
	s_wait_dscnt 0x1
	v_add_f32_e32 v13, v16, v13
	ds_bpermute_b32 v17, v23, v10
	ds_bpermute_b32 v21, v23, v14
	s_wait_dscnt 0x2
	v_add_f32_e32 v7, v15, v7
	ds_bpermute_b32 v15, v23, v8
	ds_bpermute_b32 v19, v23, v12
	;; [unrolled: 1-line block ×3, first 2 shown]
	s_wait_dscnt 0x4
	v_add_f32_e32 v10, v10, v17
	ds_bpermute_b32 v18, v23, v11
	s_wait_dscnt 0x4
	v_add_f32_e32 v14, v14, v21
	ds_bpermute_b32 v22, v23, v7
	;; [unrolled: 3-line block ×3, first 2 shown]
	v_xor_b32_e32 v23, 8, v6
	s_wait_dscnt 0x4
	v_add_f32_e32 v12, v12, v19
	s_delay_alu instid0(VALU_DEP_2) | instskip(SKIP_2) | instid1(VALU_DEP_1)
	v_cmp_gt_i32_e32 vcc_lo, 32, v23
	s_wait_alu 0xfffd
	v_cndmask_b32_e32 v23, v6, v23, vcc_lo
	v_lshlrev_b32_e32 v23, 2, v23
	s_wait_dscnt 0x0
	v_add_f32_e32 v9, v9, v16
	ds_bpermute_b32 v17, v23, v10
	s_wait_dscnt 0x0
	v_add_f32_e32 v10, v10, v17
	ds_bpermute_b32 v15, v23, v8
	ds_bpermute_b32 v19, v23, v12
	;; [unrolled: 1-line block ×3, first 2 shown]
	v_add_f32_e32 v11, v11, v18
	v_add_f32_e32 v13, v13, v20
	;; [unrolled: 1-line block ×3, first 2 shown]
	ds_bpermute_b32 v16, v23, v9
	s_wait_dscnt 0x3
	v_add_f32_e32 v8, v8, v15
	ds_bpermute_b32 v18, v23, v11
	s_wait_dscnt 0x3
	v_add_f32_e32 v12, v12, v19
	;; [unrolled: 3-line block ×3, first 2 shown]
	ds_bpermute_b32 v22, v23, v7
	v_xor_b32_e32 v23, 4, v6
	s_wait_dscnt 0x3
	v_add_f32_e32 v9, v9, v16
	s_delay_alu instid0(VALU_DEP_2) | instskip(SKIP_2) | instid1(VALU_DEP_1)
	v_cmp_gt_i32_e32 vcc_lo, 32, v23
	s_wait_alu 0xfffd
	v_cndmask_b32_e32 v23, v6, v23, vcc_lo
	v_lshlrev_b32_e32 v23, 2, v23
	s_wait_dscnt 0x2
	v_add_f32_e32 v11, v11, v18
	s_wait_dscnt 0x1
	v_add_f32_e32 v13, v13, v20
	;; [unrolled: 2-line block ×3, first 2 shown]
	ds_bpermute_b32 v16, v23, v9
	ds_bpermute_b32 v18, v23, v11
	;; [unrolled: 1-line block ×3, first 2 shown]
	s_wait_dscnt 0x1
	v_dual_add_f32 v9, v9, v16 :: v_dual_add_f32 v16, v11, v18
	s_wait_dscnt 0x0
	v_add_f32_e32 v18, v14, v21
	ds_bpermute_b32 v15, v23, v8
	ds_bpermute_b32 v17, v23, v10
	;; [unrolled: 1-line block ×5, first 2 shown]
	v_xor_b32_e32 v23, 2, v6
	s_delay_alu instid0(VALU_DEP_1) | instskip(SKIP_2) | instid1(VALU_DEP_1)
	v_cmp_gt_i32_e32 vcc_lo, 32, v23
	s_wait_alu 0xfffd
	v_cndmask_b32_e32 v23, v6, v23, vcc_lo
	v_lshlrev_b32_e32 v23, 2, v23
	s_wait_dscnt 0x3
	v_dual_add_f32 v8, v8, v15 :: v_dual_add_f32 v15, v10, v17
	s_wait_dscnt 0x1
	v_dual_add_f32 v12, v12, v19 :: v_dual_add_f32 v17, v13, v20
	s_wait_dscnt 0x0
	v_add_f32_e32 v19, v7, v22
	ds_bpermute_b32 v7, v23, v8
	ds_bpermute_b32 v10, v23, v9
	;; [unrolled: 1-line block ×8, first 2 shown]
	v_xor_b32_e32 v23, 1, v6
	s_delay_alu instid0(VALU_DEP_1)
	v_cmp_gt_i32_e32 vcc_lo, 32, v23
	s_wait_alu 0xfffd
	v_cndmask_b32_e32 v6, v6, v23, vcc_lo
	v_cmp_eq_u32_e32 vcc_lo, 63, v0
	s_wait_dscnt 0x5
	v_add_f32_e32 v11, v15, v11
	s_delay_alu instid0(VALU_DEP_3)
	v_dual_add_f32 v6, v8, v7 :: v_dual_lshlrev_b32 v23, 2, v6
	s_wait_dscnt 0x4
	v_dual_add_f32 v10, v9, v10 :: v_dual_add_f32 v13, v16, v13
	s_wait_dscnt 0x2
	v_dual_add_f32 v14, v12, v14 :: v_dual_add_f32 v15, v17, v20
	s_wait_dscnt 0x1
	v_add_f32_e32 v7, v18, v21
	s_wait_dscnt 0x0
	v_add_f32_e32 v9, v19, v22
	ds_bpermute_b32 v8, v23, v6
	ds_bpermute_b32 v12, v23, v10
	;; [unrolled: 1-line block ×8, first 2 shown]
	s_and_b32 exec_lo, exec_lo, vcc_lo
	s_cbranch_execz .LBB103_21
; %bb.17:
	s_load_b64 s[2:3], s[0:1], 0x38
	v_cmp_eq_f32_e32 vcc_lo, 0, v3
	v_cmp_eq_f32_e64 s0, 0, v4
	s_wait_dscnt 0x7
	v_add_f32_e32 v8, v6, v8
	s_wait_dscnt 0x0
	v_dual_add_f32 v12, v10, v12 :: v_dual_add_f32 v9, v9, v17
	v_dual_add_f32 v0, v11, v18 :: v_dual_add_f32 v11, v13, v19
	v_add_f32_e32 v6, v14, v20
	v_add_f32_e32 v10, v15, v21
	v_add_f32_e32 v7, v7, v16
	s_and_b32 s0, vcc_lo, s0
	s_wait_alu 0xfffe
	s_and_saveexec_b32 s1, s0
	s_wait_alu 0xfffe
	s_xor_b32 s0, exec_lo, s1
	s_cbranch_execz .LBB103_19
; %bb.18:
	v_dual_mul_f32 v14, v1, v12 :: v_dual_lshlrev_b32 v3, 2, v5
	v_mul_f32_e64 v13, v12, -v2
	v_mul_f32_e64 v15, v11, -v2
	v_mul_f32_e32 v16, v1, v11
	s_delay_alu instid0(VALU_DEP_4)
	v_ashrrev_i32_e32 v4, 31, v3
	v_mul_f32_e64 v17, v10, -v2
	v_mul_f32_e32 v18, v1, v10
	v_mul_f32_e64 v19, v9, -v2
	v_mul_f32_e32 v20, v1, v9
	v_lshlrev_b64_e32 v[3:4], 3, v[3:4]
	s_delay_alu instid0(VALU_DEP_4) | instskip(SKIP_1) | instid1(VALU_DEP_4)
	v_dual_fmac_f32 v13, v1, v8 :: v_dual_fmac_f32 v18, v2, v6
	v_dual_fmac_f32 v14, v2, v8 :: v_dual_fmac_f32 v17, v1, v6
	;; [unrolled: 1-line block ×3, first 2 shown]
	s_wait_kmcnt 0x0
	s_delay_alu instid0(VALU_DEP_4)
	v_add_co_u32 v3, vcc_lo, s2, v3
	s_wait_alu 0xfffd
	v_add_co_ci_u32_e64 v4, null, s3, v4, vcc_lo
	v_dual_fmac_f32 v16, v2, v0 :: v_dual_fmac_f32 v19, v1, v7
	s_clause 0x1
	global_store_b128 v[3:4], v[13:16], off
	global_store_b128 v[3:4], v[17:20], off offset:16
                                        ; implicit-def: $vgpr5
                                        ; implicit-def: $vgpr8
                                        ; implicit-def: $vgpr12
                                        ; implicit-def: $vgpr0
                                        ; implicit-def: $vgpr11
                                        ; implicit-def: $vgpr6
                                        ; implicit-def: $vgpr10
                                        ; implicit-def: $vgpr7
                                        ; implicit-def: $vgpr9
                                        ; implicit-def: $vgpr1_vgpr2
                                        ; implicit-def: $vgpr3_vgpr4
.LBB103_19:
	s_wait_alu 0xfffe
	s_and_not1_saveexec_b32 s0, s0
	s_cbranch_execz .LBB103_21
; %bb.20:
	v_dual_mul_f32 v22, v1, v12 :: v_dual_lshlrev_b32 v13, 2, v5
	v_mul_f32_e64 v5, v12, -v2
	v_mul_f32_e64 v23, v11, -v2
	;; [unrolled: 1-line block ×3, first 2 shown]
	s_delay_alu instid0(VALU_DEP_4) | instskip(NEXT) | instid1(VALU_DEP_4)
	v_ashrrev_i32_e32 v14, 31, v13
	v_fmac_f32_e32 v5, v1, v8
	s_delay_alu instid0(VALU_DEP_2) | instskip(SKIP_1) | instid1(VALU_DEP_1)
	v_lshlrev_b64_e32 v[13:14], 3, v[13:14]
	s_wait_kmcnt 0x0
	v_add_co_u32 v25, vcc_lo, s2, v13
	s_wait_alu 0xfffd
	s_delay_alu instid0(VALU_DEP_2)
	v_add_co_ci_u32_e64 v26, null, s3, v14, vcc_lo
	s_clause 0x1
	global_load_b128 v[13:16], v[25:26], off
	global_load_b128 v[17:20], v[25:26], off offset:16
	v_mul_f32_e32 v24, v1, v11
	v_mul_f32_e64 v11, v10, -v2
	s_delay_alu instid0(VALU_DEP_1) | instskip(SKIP_1) | instid1(VALU_DEP_1)
	v_dual_fmac_f32 v22, v2, v8 :: v_dual_fmac_f32 v11, v1, v6
	s_wait_loadcnt 0x1
	v_dual_fmac_f32 v27, v1, v7 :: v_dual_fmac_f32 v22, v4, v13
	s_wait_loadcnt 0x0
	s_delay_alu instid0(VALU_DEP_1) | instskip(SKIP_3) | instid1(VALU_DEP_4)
	v_dual_mul_f32 v12, v1, v9 :: v_dual_fmac_f32 v27, v3, v19
	v_fmac_f32_e32 v23, v1, v0
	v_fmac_f32_e32 v11, v3, v17
	;; [unrolled: 1-line block ×4, first 2 shown]
	s_delay_alu instid0(VALU_DEP_4) | instskip(NEXT) | instid1(VALU_DEP_4)
	v_dual_mul_f32 v10, v1, v10 :: v_dual_fmac_f32 v23, v3, v15
	v_fma_f32 v9, -v4, v18, v11
	v_fma_f32 v11, -v4, v20, v27
	s_delay_alu instid0(VALU_DEP_4) | instskip(NEXT) | instid1(VALU_DEP_4)
	v_fmac_f32_e32 v12, v4, v19
	v_dual_fmac_f32 v10, v2, v6 :: v_dual_fmac_f32 v5, v3, v13
	v_fmac_f32_e32 v24, v2, v0
	v_fma_f32 v23, -v4, v16, v23
	s_delay_alu instid0(VALU_DEP_4) | instskip(NEXT) | instid1(VALU_DEP_4)
	v_fmac_f32_e32 v12, v3, v20
	v_fmac_f32_e32 v10, v4, v17
	v_fma_f32 v21, -v4, v14, v5
	v_fmac_f32_e32 v24, v4, v15
	s_delay_alu instid0(VALU_DEP_3) | instskip(NEXT) | instid1(VALU_DEP_2)
	v_fmac_f32_e32 v10, v3, v18
	v_fmac_f32_e32 v24, v3, v16
	s_clause 0x1
	global_store_b128 v[25:26], v[21:24], off
	global_store_b128 v[25:26], v[9:12], off offset:16
.LBB103_21:
	s_endpgm
	.section	.rodata,"a",@progbits
	.p2align	6, 0x0
	.amdhsa_kernel _ZN9rocsparseL19gebsrmvn_4xn_kernelILj128ELj7ELj64E21rocsparse_complex_numIfEEEvi20rocsparse_direction_NS_24const_host_device_scalarIT2_EEPKiS8_PKS5_SA_S6_PS5_21rocsparse_index_base_b
		.amdhsa_group_segment_fixed_size 0
		.amdhsa_private_segment_fixed_size 0
		.amdhsa_kernarg_size 72
		.amdhsa_user_sgpr_count 2
		.amdhsa_user_sgpr_dispatch_ptr 0
		.amdhsa_user_sgpr_queue_ptr 0
		.amdhsa_user_sgpr_kernarg_segment_ptr 1
		.amdhsa_user_sgpr_dispatch_id 0
		.amdhsa_user_sgpr_private_segment_size 0
		.amdhsa_wavefront_size32 1
		.amdhsa_uses_dynamic_stack 0
		.amdhsa_enable_private_segment 0
		.amdhsa_system_sgpr_workgroup_id_x 1
		.amdhsa_system_sgpr_workgroup_id_y 0
		.amdhsa_system_sgpr_workgroup_id_z 0
		.amdhsa_system_sgpr_workgroup_info 0
		.amdhsa_system_vgpr_workitem_id 0
		.amdhsa_next_free_vgpr 89
		.amdhsa_next_free_sgpr 14
		.amdhsa_reserve_vcc 1
		.amdhsa_float_round_mode_32 0
		.amdhsa_float_round_mode_16_64 0
		.amdhsa_float_denorm_mode_32 3
		.amdhsa_float_denorm_mode_16_64 3
		.amdhsa_fp16_overflow 0
		.amdhsa_workgroup_processor_mode 1
		.amdhsa_memory_ordered 1
		.amdhsa_forward_progress 1
		.amdhsa_inst_pref_size 44
		.amdhsa_round_robin_scheduling 0
		.amdhsa_exception_fp_ieee_invalid_op 0
		.amdhsa_exception_fp_denorm_src 0
		.amdhsa_exception_fp_ieee_div_zero 0
		.amdhsa_exception_fp_ieee_overflow 0
		.amdhsa_exception_fp_ieee_underflow 0
		.amdhsa_exception_fp_ieee_inexact 0
		.amdhsa_exception_int_div_zero 0
	.end_amdhsa_kernel
	.section	.text._ZN9rocsparseL19gebsrmvn_4xn_kernelILj128ELj7ELj64E21rocsparse_complex_numIfEEEvi20rocsparse_direction_NS_24const_host_device_scalarIT2_EEPKiS8_PKS5_SA_S6_PS5_21rocsparse_index_base_b,"axG",@progbits,_ZN9rocsparseL19gebsrmvn_4xn_kernelILj128ELj7ELj64E21rocsparse_complex_numIfEEEvi20rocsparse_direction_NS_24const_host_device_scalarIT2_EEPKiS8_PKS5_SA_S6_PS5_21rocsparse_index_base_b,comdat
.Lfunc_end103:
	.size	_ZN9rocsparseL19gebsrmvn_4xn_kernelILj128ELj7ELj64E21rocsparse_complex_numIfEEEvi20rocsparse_direction_NS_24const_host_device_scalarIT2_EEPKiS8_PKS5_SA_S6_PS5_21rocsparse_index_base_b, .Lfunc_end103-_ZN9rocsparseL19gebsrmvn_4xn_kernelILj128ELj7ELj64E21rocsparse_complex_numIfEEEvi20rocsparse_direction_NS_24const_host_device_scalarIT2_EEPKiS8_PKS5_SA_S6_PS5_21rocsparse_index_base_b
                                        ; -- End function
	.set _ZN9rocsparseL19gebsrmvn_4xn_kernelILj128ELj7ELj64E21rocsparse_complex_numIfEEEvi20rocsparse_direction_NS_24const_host_device_scalarIT2_EEPKiS8_PKS5_SA_S6_PS5_21rocsparse_index_base_b.num_vgpr, 89
	.set _ZN9rocsparseL19gebsrmvn_4xn_kernelILj128ELj7ELj64E21rocsparse_complex_numIfEEEvi20rocsparse_direction_NS_24const_host_device_scalarIT2_EEPKiS8_PKS5_SA_S6_PS5_21rocsparse_index_base_b.num_agpr, 0
	.set _ZN9rocsparseL19gebsrmvn_4xn_kernelILj128ELj7ELj64E21rocsparse_complex_numIfEEEvi20rocsparse_direction_NS_24const_host_device_scalarIT2_EEPKiS8_PKS5_SA_S6_PS5_21rocsparse_index_base_b.numbered_sgpr, 14
	.set _ZN9rocsparseL19gebsrmvn_4xn_kernelILj128ELj7ELj64E21rocsparse_complex_numIfEEEvi20rocsparse_direction_NS_24const_host_device_scalarIT2_EEPKiS8_PKS5_SA_S6_PS5_21rocsparse_index_base_b.num_named_barrier, 0
	.set _ZN9rocsparseL19gebsrmvn_4xn_kernelILj128ELj7ELj64E21rocsparse_complex_numIfEEEvi20rocsparse_direction_NS_24const_host_device_scalarIT2_EEPKiS8_PKS5_SA_S6_PS5_21rocsparse_index_base_b.private_seg_size, 0
	.set _ZN9rocsparseL19gebsrmvn_4xn_kernelILj128ELj7ELj64E21rocsparse_complex_numIfEEEvi20rocsparse_direction_NS_24const_host_device_scalarIT2_EEPKiS8_PKS5_SA_S6_PS5_21rocsparse_index_base_b.uses_vcc, 1
	.set _ZN9rocsparseL19gebsrmvn_4xn_kernelILj128ELj7ELj64E21rocsparse_complex_numIfEEEvi20rocsparse_direction_NS_24const_host_device_scalarIT2_EEPKiS8_PKS5_SA_S6_PS5_21rocsparse_index_base_b.uses_flat_scratch, 0
	.set _ZN9rocsparseL19gebsrmvn_4xn_kernelILj128ELj7ELj64E21rocsparse_complex_numIfEEEvi20rocsparse_direction_NS_24const_host_device_scalarIT2_EEPKiS8_PKS5_SA_S6_PS5_21rocsparse_index_base_b.has_dyn_sized_stack, 0
	.set _ZN9rocsparseL19gebsrmvn_4xn_kernelILj128ELj7ELj64E21rocsparse_complex_numIfEEEvi20rocsparse_direction_NS_24const_host_device_scalarIT2_EEPKiS8_PKS5_SA_S6_PS5_21rocsparse_index_base_b.has_recursion, 0
	.set _ZN9rocsparseL19gebsrmvn_4xn_kernelILj128ELj7ELj64E21rocsparse_complex_numIfEEEvi20rocsparse_direction_NS_24const_host_device_scalarIT2_EEPKiS8_PKS5_SA_S6_PS5_21rocsparse_index_base_b.has_indirect_call, 0
	.section	.AMDGPU.csdata,"",@progbits
; Kernel info:
; codeLenInByte = 5560
; TotalNumSgprs: 16
; NumVgprs: 89
; ScratchSize: 0
; MemoryBound: 0
; FloatMode: 240
; IeeeMode: 1
; LDSByteSize: 0 bytes/workgroup (compile time only)
; SGPRBlocks: 0
; VGPRBlocks: 11
; NumSGPRsForWavesPerEU: 16
; NumVGPRsForWavesPerEU: 89
; Occupancy: 16
; WaveLimiterHint : 1
; COMPUTE_PGM_RSRC2:SCRATCH_EN: 0
; COMPUTE_PGM_RSRC2:USER_SGPR: 2
; COMPUTE_PGM_RSRC2:TRAP_HANDLER: 0
; COMPUTE_PGM_RSRC2:TGID_X_EN: 1
; COMPUTE_PGM_RSRC2:TGID_Y_EN: 0
; COMPUTE_PGM_RSRC2:TGID_Z_EN: 0
; COMPUTE_PGM_RSRC2:TIDIG_COMP_CNT: 0
	.section	.text._ZN9rocsparseL19gebsrmvn_4xn_kernelILj128ELj8ELj4E21rocsparse_complex_numIfEEEvi20rocsparse_direction_NS_24const_host_device_scalarIT2_EEPKiS8_PKS5_SA_S6_PS5_21rocsparse_index_base_b,"axG",@progbits,_ZN9rocsparseL19gebsrmvn_4xn_kernelILj128ELj8ELj4E21rocsparse_complex_numIfEEEvi20rocsparse_direction_NS_24const_host_device_scalarIT2_EEPKiS8_PKS5_SA_S6_PS5_21rocsparse_index_base_b,comdat
	.globl	_ZN9rocsparseL19gebsrmvn_4xn_kernelILj128ELj8ELj4E21rocsparse_complex_numIfEEEvi20rocsparse_direction_NS_24const_host_device_scalarIT2_EEPKiS8_PKS5_SA_S6_PS5_21rocsparse_index_base_b ; -- Begin function _ZN9rocsparseL19gebsrmvn_4xn_kernelILj128ELj8ELj4E21rocsparse_complex_numIfEEEvi20rocsparse_direction_NS_24const_host_device_scalarIT2_EEPKiS8_PKS5_SA_S6_PS5_21rocsparse_index_base_b
	.p2align	8
	.type	_ZN9rocsparseL19gebsrmvn_4xn_kernelILj128ELj8ELj4E21rocsparse_complex_numIfEEEvi20rocsparse_direction_NS_24const_host_device_scalarIT2_EEPKiS8_PKS5_SA_S6_PS5_21rocsparse_index_base_b,@function
_ZN9rocsparseL19gebsrmvn_4xn_kernelILj128ELj8ELj4E21rocsparse_complex_numIfEEEvi20rocsparse_direction_NS_24const_host_device_scalarIT2_EEPKiS8_PKS5_SA_S6_PS5_21rocsparse_index_base_b: ; @_ZN9rocsparseL19gebsrmvn_4xn_kernelILj128ELj8ELj4E21rocsparse_complex_numIfEEEvi20rocsparse_direction_NS_24const_host_device_scalarIT2_EEPKiS8_PKS5_SA_S6_PS5_21rocsparse_index_base_b
; %bb.0:
	s_clause 0x2
	s_load_b64 s[12:13], s[0:1], 0x40
	s_load_b64 s[2:3], s[0:1], 0x8
	;; [unrolled: 1-line block ×3, first 2 shown]
	s_add_nc_u64 s[6:7], s[0:1], 8
	s_wait_kmcnt 0x0
	s_bitcmp1_b32 s13, 0
	s_cselect_b32 s2, s6, s2
	s_cselect_b32 s3, s7, s3
	s_delay_alu instid0(SALU_CYCLE_1)
	v_dual_mov_b32 v1, s2 :: v_dual_mov_b32 v2, s3
	s_add_nc_u64 s[2:3], s[0:1], 48
	s_wait_alu 0xfffe
	s_cselect_b32 s2, s2, s4
	s_cselect_b32 s3, s3, s5
	flat_load_b64 v[1:2], v[1:2]
	s_wait_alu 0xfffe
	v_dual_mov_b32 v3, s2 :: v_dual_mov_b32 v4, s3
	flat_load_b64 v[3:4], v[3:4]
	s_wait_loadcnt_dscnt 0x101
	v_cmp_eq_f32_e32 vcc_lo, 0, v1
	v_cmp_eq_f32_e64 s2, 0, v2
	s_and_b32 s4, vcc_lo, s2
	s_mov_b32 s2, -1
	s_and_saveexec_b32 s3, s4
	s_cbranch_execz .LBB104_2
; %bb.1:
	s_wait_loadcnt_dscnt 0x0
	v_cmp_neq_f32_e32 vcc_lo, 1.0, v3
	v_cmp_neq_f32_e64 s2, 0, v4
	s_wait_alu 0xfffe
	s_or_b32 s2, vcc_lo, s2
	s_wait_alu 0xfffe
	s_or_not1_b32 s2, s2, exec_lo
.LBB104_2:
	s_wait_alu 0xfffe
	s_or_b32 exec_lo, exec_lo, s3
	s_and_saveexec_b32 s3, s2
	s_cbranch_execz .LBB104_21
; %bb.3:
	s_load_b64 s[2:3], s[0:1], 0x0
	v_lshrrev_b32_e32 v5, 2, v0
	s_delay_alu instid0(VALU_DEP_1) | instskip(SKIP_1) | instid1(VALU_DEP_1)
	v_lshl_or_b32 v5, ttmp9, 5, v5
	s_wait_kmcnt 0x0
	v_cmp_gt_i32_e32 vcc_lo, s2, v5
	s_and_b32 exec_lo, exec_lo, vcc_lo
	s_cbranch_execz .LBB104_21
; %bb.4:
	s_load_b256 s[4:11], s[0:1], 0x10
	v_ashrrev_i32_e32 v6, 31, v5
	v_and_b32_e32 v0, 3, v0
	s_cmp_lg_u32 s3, 0
	s_delay_alu instid0(VALU_DEP_2) | instskip(SKIP_1) | instid1(VALU_DEP_1)
	v_lshlrev_b64_e32 v[6:7], 2, v[5:6]
	s_wait_kmcnt 0x0
	v_add_co_u32 v6, vcc_lo, s4, v6
	s_delay_alu instid0(VALU_DEP_1) | instskip(SKIP_4) | instid1(VALU_DEP_2)
	v_add_co_ci_u32_e64 v7, null, s5, v7, vcc_lo
	global_load_b64 v[6:7], v[6:7], off
	s_wait_loadcnt 0x0
	v_subrev_nc_u32_e32 v6, s12, v6
	v_subrev_nc_u32_e32 v15, s12, v7
	v_add_nc_u32_e32 v6, v6, v0
	s_delay_alu instid0(VALU_DEP_1)
	v_cmp_lt_i32_e64 s2, v6, v15
	s_cbranch_scc0 .LBB104_10
; %bb.5:
	v_dual_mov_b32 v11, 0 :: v_dual_mov_b32 v18, 0
	v_dual_mov_b32 v16, 0 :: v_dual_mov_b32 v17, 0
	;; [unrolled: 1-line block ×4, first 2 shown]
	s_and_saveexec_b32 s3, s2
	s_cbranch_execz .LBB104_9
; %bb.6:
	v_dual_mov_b32 v8, 0 :: v_dual_lshlrev_b32 v7, 5, v6
	v_mov_b32_e32 v9, v6
	s_mov_b32 s4, 0
	s_delay_alu instid0(VALU_DEP_2)
	v_dual_mov_b32 v11, v8 :: v_dual_mov_b32 v16, v8
	v_mov_b32_e32 v18, v8
	v_dual_mov_b32 v12, v8 :: v_dual_mov_b32 v17, v8
	v_dual_mov_b32 v13, v8 :: v_dual_mov_b32 v14, v8
	v_mov_b32_e32 v19, v8
.LBB104_7:                              ; =>This Inner Loop Header: Depth=1
	v_ashrrev_i32_e32 v10, 31, v9
	s_delay_alu instid0(VALU_DEP_1) | instskip(NEXT) | instid1(VALU_DEP_1)
	v_lshlrev_b64_e32 v[20:21], 2, v[9:10]
	v_add_co_u32 v20, vcc_lo, s6, v20
	s_wait_alu 0xfffd
	s_delay_alu instid0(VALU_DEP_2) | instskip(SKIP_2) | instid1(VALU_DEP_1)
	v_add_co_ci_u32_e64 v21, null, s7, v21, vcc_lo
	global_load_b32 v10, v[20:21], off
	v_lshlrev_b64_e32 v[20:21], 3, v[7:8]
	v_add_co_u32 v96, vcc_lo, s8, v20
	s_wait_alu 0xfffd
	s_delay_alu instid0(VALU_DEP_2)
	v_add_co_ci_u32_e64 v97, null, s9, v21, vcc_lo
	s_clause 0xa
	global_load_b128 v[20:23], v[96:97], off offset:48
	global_load_b128 v[24:27], v[96:97], off offset:32
	;; [unrolled: 1-line block ×3, first 2 shown]
	global_load_b128 v[32:35], v[96:97], off
	global_load_b128 v[36:39], v[96:97], off offset:80
	global_load_b128 v[40:43], v[96:97], off offset:64
	;; [unrolled: 1-line block ×7, first 2 shown]
	s_wait_loadcnt 0xb
	v_subrev_nc_u32_e32 v10, s12, v10
	s_delay_alu instid0(VALU_DEP_1) | instskip(NEXT) | instid1(VALU_DEP_1)
	v_dual_mov_b32 v65, v8 :: v_dual_lshlrev_b32 v64, 3, v10
	v_lshlrev_b64_e32 v[64:65], 3, v[64:65]
	s_delay_alu instid0(VALU_DEP_1) | instskip(SKIP_1) | instid1(VALU_DEP_2)
	v_add_co_u32 v88, vcc_lo, s10, v64
	s_wait_alu 0xfffd
	v_add_co_ci_u32_e64 v89, null, s11, v65, vcc_lo
	s_clause 0x2
	global_load_b128 v[64:67], v[88:89], off
	global_load_b128 v[68:71], v[88:89], off offset:16
	global_load_b128 v[72:75], v[88:89], off offset:32
	s_clause 0x2
	global_load_b128 v[76:79], v[96:97], off offset:176
	global_load_b128 v[80:83], v[96:97], off offset:192
	;; [unrolled: 1-line block ×4, first 2 shown]
	s_clause 0x1
	global_load_b128 v[92:95], v[96:97], off offset:224
	global_load_b128 v[96:99], v[96:97], off offset:240
	v_add_nc_u32_e32 v7, 0x80, v7
	s_wait_loadcnt 0x8
	v_dual_fmac_f32 v14, v35, v64 :: v_dual_add_nc_u32 v9, 4, v9
	v_fmac_f32_e32 v18, v32, v64
	v_fmac_f32_e32 v11, v33, v64
	s_delay_alu instid0(VALU_DEP_3) | instskip(NEXT) | instid1(VALU_DEP_4)
	v_cmp_ge_i32_e32 vcc_lo, v9, v15
	v_fmac_f32_e32 v14, v34, v65
	s_delay_alu instid0(VALU_DEP_4) | instskip(SKIP_2) | instid1(VALU_DEP_4)
	v_fma_f32 v10, -v33, v65, v18
	v_fmac_f32_e32 v19, v34, v64
	v_dual_fmac_f32 v16, v30, v64 :: v_dual_fmac_f32 v11, v32, v65
	v_fmac_f32_e32 v14, v27, v66
	s_delay_alu instid0(VALU_DEP_4) | instskip(NEXT) | instid1(VALU_DEP_4)
	v_fmac_f32_e32 v10, v24, v66
	v_fma_f32 v18, -v35, v65, v19
	v_fmac_f32_e32 v13, v29, v64
	s_delay_alu instid0(VALU_DEP_4) | instskip(SKIP_1) | instid1(VALU_DEP_4)
	v_dual_fmac_f32 v11, v25, v66 :: v_dual_fmac_f32 v14, v26, v67
	v_fma_f32 v16, -v31, v65, v16
	v_fmac_f32_e32 v18, v26, v66
	s_delay_alu instid0(VALU_DEP_4) | instskip(SKIP_2) | instid1(VALU_DEP_3)
	v_dual_fmac_f32 v12, v31, v64 :: v_dual_fmac_f32 v13, v28, v65
	v_fmac_f32_e32 v17, v28, v64
	v_fma_f32 v10, -v25, v67, v10
	v_dual_fmac_f32 v11, v24, v67 :: v_dual_fmac_f32 v12, v30, v65
	s_delay_alu instid0(VALU_DEP_4) | instskip(NEXT) | instid1(VALU_DEP_4)
	v_fmac_f32_e32 v13, v21, v66
	v_fma_f32 v17, -v29, v65, v17
	v_fma_f32 v18, -v27, v67, v18
	s_wait_loadcnt 0x7
	v_fmac_f32_e32 v10, v40, v68
	v_dual_fmac_f32 v12, v23, v66 :: v_dual_fmac_f32 v11, v41, v68
	v_fmac_f32_e32 v17, v20, v66
	v_dual_fmac_f32 v16, v22, v66 :: v_dual_fmac_f32 v13, v20, v67
	s_delay_alu instid0(VALU_DEP_3) | instskip(NEXT) | instid1(VALU_DEP_4)
	v_fmac_f32_e32 v12, v22, v67
	v_dual_fmac_f32 v18, v42, v68 :: v_dual_fmac_f32 v11, v40, v69
	s_delay_alu instid0(VALU_DEP_4) | instskip(NEXT) | instid1(VALU_DEP_4)
	v_fma_f32 v17, -v21, v67, v17
	v_fma_f32 v16, -v23, v67, v16
	s_delay_alu instid0(VALU_DEP_4) | instskip(SKIP_2) | instid1(VALU_DEP_4)
	v_fmac_f32_e32 v12, v39, v68
	v_fmac_f32_e32 v13, v37, v68
	v_fma_f32 v18, -v43, v69, v18
	v_dual_fmac_f32 v11, v45, v70 :: v_dual_fmac_f32 v16, v38, v68
	s_delay_alu instid0(VALU_DEP_4) | instskip(NEXT) | instid1(VALU_DEP_4)
	v_fmac_f32_e32 v12, v38, v69
	v_dual_fmac_f32 v14, v43, v68 :: v_dual_fmac_f32 v13, v36, v69
	v_fmac_f32_e32 v17, v36, v68
	v_fma_f32 v10, -v41, v69, v10
	v_dual_fmac_f32 v18, v46, v70 :: v_dual_fmac_f32 v11, v44, v71
	s_delay_alu instid0(VALU_DEP_4) | instskip(NEXT) | instid1(VALU_DEP_4)
	v_fmac_f32_e32 v14, v42, v69
	v_fma_f32 v17, -v37, v69, v17
	v_fmac_f32_e32 v13, v49, v70
	s_wait_loadcnt 0x6
	v_dual_fmac_f32 v10, v44, v70 :: v_dual_fmac_f32 v11, v61, v72
	v_fmac_f32_e32 v14, v47, v70
	v_fmac_f32_e32 v17, v48, v70
	v_dual_fmac_f32 v13, v48, v71 :: v_dual_fmac_f32 v12, v51, v70
	v_fma_f32 v16, -v39, v69, v16
	v_fma_f32 v10, -v45, v71, v10
	s_delay_alu instid0(VALU_DEP_4) | instskip(NEXT) | instid1(VALU_DEP_4)
	v_fma_f32 v17, -v49, v71, v17
	v_dual_fmac_f32 v13, v57, v72 :: v_dual_fmac_f32 v12, v50, v71
	s_delay_alu instid0(VALU_DEP_4) | instskip(NEXT) | instid1(VALU_DEP_3)
	v_dual_fmac_f32 v11, v60, v73 :: v_dual_fmac_f32 v16, v50, v70
	v_fmac_f32_e32 v17, v56, v72
	v_fma_f32 v18, -v47, v71, v18
	v_fmac_f32_e32 v14, v46, v71
	s_delay_alu instid0(VALU_DEP_4) | instskip(SKIP_1) | instid1(VALU_DEP_4)
	v_dual_fmac_f32 v10, v60, v72 :: v_dual_fmac_f32 v11, v53, v74
	v_fma_f32 v16, -v51, v71, v16
	v_dual_fmac_f32 v18, v62, v72 :: v_dual_fmac_f32 v13, v56, v73
	s_delay_alu instid0(VALU_DEP_3)
	v_dual_fmac_f32 v12, v59, v72 :: v_dual_fmac_f32 v11, v52, v75
	v_fma_f32 v17, -v57, v73, v17
	v_fmac_f32_e32 v14, v63, v72
	s_wait_loadcnt 0x5
	v_dual_fmac_f32 v16, v58, v72 :: v_dual_fmac_f32 v13, v77, v74
	v_fma_f32 v18, -v63, v73, v18
	s_wait_loadcnt 0x2
	v_dual_fmac_f32 v12, v58, v73 :: v_dual_fmac_f32 v11, v81, v88
	v_dual_fmac_f32 v17, v76, v74 :: v_dual_fmac_f32 v14, v62, v73
	v_fmac_f32_e32 v13, v76, v75
	v_fma_f32 v10, -v61, v73, v10
	v_fma_f32 v16, -v59, v73, v16
	s_delay_alu instid0(VALU_DEP_4)
	v_fma_f32 v17, -v77, v75, v17
	v_fmac_f32_e32 v18, v54, v74
	v_dual_fmac_f32 v14, v55, v74 :: v_dual_fmac_f32 v11, v80, v89
	v_dual_fmac_f32 v10, v52, v74 :: v_dual_fmac_f32 v13, v85, v88
	v_fmac_f32_e32 v16, v78, v74
	s_wait_loadcnt 0x1
	s_delay_alu instid0(VALU_DEP_3)
	v_dual_fmac_f32 v14, v54, v75 :: v_dual_fmac_f32 v11, v93, v90
	v_dual_fmac_f32 v12, v79, v74 :: v_dual_fmac_f32 v17, v84, v88
	v_fma_f32 v18, -v55, v75, v18
	v_fma_f32 v10, -v53, v75, v10
	v_fmac_f32_e32 v13, v84, v89
	v_fma_f32 v16, -v79, v75, v16
	v_fma_f32 v17, -v85, v89, v17
	v_dual_fmac_f32 v18, v82, v88 :: v_dual_fmac_f32 v11, v92, v91
	v_fmac_f32_e32 v12, v78, v75
	s_wait_loadcnt 0x0
	s_delay_alu instid0(VALU_DEP_3) | instskip(SKIP_1) | instid1(VALU_DEP_3)
	v_dual_fmac_f32 v16, v86, v88 :: v_dual_fmac_f32 v17, v96, v90
	v_dual_fmac_f32 v13, v97, v90 :: v_dual_fmac_f32 v14, v83, v88
	v_fmac_f32_e32 v12, v87, v88
	v_fma_f32 v19, -v83, v89, v18
	v_fmac_f32_e32 v10, v80, v88
	v_fma_f32 v16, -v87, v89, v16
	v_dual_fmac_f32 v13, v96, v91 :: v_dual_fmac_f32 v14, v82, v89
	v_fmac_f32_e32 v12, v86, v89
	v_fmac_f32_e32 v19, v94, v90
	v_fma_f32 v10, -v81, v89, v10
	v_fmac_f32_e32 v16, v98, v90
	v_fmac_f32_e32 v14, v95, v90
	;; [unrolled: 1-line block ×3, first 2 shown]
	v_fma_f32 v19, -v95, v91, v19
	v_fmac_f32_e32 v10, v92, v90
	v_fma_f32 v17, -v97, v91, v17
	v_fmac_f32_e32 v14, v94, v91
	;; [unrolled: 2-line block ×3, first 2 shown]
	v_fma_f32 v18, -v93, v91, v10
	s_wait_alu 0xfffe
	s_or_b32 s4, vcc_lo, s4
	s_wait_alu 0xfffe
	s_and_not1_b32 exec_lo, exec_lo, s4
	s_cbranch_execnz .LBB104_7
; %bb.8:
	s_or_b32 exec_lo, exec_lo, s4
.LBB104_9:
	s_wait_alu 0xfffe
	s_or_b32 exec_lo, exec_lo, s3
	s_cbranch_execz .LBB104_11
	s_branch .LBB104_16
.LBB104_10:
                                        ; implicit-def: $vgpr11
                                        ; implicit-def: $vgpr18
                                        ; implicit-def: $vgpr16
                                        ; implicit-def: $vgpr12
                                        ; implicit-def: $vgpr17
                                        ; implicit-def: $vgpr13
                                        ; implicit-def: $vgpr19
                                        ; implicit-def: $vgpr14
.LBB104_11:
	v_dual_mov_b32 v11, 0 :: v_dual_mov_b32 v18, 0
	v_dual_mov_b32 v16, 0 :: v_dual_mov_b32 v17, 0
	;; [unrolled: 1-line block ×4, first 2 shown]
	s_and_saveexec_b32 s3, s2
	s_cbranch_execz .LBB104_15
; %bb.12:
	v_dual_mov_b32 v9, 0 :: v_dual_lshlrev_b32 v8, 5, v6
	s_mov_b32 s2, 0
	s_delay_alu instid0(VALU_DEP_1)
	v_dual_mov_b32 v11, v9 :: v_dual_mov_b32 v18, v9
	v_dual_mov_b32 v16, v9 :: v_dual_mov_b32 v17, v9
	;; [unrolled: 1-line block ×4, first 2 shown]
.LBB104_13:                             ; =>This Inner Loop Header: Depth=1
	v_ashrrev_i32_e32 v7, 31, v6
	v_lshlrev_b64_e32 v[20:21], 3, v[8:9]
	v_add_nc_u32_e32 v8, 0x80, v8
	s_delay_alu instid0(VALU_DEP_3) | instskip(SKIP_1) | instid1(VALU_DEP_2)
	v_lshlrev_b64_e32 v[22:23], 2, v[6:7]
	v_add_nc_u32_e32 v6, 4, v6
	v_add_co_u32 v22, vcc_lo, s6, v22
	s_wait_alu 0xfffd
	s_delay_alu instid0(VALU_DEP_3)
	v_add_co_ci_u32_e64 v23, null, s7, v23, vcc_lo
	v_add_co_u32 v80, vcc_lo, s8, v20
	s_wait_alu 0xfffd
	v_add_co_ci_u32_e64 v81, null, s9, v21, vcc_lo
	global_load_b32 v7, v[22:23], off
	s_clause 0xf
	global_load_b128 v[20:23], v[80:81], off offset:16
	global_load_b128 v[24:27], v[80:81], off
	global_load_b128 v[28:31], v[80:81], off offset:80
	global_load_b128 v[32:35], v[80:81], off offset:64
	;; [unrolled: 1-line block ×14, first 2 shown]
	s_wait_loadcnt 0x10
	v_subrev_nc_u32_e32 v7, s12, v7
	s_delay_alu instid0(VALU_DEP_1) | instskip(NEXT) | instid1(VALU_DEP_1)
	v_dual_mov_b32 v85, v9 :: v_dual_lshlrev_b32 v84, 3, v7
	v_lshlrev_b64_e32 v[84:85], 3, v[84:85]
	s_delay_alu instid0(VALU_DEP_1) | instskip(SKIP_1) | instid1(VALU_DEP_2)
	v_add_co_u32 v96, vcc_lo, s10, v84
	s_wait_alu 0xfffd
	v_add_co_ci_u32_e64 v97, null, s11, v85, vcc_lo
	s_clause 0x2
	global_load_b128 v[84:87], v[96:97], off
	global_load_b128 v[88:91], v[96:97], off offset:16
	global_load_b128 v[92:95], v[96:97], off offset:32
	v_cmp_ge_i32_e32 vcc_lo, v6, v15
	s_wait_alu 0xfffe
	s_or_b32 s2, vcc_lo, s2
	s_wait_loadcnt 0x2
	v_fmac_f32_e32 v18, v24, v84
	v_fmac_f32_e32 v11, v25, v84
	;; [unrolled: 1-line block ×5, first 2 shown]
	v_fma_f32 v7, -v25, v85, v18
	v_fmac_f32_e32 v11, v24, v85
	v_fmac_f32_e32 v16, v48, v84
	v_fma_f32 v10, -v33, v85, v19
	s_delay_alu instid0(VALU_DEP_4) | instskip(NEXT) | instid1(VALU_DEP_4)
	v_dual_fmac_f32 v14, v32, v85 :: v_dual_fmac_f32 v7, v26, v86
	v_fmac_f32_e32 v11, v27, v86
	v_fmac_f32_e32 v17, v40, v84
	v_dual_fmac_f32 v12, v49, v84 :: v_dual_fmac_f32 v13, v40, v85
	s_delay_alu instid0(VALU_DEP_4) | instskip(NEXT) | instid1(VALU_DEP_4)
	v_fma_f32 v7, -v27, v87, v7
	v_fmac_f32_e32 v11, v26, v87
	global_load_b128 v[24:27], v[96:97], off offset:48
	v_fmac_f32_e32 v10, v34, v86
	v_fma_f32 v16, -v49, v85, v16
	v_fmac_f32_e32 v14, v35, v86
	v_fma_f32 v17, -v41, v85, v17
	v_dual_fmac_f32 v12, v48, v85 :: v_dual_fmac_f32 v13, v43, v86
	s_wait_loadcnt 0x2
	v_dual_fmac_f32 v16, v50, v86 :: v_dual_fmac_f32 v7, v20, v88
	s_delay_alu instid0(VALU_DEP_3) | instskip(SKIP_3) | instid1(VALU_DEP_4)
	v_fmac_f32_e32 v17, v42, v86
	v_fma_f32 v10, -v35, v87, v10
	v_fmac_f32_e32 v14, v34, v87
	v_dual_fmac_f32 v12, v51, v86 :: v_dual_fmac_f32 v13, v42, v87
	v_fma_f32 v17, -v43, v87, v17
	v_fma_f32 v16, -v51, v87, v16
	s_delay_alu instid0(VALU_DEP_3) | instskip(SKIP_3) | instid1(VALU_DEP_4)
	v_dual_fmac_f32 v11, v21, v88 :: v_dual_fmac_f32 v12, v50, v87
	v_fmac_f32_e32 v14, v29, v88
	v_fma_f32 v7, -v21, v89, v7
	v_fmac_f32_e32 v10, v28, v88
	v_fmac_f32_e32 v11, v20, v89
	s_delay_alu instid0(VALU_DEP_4)
	v_dual_fmac_f32 v13, v37, v88 :: v_dual_fmac_f32 v14, v28, v89
	v_fmac_f32_e32 v16, v44, v88
	v_dual_fmac_f32 v12, v45, v88 :: v_dual_fmac_f32 v7, v22, v90
	v_fma_f32 v10, -v29, v89, v10
	v_fmac_f32_e32 v17, v36, v88
	v_fmac_f32_e32 v13, v36, v89
	;; [unrolled: 1-line block ×3, first 2 shown]
	v_fma_f32 v16, -v45, v89, v16
	v_fmac_f32_e32 v10, v30, v90
	v_fma_f32 v17, -v37, v89, v17
	v_fmac_f32_e32 v12, v44, v89
	v_dual_fmac_f32 v14, v31, v90 :: v_dual_fmac_f32 v11, v22, v91
	v_fma_f32 v7, -v23, v91, v7
	s_delay_alu instid0(VALU_DEP_4) | instskip(NEXT) | instid1(VALU_DEP_3)
	v_fmac_f32_e32 v17, v38, v90
	v_dual_fmac_f32 v13, v39, v90 :: v_dual_fmac_f32 v14, v30, v91
	s_wait_loadcnt 0x1
	s_delay_alu instid0(VALU_DEP_3) | instskip(NEXT) | instid1(VALU_DEP_2)
	v_dual_fmac_f32 v16, v46, v90 :: v_dual_fmac_f32 v7, v56, v92
	v_dual_fmac_f32 v12, v47, v90 :: v_dual_fmac_f32 v13, v38, v91
	v_fma_f32 v10, -v31, v91, v10
	v_fma_f32 v17, -v39, v91, v17
	s_delay_alu instid0(VALU_DEP_4) | instskip(NEXT) | instid1(VALU_DEP_4)
	v_fma_f32 v16, -v47, v91, v16
	v_dual_fmac_f32 v12, v46, v91 :: v_dual_fmac_f32 v11, v57, v92
	v_fmac_f32_e32 v14, v65, v92
	v_fma_f32 v7, -v57, v93, v7
	v_fmac_f32_e32 v10, v64, v92
	s_delay_alu instid0(VALU_DEP_4) | instskip(NEXT) | instid1(VALU_DEP_4)
	v_fmac_f32_e32 v11, v56, v93
	v_dual_fmac_f32 v13, v73, v92 :: v_dual_fmac_f32 v14, v64, v93
	v_fmac_f32_e32 v16, v76, v92
	v_dual_fmac_f32 v12, v77, v92 :: v_dual_fmac_f32 v7, v58, v94
	v_fma_f32 v10, -v65, v93, v10
	v_fmac_f32_e32 v17, v72, v92
	v_fmac_f32_e32 v13, v72, v93
	;; [unrolled: 1-line block ×3, first 2 shown]
	v_fma_f32 v16, -v77, v93, v16
	v_fmac_f32_e32 v10, v66, v94
	v_fma_f32 v17, -v73, v93, v17
	v_fmac_f32_e32 v12, v76, v93
	v_dual_fmac_f32 v14, v67, v94 :: v_dual_fmac_f32 v11, v58, v95
	v_fma_f32 v7, -v59, v95, v7
	s_delay_alu instid0(VALU_DEP_4) | instskip(NEXT) | instid1(VALU_DEP_3)
	v_fmac_f32_e32 v17, v74, v94
	v_dual_fmac_f32 v13, v75, v94 :: v_dual_fmac_f32 v14, v66, v95
	v_fmac_f32_e32 v16, v78, v94
	v_fmac_f32_e32 v12, v79, v94
	v_fma_f32 v10, -v67, v95, v10
	v_fma_f32 v17, -v75, v95, v17
	v_fmac_f32_e32 v13, v74, v95
	s_wait_loadcnt 0x0
	v_dual_fmac_f32 v12, v78, v95 :: v_dual_fmac_f32 v11, v53, v24
	v_fmac_f32_e32 v7, v52, v24
	v_fma_f32 v16, -v79, v95, v16
	s_delay_alu instid0(VALU_DEP_3) | instskip(NEXT) | instid1(VALU_DEP_3)
	v_dual_fmac_f32 v14, v61, v24 :: v_dual_fmac_f32 v11, v52, v25
	v_fma_f32 v7, -v53, v25, v7
	v_fmac_f32_e32 v10, v60, v24
	s_delay_alu instid0(VALU_DEP_3) | instskip(NEXT) | instid1(VALU_DEP_4)
	v_dual_fmac_f32 v13, v69, v24 :: v_dual_fmac_f32 v14, v60, v25
	v_dual_fmac_f32 v16, v80, v24 :: v_dual_fmac_f32 v11, v55, v26
	s_delay_alu instid0(VALU_DEP_2)
	v_dual_fmac_f32 v12, v81, v24 :: v_dual_fmac_f32 v13, v68, v25
	v_fmac_f32_e32 v7, v54, v26
	v_fma_f32 v10, -v61, v25, v10
	v_fmac_f32_e32 v17, v68, v24
	v_fma_f32 v16, -v81, v25, v16
	v_dual_fmac_f32 v14, v63, v26 :: v_dual_fmac_f32 v11, v54, v27
	s_delay_alu instid0(VALU_DEP_4) | instskip(NEXT) | instid1(VALU_DEP_4)
	v_fmac_f32_e32 v10, v62, v26
	v_fma_f32 v17, -v69, v25, v17
	v_dual_fmac_f32 v12, v80, v25 :: v_dual_fmac_f32 v13, v71, v26
	s_delay_alu instid0(VALU_DEP_4) | instskip(SKIP_1) | instid1(VALU_DEP_4)
	v_fmac_f32_e32 v14, v62, v27
	v_fmac_f32_e32 v16, v82, v26
	;; [unrolled: 1-line block ×3, first 2 shown]
	s_delay_alu instid0(VALU_DEP_4) | instskip(SKIP_2) | instid1(VALU_DEP_4)
	v_dual_fmac_f32 v12, v83, v26 :: v_dual_fmac_f32 v13, v70, v27
	v_fma_f32 v18, -v55, v27, v7
	v_fma_f32 v19, -v63, v27, v10
	;; [unrolled: 1-line block ×4, first 2 shown]
	v_fmac_f32_e32 v12, v82, v27
	s_wait_alu 0xfffe
	s_and_not1_b32 exec_lo, exec_lo, s2
	s_cbranch_execnz .LBB104_13
; %bb.14:
	s_or_b32 exec_lo, exec_lo, s2
.LBB104_15:
	s_wait_alu 0xfffe
	s_or_b32 exec_lo, exec_lo, s3
.LBB104_16:
	v_mbcnt_lo_u32_b32 v6, -1, 0
	s_delay_alu instid0(VALU_DEP_1) | instskip(NEXT) | instid1(VALU_DEP_1)
	v_xor_b32_e32 v7, 2, v6
	v_cmp_gt_i32_e32 vcc_lo, 32, v7
	s_wait_alu 0xfffd
	v_cndmask_b32_e32 v7, v6, v7, vcc_lo
	s_delay_alu instid0(VALU_DEP_1)
	v_lshlrev_b32_e32 v7, 2, v7
	ds_bpermute_b32 v8, v7, v18
	ds_bpermute_b32 v9, v7, v11
	ds_bpermute_b32 v15, v7, v19
	ds_bpermute_b32 v20, v7, v14
	ds_bpermute_b32 v21, v7, v17
	ds_bpermute_b32 v22, v7, v13
	ds_bpermute_b32 v23, v7, v16
	ds_bpermute_b32 v24, v7, v12
	v_xor_b32_e32 v7, 1, v6
	s_delay_alu instid0(VALU_DEP_1)
	v_cmp_gt_i32_e32 vcc_lo, 32, v7
	s_wait_alu 0xfffd
	v_cndmask_b32_e32 v6, v6, v7, vcc_lo
	v_cmp_eq_u32_e32 vcc_lo, 3, v0
	s_wait_dscnt 0x6
	v_add_f32_e32 v10, v11, v9
	s_wait_dscnt 0x4
	v_dual_add_f32 v11, v19, v15 :: v_dual_add_f32 v14, v14, v20
	s_wait_dscnt 0x3
	v_add_f32_e32 v15, v17, v21
	v_dual_add_f32 v6, v18, v8 :: v_dual_lshlrev_b32 v25, 2, v6
	s_wait_dscnt 0x2
	v_add_f32_e32 v13, v13, v22
	s_wait_dscnt 0x1
	v_add_f32_e32 v7, v16, v23
	;; [unrolled: 2-line block ×3, first 2 shown]
	ds_bpermute_b32 v12, v25, v10
	ds_bpermute_b32 v8, v25, v6
	;; [unrolled: 1-line block ×8, first 2 shown]
	s_and_b32 exec_lo, exec_lo, vcc_lo
	s_cbranch_execz .LBB104_21
; %bb.17:
	s_load_b64 s[2:3], s[0:1], 0x38
	v_cmp_eq_f32_e32 vcc_lo, 0, v3
	v_cmp_eq_f32_e64 s0, 0, v4
	s_wait_dscnt 0x0
	v_dual_add_f32 v8, v6, v8 :: v_dual_add_f32 v9, v9, v17
	v_add_f32_e32 v12, v10, v12
	v_dual_add_f32 v0, v11, v18 :: v_dual_add_f32 v11, v14, v19
	v_add_f32_e32 v6, v15, v20
	v_dual_add_f32 v10, v13, v21 :: v_dual_add_f32 v7, v7, v16
	s_and_b32 s0, vcc_lo, s0
	s_wait_alu 0xfffe
	s_and_saveexec_b32 s1, s0
	s_wait_alu 0xfffe
	s_xor_b32 s0, exec_lo, s1
	s_cbranch_execz .LBB104_19
; %bb.18:
	v_dual_mul_f32 v14, v1, v12 :: v_dual_lshlrev_b32 v3, 2, v5
	v_mul_f32_e64 v13, v12, -v2
	v_mul_f32_e64 v15, v11, -v2
	v_mul_f32_e32 v16, v1, v11
	s_delay_alu instid0(VALU_DEP_4)
	v_ashrrev_i32_e32 v4, 31, v3
	v_mul_f32_e64 v17, v10, -v2
	v_mul_f32_e32 v18, v1, v10
	v_mul_f32_e64 v19, v9, -v2
	v_mul_f32_e32 v20, v1, v9
	v_lshlrev_b64_e32 v[3:4], 3, v[3:4]
	s_delay_alu instid0(VALU_DEP_4) | instskip(SKIP_1) | instid1(VALU_DEP_4)
	v_dual_fmac_f32 v13, v1, v8 :: v_dual_fmac_f32 v18, v2, v6
	v_dual_fmac_f32 v14, v2, v8 :: v_dual_fmac_f32 v17, v1, v6
	;; [unrolled: 1-line block ×3, first 2 shown]
	s_wait_kmcnt 0x0
	s_delay_alu instid0(VALU_DEP_4)
	v_add_co_u32 v3, vcc_lo, s2, v3
	s_wait_alu 0xfffd
	v_add_co_ci_u32_e64 v4, null, s3, v4, vcc_lo
	v_dual_fmac_f32 v16, v2, v0 :: v_dual_fmac_f32 v19, v1, v7
	s_clause 0x1
	global_store_b128 v[3:4], v[13:16], off
	global_store_b128 v[3:4], v[17:20], off offset:16
                                        ; implicit-def: $vgpr5
                                        ; implicit-def: $vgpr8
                                        ; implicit-def: $vgpr12
                                        ; implicit-def: $vgpr0
                                        ; implicit-def: $vgpr11
                                        ; implicit-def: $vgpr6
                                        ; implicit-def: $vgpr10
                                        ; implicit-def: $vgpr7
                                        ; implicit-def: $vgpr9
                                        ; implicit-def: $vgpr1_vgpr2
                                        ; implicit-def: $vgpr3_vgpr4
.LBB104_19:
	s_wait_alu 0xfffe
	s_and_not1_saveexec_b32 s0, s0
	s_cbranch_execz .LBB104_21
; %bb.20:
	v_dual_mul_f32 v22, v1, v12 :: v_dual_lshlrev_b32 v13, 2, v5
	v_mul_f32_e64 v5, v12, -v2
	v_mul_f32_e64 v23, v11, -v2
	;; [unrolled: 1-line block ×3, first 2 shown]
	s_delay_alu instid0(VALU_DEP_4) | instskip(NEXT) | instid1(VALU_DEP_4)
	v_ashrrev_i32_e32 v14, 31, v13
	v_fmac_f32_e32 v5, v1, v8
	s_delay_alu instid0(VALU_DEP_2) | instskip(SKIP_1) | instid1(VALU_DEP_1)
	v_lshlrev_b64_e32 v[13:14], 3, v[13:14]
	s_wait_kmcnt 0x0
	v_add_co_u32 v25, vcc_lo, s2, v13
	s_wait_alu 0xfffd
	s_delay_alu instid0(VALU_DEP_2)
	v_add_co_ci_u32_e64 v26, null, s3, v14, vcc_lo
	s_clause 0x1
	global_load_b128 v[13:16], v[25:26], off
	global_load_b128 v[17:20], v[25:26], off offset:16
	v_mul_f32_e32 v24, v1, v11
	v_mul_f32_e64 v11, v10, -v2
	s_delay_alu instid0(VALU_DEP_1) | instskip(SKIP_1) | instid1(VALU_DEP_1)
	v_dual_fmac_f32 v22, v2, v8 :: v_dual_fmac_f32 v11, v1, v6
	s_wait_loadcnt 0x1
	v_dual_fmac_f32 v27, v1, v7 :: v_dual_fmac_f32 v22, v4, v13
	s_wait_loadcnt 0x0
	s_delay_alu instid0(VALU_DEP_1) | instskip(SKIP_3) | instid1(VALU_DEP_4)
	v_dual_mul_f32 v12, v1, v9 :: v_dual_fmac_f32 v27, v3, v19
	v_fmac_f32_e32 v23, v1, v0
	v_fmac_f32_e32 v11, v3, v17
	;; [unrolled: 1-line block ×4, first 2 shown]
	s_delay_alu instid0(VALU_DEP_4) | instskip(NEXT) | instid1(VALU_DEP_4)
	v_dual_mul_f32 v10, v1, v10 :: v_dual_fmac_f32 v23, v3, v15
	v_fma_f32 v9, -v4, v18, v11
	v_fma_f32 v11, -v4, v20, v27
	s_delay_alu instid0(VALU_DEP_4) | instskip(NEXT) | instid1(VALU_DEP_4)
	v_fmac_f32_e32 v12, v4, v19
	v_dual_fmac_f32 v10, v2, v6 :: v_dual_fmac_f32 v5, v3, v13
	v_fmac_f32_e32 v24, v2, v0
	v_fma_f32 v23, -v4, v16, v23
	s_delay_alu instid0(VALU_DEP_4) | instskip(NEXT) | instid1(VALU_DEP_4)
	v_fmac_f32_e32 v12, v3, v20
	v_fmac_f32_e32 v10, v4, v17
	v_fma_f32 v21, -v4, v14, v5
	v_fmac_f32_e32 v24, v4, v15
	s_delay_alu instid0(VALU_DEP_3) | instskip(NEXT) | instid1(VALU_DEP_2)
	v_fmac_f32_e32 v10, v3, v18
	v_fmac_f32_e32 v24, v3, v16
	s_clause 0x1
	global_store_b128 v[25:26], v[21:24], off
	global_store_b128 v[25:26], v[9:12], off offset:16
.LBB104_21:
	s_nop 0
	s_sendmsg sendmsg(MSG_DEALLOC_VGPRS)
	s_endpgm
	.section	.rodata,"a",@progbits
	.p2align	6, 0x0
	.amdhsa_kernel _ZN9rocsparseL19gebsrmvn_4xn_kernelILj128ELj8ELj4E21rocsparse_complex_numIfEEEvi20rocsparse_direction_NS_24const_host_device_scalarIT2_EEPKiS8_PKS5_SA_S6_PS5_21rocsparse_index_base_b
		.amdhsa_group_segment_fixed_size 0
		.amdhsa_private_segment_fixed_size 0
		.amdhsa_kernarg_size 72
		.amdhsa_user_sgpr_count 2
		.amdhsa_user_sgpr_dispatch_ptr 0
		.amdhsa_user_sgpr_queue_ptr 0
		.amdhsa_user_sgpr_kernarg_segment_ptr 1
		.amdhsa_user_sgpr_dispatch_id 0
		.amdhsa_user_sgpr_private_segment_size 0
		.amdhsa_wavefront_size32 1
		.amdhsa_uses_dynamic_stack 0
		.amdhsa_enable_private_segment 0
		.amdhsa_system_sgpr_workgroup_id_x 1
		.amdhsa_system_sgpr_workgroup_id_y 0
		.amdhsa_system_sgpr_workgroup_id_z 0
		.amdhsa_system_sgpr_workgroup_info 0
		.amdhsa_system_vgpr_workitem_id 0
		.amdhsa_next_free_vgpr 100
		.amdhsa_next_free_sgpr 14
		.amdhsa_reserve_vcc 1
		.amdhsa_float_round_mode_32 0
		.amdhsa_float_round_mode_16_64 0
		.amdhsa_float_denorm_mode_32 3
		.amdhsa_float_denorm_mode_16_64 3
		.amdhsa_fp16_overflow 0
		.amdhsa_workgroup_processor_mode 1
		.amdhsa_memory_ordered 1
		.amdhsa_forward_progress 1
		.amdhsa_inst_pref_size 29
		.amdhsa_round_robin_scheduling 0
		.amdhsa_exception_fp_ieee_invalid_op 0
		.amdhsa_exception_fp_denorm_src 0
		.amdhsa_exception_fp_ieee_div_zero 0
		.amdhsa_exception_fp_ieee_overflow 0
		.amdhsa_exception_fp_ieee_underflow 0
		.amdhsa_exception_fp_ieee_inexact 0
		.amdhsa_exception_int_div_zero 0
	.end_amdhsa_kernel
	.section	.text._ZN9rocsparseL19gebsrmvn_4xn_kernelILj128ELj8ELj4E21rocsparse_complex_numIfEEEvi20rocsparse_direction_NS_24const_host_device_scalarIT2_EEPKiS8_PKS5_SA_S6_PS5_21rocsparse_index_base_b,"axG",@progbits,_ZN9rocsparseL19gebsrmvn_4xn_kernelILj128ELj8ELj4E21rocsparse_complex_numIfEEEvi20rocsparse_direction_NS_24const_host_device_scalarIT2_EEPKiS8_PKS5_SA_S6_PS5_21rocsparse_index_base_b,comdat
.Lfunc_end104:
	.size	_ZN9rocsparseL19gebsrmvn_4xn_kernelILj128ELj8ELj4E21rocsparse_complex_numIfEEEvi20rocsparse_direction_NS_24const_host_device_scalarIT2_EEPKiS8_PKS5_SA_S6_PS5_21rocsparse_index_base_b, .Lfunc_end104-_ZN9rocsparseL19gebsrmvn_4xn_kernelILj128ELj8ELj4E21rocsparse_complex_numIfEEEvi20rocsparse_direction_NS_24const_host_device_scalarIT2_EEPKiS8_PKS5_SA_S6_PS5_21rocsparse_index_base_b
                                        ; -- End function
	.set _ZN9rocsparseL19gebsrmvn_4xn_kernelILj128ELj8ELj4E21rocsparse_complex_numIfEEEvi20rocsparse_direction_NS_24const_host_device_scalarIT2_EEPKiS8_PKS5_SA_S6_PS5_21rocsparse_index_base_b.num_vgpr, 100
	.set _ZN9rocsparseL19gebsrmvn_4xn_kernelILj128ELj8ELj4E21rocsparse_complex_numIfEEEvi20rocsparse_direction_NS_24const_host_device_scalarIT2_EEPKiS8_PKS5_SA_S6_PS5_21rocsparse_index_base_b.num_agpr, 0
	.set _ZN9rocsparseL19gebsrmvn_4xn_kernelILj128ELj8ELj4E21rocsparse_complex_numIfEEEvi20rocsparse_direction_NS_24const_host_device_scalarIT2_EEPKiS8_PKS5_SA_S6_PS5_21rocsparse_index_base_b.numbered_sgpr, 14
	.set _ZN9rocsparseL19gebsrmvn_4xn_kernelILj128ELj8ELj4E21rocsparse_complex_numIfEEEvi20rocsparse_direction_NS_24const_host_device_scalarIT2_EEPKiS8_PKS5_SA_S6_PS5_21rocsparse_index_base_b.num_named_barrier, 0
	.set _ZN9rocsparseL19gebsrmvn_4xn_kernelILj128ELj8ELj4E21rocsparse_complex_numIfEEEvi20rocsparse_direction_NS_24const_host_device_scalarIT2_EEPKiS8_PKS5_SA_S6_PS5_21rocsparse_index_base_b.private_seg_size, 0
	.set _ZN9rocsparseL19gebsrmvn_4xn_kernelILj128ELj8ELj4E21rocsparse_complex_numIfEEEvi20rocsparse_direction_NS_24const_host_device_scalarIT2_EEPKiS8_PKS5_SA_S6_PS5_21rocsparse_index_base_b.uses_vcc, 1
	.set _ZN9rocsparseL19gebsrmvn_4xn_kernelILj128ELj8ELj4E21rocsparse_complex_numIfEEEvi20rocsparse_direction_NS_24const_host_device_scalarIT2_EEPKiS8_PKS5_SA_S6_PS5_21rocsparse_index_base_b.uses_flat_scratch, 0
	.set _ZN9rocsparseL19gebsrmvn_4xn_kernelILj128ELj8ELj4E21rocsparse_complex_numIfEEEvi20rocsparse_direction_NS_24const_host_device_scalarIT2_EEPKiS8_PKS5_SA_S6_PS5_21rocsparse_index_base_b.has_dyn_sized_stack, 0
	.set _ZN9rocsparseL19gebsrmvn_4xn_kernelILj128ELj8ELj4E21rocsparse_complex_numIfEEEvi20rocsparse_direction_NS_24const_host_device_scalarIT2_EEPKiS8_PKS5_SA_S6_PS5_21rocsparse_index_base_b.has_recursion, 0
	.set _ZN9rocsparseL19gebsrmvn_4xn_kernelILj128ELj8ELj4E21rocsparse_complex_numIfEEEvi20rocsparse_direction_NS_24const_host_device_scalarIT2_EEPKiS8_PKS5_SA_S6_PS5_21rocsparse_index_base_b.has_indirect_call, 0
	.section	.AMDGPU.csdata,"",@progbits
; Kernel info:
; codeLenInByte = 3632
; TotalNumSgprs: 16
; NumVgprs: 100
; ScratchSize: 0
; MemoryBound: 0
; FloatMode: 240
; IeeeMode: 1
; LDSByteSize: 0 bytes/workgroup (compile time only)
; SGPRBlocks: 0
; VGPRBlocks: 12
; NumSGPRsForWavesPerEU: 16
; NumVGPRsForWavesPerEU: 100
; Occupancy: 12
; WaveLimiterHint : 1
; COMPUTE_PGM_RSRC2:SCRATCH_EN: 0
; COMPUTE_PGM_RSRC2:USER_SGPR: 2
; COMPUTE_PGM_RSRC2:TRAP_HANDLER: 0
; COMPUTE_PGM_RSRC2:TGID_X_EN: 1
; COMPUTE_PGM_RSRC2:TGID_Y_EN: 0
; COMPUTE_PGM_RSRC2:TGID_Z_EN: 0
; COMPUTE_PGM_RSRC2:TIDIG_COMP_CNT: 0
	.section	.text._ZN9rocsparseL19gebsrmvn_4xn_kernelILj128ELj8ELj8E21rocsparse_complex_numIfEEEvi20rocsparse_direction_NS_24const_host_device_scalarIT2_EEPKiS8_PKS5_SA_S6_PS5_21rocsparse_index_base_b,"axG",@progbits,_ZN9rocsparseL19gebsrmvn_4xn_kernelILj128ELj8ELj8E21rocsparse_complex_numIfEEEvi20rocsparse_direction_NS_24const_host_device_scalarIT2_EEPKiS8_PKS5_SA_S6_PS5_21rocsparse_index_base_b,comdat
	.globl	_ZN9rocsparseL19gebsrmvn_4xn_kernelILj128ELj8ELj8E21rocsparse_complex_numIfEEEvi20rocsparse_direction_NS_24const_host_device_scalarIT2_EEPKiS8_PKS5_SA_S6_PS5_21rocsparse_index_base_b ; -- Begin function _ZN9rocsparseL19gebsrmvn_4xn_kernelILj128ELj8ELj8E21rocsparse_complex_numIfEEEvi20rocsparse_direction_NS_24const_host_device_scalarIT2_EEPKiS8_PKS5_SA_S6_PS5_21rocsparse_index_base_b
	.p2align	8
	.type	_ZN9rocsparseL19gebsrmvn_4xn_kernelILj128ELj8ELj8E21rocsparse_complex_numIfEEEvi20rocsparse_direction_NS_24const_host_device_scalarIT2_EEPKiS8_PKS5_SA_S6_PS5_21rocsparse_index_base_b,@function
_ZN9rocsparseL19gebsrmvn_4xn_kernelILj128ELj8ELj8E21rocsparse_complex_numIfEEEvi20rocsparse_direction_NS_24const_host_device_scalarIT2_EEPKiS8_PKS5_SA_S6_PS5_21rocsparse_index_base_b: ; @_ZN9rocsparseL19gebsrmvn_4xn_kernelILj128ELj8ELj8E21rocsparse_complex_numIfEEEvi20rocsparse_direction_NS_24const_host_device_scalarIT2_EEPKiS8_PKS5_SA_S6_PS5_21rocsparse_index_base_b
; %bb.0:
	s_clause 0x2
	s_load_b64 s[12:13], s[0:1], 0x40
	s_load_b64 s[2:3], s[0:1], 0x8
	;; [unrolled: 1-line block ×3, first 2 shown]
	s_add_nc_u64 s[6:7], s[0:1], 8
	s_wait_kmcnt 0x0
	s_bitcmp1_b32 s13, 0
	s_cselect_b32 s2, s6, s2
	s_cselect_b32 s3, s7, s3
	s_delay_alu instid0(SALU_CYCLE_1)
	v_dual_mov_b32 v1, s2 :: v_dual_mov_b32 v2, s3
	s_add_nc_u64 s[2:3], s[0:1], 48
	s_wait_alu 0xfffe
	s_cselect_b32 s2, s2, s4
	s_cselect_b32 s3, s3, s5
	flat_load_b64 v[1:2], v[1:2]
	s_wait_alu 0xfffe
	v_dual_mov_b32 v3, s2 :: v_dual_mov_b32 v4, s3
	flat_load_b64 v[3:4], v[3:4]
	s_wait_loadcnt_dscnt 0x101
	v_cmp_eq_f32_e32 vcc_lo, 0, v1
	v_cmp_eq_f32_e64 s2, 0, v2
	s_and_b32 s4, vcc_lo, s2
	s_mov_b32 s2, -1
	s_and_saveexec_b32 s3, s4
	s_cbranch_execz .LBB105_2
; %bb.1:
	s_wait_loadcnt_dscnt 0x0
	v_cmp_neq_f32_e32 vcc_lo, 1.0, v3
	v_cmp_neq_f32_e64 s2, 0, v4
	s_wait_alu 0xfffe
	s_or_b32 s2, vcc_lo, s2
	s_wait_alu 0xfffe
	s_or_not1_b32 s2, s2, exec_lo
.LBB105_2:
	s_wait_alu 0xfffe
	s_or_b32 exec_lo, exec_lo, s3
	s_and_saveexec_b32 s3, s2
	s_cbranch_execz .LBB105_21
; %bb.3:
	s_load_b64 s[2:3], s[0:1], 0x0
	v_lshrrev_b32_e32 v5, 3, v0
	s_delay_alu instid0(VALU_DEP_1) | instskip(SKIP_1) | instid1(VALU_DEP_1)
	v_lshl_or_b32 v5, ttmp9, 4, v5
	s_wait_kmcnt 0x0
	v_cmp_gt_i32_e32 vcc_lo, s2, v5
	s_and_b32 exec_lo, exec_lo, vcc_lo
	s_cbranch_execz .LBB105_21
; %bb.4:
	s_load_b256 s[4:11], s[0:1], 0x10
	v_ashrrev_i32_e32 v6, 31, v5
	v_and_b32_e32 v0, 7, v0
	s_cmp_lg_u32 s3, 0
	s_delay_alu instid0(VALU_DEP_2) | instskip(SKIP_1) | instid1(VALU_DEP_1)
	v_lshlrev_b64_e32 v[6:7], 2, v[5:6]
	s_wait_kmcnt 0x0
	v_add_co_u32 v6, vcc_lo, s4, v6
	s_delay_alu instid0(VALU_DEP_1) | instskip(SKIP_4) | instid1(VALU_DEP_2)
	v_add_co_ci_u32_e64 v7, null, s5, v7, vcc_lo
	global_load_b64 v[6:7], v[6:7], off
	s_wait_loadcnt 0x0
	v_subrev_nc_u32_e32 v6, s12, v6
	v_subrev_nc_u32_e32 v15, s12, v7
	v_add_nc_u32_e32 v6, v6, v0
	s_delay_alu instid0(VALU_DEP_1)
	v_cmp_lt_i32_e64 s2, v6, v15
	s_cbranch_scc0 .LBB105_10
; %bb.5:
	v_dual_mov_b32 v11, 0 :: v_dual_mov_b32 v18, 0
	v_dual_mov_b32 v16, 0 :: v_dual_mov_b32 v17, 0
	;; [unrolled: 1-line block ×4, first 2 shown]
	s_and_saveexec_b32 s3, s2
	s_cbranch_execz .LBB105_9
; %bb.6:
	v_dual_mov_b32 v8, 0 :: v_dual_lshlrev_b32 v7, 5, v6
	v_mov_b32_e32 v9, v6
	s_mov_b32 s4, 0
	s_delay_alu instid0(VALU_DEP_2)
	v_dual_mov_b32 v11, v8 :: v_dual_mov_b32 v16, v8
	v_mov_b32_e32 v18, v8
	v_dual_mov_b32 v12, v8 :: v_dual_mov_b32 v17, v8
	v_dual_mov_b32 v13, v8 :: v_dual_mov_b32 v14, v8
	v_mov_b32_e32 v19, v8
.LBB105_7:                              ; =>This Inner Loop Header: Depth=1
	v_ashrrev_i32_e32 v10, 31, v9
	s_delay_alu instid0(VALU_DEP_1) | instskip(NEXT) | instid1(VALU_DEP_1)
	v_lshlrev_b64_e32 v[20:21], 2, v[9:10]
	v_add_co_u32 v20, vcc_lo, s6, v20
	s_wait_alu 0xfffd
	s_delay_alu instid0(VALU_DEP_2) | instskip(SKIP_2) | instid1(VALU_DEP_1)
	v_add_co_ci_u32_e64 v21, null, s7, v21, vcc_lo
	global_load_b32 v10, v[20:21], off
	v_lshlrev_b64_e32 v[20:21], 3, v[7:8]
	v_add_co_u32 v96, vcc_lo, s8, v20
	s_wait_alu 0xfffd
	s_delay_alu instid0(VALU_DEP_2)
	v_add_co_ci_u32_e64 v97, null, s9, v21, vcc_lo
	s_clause 0xa
	global_load_b128 v[20:23], v[96:97], off offset:48
	global_load_b128 v[24:27], v[96:97], off offset:32
	;; [unrolled: 1-line block ×3, first 2 shown]
	global_load_b128 v[32:35], v[96:97], off
	global_load_b128 v[36:39], v[96:97], off offset:80
	global_load_b128 v[40:43], v[96:97], off offset:64
	;; [unrolled: 1-line block ×7, first 2 shown]
	s_wait_loadcnt 0xb
	v_subrev_nc_u32_e32 v10, s12, v10
	s_delay_alu instid0(VALU_DEP_1) | instskip(NEXT) | instid1(VALU_DEP_1)
	v_dual_mov_b32 v65, v8 :: v_dual_lshlrev_b32 v64, 3, v10
	v_lshlrev_b64_e32 v[64:65], 3, v[64:65]
	s_delay_alu instid0(VALU_DEP_1) | instskip(SKIP_1) | instid1(VALU_DEP_2)
	v_add_co_u32 v88, vcc_lo, s10, v64
	s_wait_alu 0xfffd
	v_add_co_ci_u32_e64 v89, null, s11, v65, vcc_lo
	s_clause 0x2
	global_load_b128 v[64:67], v[88:89], off
	global_load_b128 v[68:71], v[88:89], off offset:16
	global_load_b128 v[72:75], v[88:89], off offset:32
	s_clause 0x2
	global_load_b128 v[76:79], v[96:97], off offset:176
	global_load_b128 v[80:83], v[96:97], off offset:192
	;; [unrolled: 1-line block ×4, first 2 shown]
	s_clause 0x1
	global_load_b128 v[92:95], v[96:97], off offset:224
	global_load_b128 v[96:99], v[96:97], off offset:240
	v_add_nc_u32_e32 v7, 0x100, v7
	s_wait_loadcnt 0x8
	v_dual_fmac_f32 v14, v35, v64 :: v_dual_add_nc_u32 v9, 8, v9
	v_fmac_f32_e32 v18, v32, v64
	v_fmac_f32_e32 v11, v33, v64
	s_delay_alu instid0(VALU_DEP_3) | instskip(NEXT) | instid1(VALU_DEP_4)
	v_cmp_ge_i32_e32 vcc_lo, v9, v15
	v_fmac_f32_e32 v14, v34, v65
	s_delay_alu instid0(VALU_DEP_4) | instskip(SKIP_2) | instid1(VALU_DEP_4)
	v_fma_f32 v10, -v33, v65, v18
	v_fmac_f32_e32 v19, v34, v64
	v_dual_fmac_f32 v16, v30, v64 :: v_dual_fmac_f32 v11, v32, v65
	v_fmac_f32_e32 v14, v27, v66
	s_delay_alu instid0(VALU_DEP_4) | instskip(NEXT) | instid1(VALU_DEP_4)
	v_fmac_f32_e32 v10, v24, v66
	v_fma_f32 v18, -v35, v65, v19
	v_fmac_f32_e32 v13, v29, v64
	s_delay_alu instid0(VALU_DEP_4) | instskip(SKIP_1) | instid1(VALU_DEP_4)
	v_dual_fmac_f32 v11, v25, v66 :: v_dual_fmac_f32 v14, v26, v67
	v_fma_f32 v16, -v31, v65, v16
	v_fmac_f32_e32 v18, v26, v66
	s_delay_alu instid0(VALU_DEP_4) | instskip(SKIP_2) | instid1(VALU_DEP_3)
	v_dual_fmac_f32 v12, v31, v64 :: v_dual_fmac_f32 v13, v28, v65
	v_fmac_f32_e32 v17, v28, v64
	v_fma_f32 v10, -v25, v67, v10
	v_dual_fmac_f32 v11, v24, v67 :: v_dual_fmac_f32 v12, v30, v65
	s_delay_alu instid0(VALU_DEP_4) | instskip(NEXT) | instid1(VALU_DEP_4)
	v_fmac_f32_e32 v13, v21, v66
	v_fma_f32 v17, -v29, v65, v17
	v_fma_f32 v18, -v27, v67, v18
	s_wait_loadcnt 0x7
	v_fmac_f32_e32 v10, v40, v68
	v_dual_fmac_f32 v12, v23, v66 :: v_dual_fmac_f32 v11, v41, v68
	v_fmac_f32_e32 v17, v20, v66
	v_dual_fmac_f32 v16, v22, v66 :: v_dual_fmac_f32 v13, v20, v67
	s_delay_alu instid0(VALU_DEP_3) | instskip(NEXT) | instid1(VALU_DEP_4)
	v_fmac_f32_e32 v12, v22, v67
	v_dual_fmac_f32 v18, v42, v68 :: v_dual_fmac_f32 v11, v40, v69
	s_delay_alu instid0(VALU_DEP_4) | instskip(NEXT) | instid1(VALU_DEP_4)
	v_fma_f32 v17, -v21, v67, v17
	v_fma_f32 v16, -v23, v67, v16
	s_delay_alu instid0(VALU_DEP_4) | instskip(SKIP_2) | instid1(VALU_DEP_4)
	v_fmac_f32_e32 v12, v39, v68
	v_fmac_f32_e32 v13, v37, v68
	v_fma_f32 v18, -v43, v69, v18
	v_dual_fmac_f32 v11, v45, v70 :: v_dual_fmac_f32 v16, v38, v68
	s_delay_alu instid0(VALU_DEP_4) | instskip(NEXT) | instid1(VALU_DEP_4)
	v_fmac_f32_e32 v12, v38, v69
	v_dual_fmac_f32 v14, v43, v68 :: v_dual_fmac_f32 v13, v36, v69
	v_fmac_f32_e32 v17, v36, v68
	v_fma_f32 v10, -v41, v69, v10
	v_dual_fmac_f32 v18, v46, v70 :: v_dual_fmac_f32 v11, v44, v71
	s_delay_alu instid0(VALU_DEP_4) | instskip(NEXT) | instid1(VALU_DEP_4)
	v_fmac_f32_e32 v14, v42, v69
	v_fma_f32 v17, -v37, v69, v17
	v_fmac_f32_e32 v13, v49, v70
	s_wait_loadcnt 0x6
	v_dual_fmac_f32 v10, v44, v70 :: v_dual_fmac_f32 v11, v61, v72
	v_fmac_f32_e32 v14, v47, v70
	v_fmac_f32_e32 v17, v48, v70
	v_dual_fmac_f32 v13, v48, v71 :: v_dual_fmac_f32 v12, v51, v70
	v_fma_f32 v16, -v39, v69, v16
	v_fma_f32 v10, -v45, v71, v10
	s_delay_alu instid0(VALU_DEP_4) | instskip(NEXT) | instid1(VALU_DEP_4)
	v_fma_f32 v17, -v49, v71, v17
	v_dual_fmac_f32 v13, v57, v72 :: v_dual_fmac_f32 v12, v50, v71
	s_delay_alu instid0(VALU_DEP_4) | instskip(NEXT) | instid1(VALU_DEP_3)
	v_dual_fmac_f32 v11, v60, v73 :: v_dual_fmac_f32 v16, v50, v70
	v_fmac_f32_e32 v17, v56, v72
	v_fma_f32 v18, -v47, v71, v18
	v_fmac_f32_e32 v14, v46, v71
	s_delay_alu instid0(VALU_DEP_4) | instskip(SKIP_1) | instid1(VALU_DEP_4)
	v_dual_fmac_f32 v10, v60, v72 :: v_dual_fmac_f32 v11, v53, v74
	v_fma_f32 v16, -v51, v71, v16
	v_dual_fmac_f32 v18, v62, v72 :: v_dual_fmac_f32 v13, v56, v73
	s_delay_alu instid0(VALU_DEP_3)
	v_dual_fmac_f32 v12, v59, v72 :: v_dual_fmac_f32 v11, v52, v75
	v_fma_f32 v17, -v57, v73, v17
	v_fmac_f32_e32 v14, v63, v72
	s_wait_loadcnt 0x5
	v_dual_fmac_f32 v16, v58, v72 :: v_dual_fmac_f32 v13, v77, v74
	v_fma_f32 v18, -v63, v73, v18
	s_wait_loadcnt 0x2
	v_dual_fmac_f32 v12, v58, v73 :: v_dual_fmac_f32 v11, v81, v88
	v_dual_fmac_f32 v17, v76, v74 :: v_dual_fmac_f32 v14, v62, v73
	v_fmac_f32_e32 v13, v76, v75
	v_fma_f32 v10, -v61, v73, v10
	v_fma_f32 v16, -v59, v73, v16
	s_delay_alu instid0(VALU_DEP_4)
	v_fma_f32 v17, -v77, v75, v17
	v_fmac_f32_e32 v18, v54, v74
	v_dual_fmac_f32 v14, v55, v74 :: v_dual_fmac_f32 v11, v80, v89
	v_dual_fmac_f32 v10, v52, v74 :: v_dual_fmac_f32 v13, v85, v88
	v_fmac_f32_e32 v16, v78, v74
	s_wait_loadcnt 0x1
	s_delay_alu instid0(VALU_DEP_3)
	v_dual_fmac_f32 v14, v54, v75 :: v_dual_fmac_f32 v11, v93, v90
	v_dual_fmac_f32 v12, v79, v74 :: v_dual_fmac_f32 v17, v84, v88
	v_fma_f32 v18, -v55, v75, v18
	v_fma_f32 v10, -v53, v75, v10
	v_fmac_f32_e32 v13, v84, v89
	v_fma_f32 v16, -v79, v75, v16
	v_fma_f32 v17, -v85, v89, v17
	v_dual_fmac_f32 v18, v82, v88 :: v_dual_fmac_f32 v11, v92, v91
	v_fmac_f32_e32 v12, v78, v75
	s_wait_loadcnt 0x0
	s_delay_alu instid0(VALU_DEP_3) | instskip(SKIP_1) | instid1(VALU_DEP_3)
	v_dual_fmac_f32 v16, v86, v88 :: v_dual_fmac_f32 v17, v96, v90
	v_dual_fmac_f32 v13, v97, v90 :: v_dual_fmac_f32 v14, v83, v88
	v_fmac_f32_e32 v12, v87, v88
	v_fma_f32 v19, -v83, v89, v18
	v_fmac_f32_e32 v10, v80, v88
	v_fma_f32 v16, -v87, v89, v16
	v_dual_fmac_f32 v13, v96, v91 :: v_dual_fmac_f32 v14, v82, v89
	v_fmac_f32_e32 v12, v86, v89
	v_fmac_f32_e32 v19, v94, v90
	v_fma_f32 v10, -v81, v89, v10
	v_fmac_f32_e32 v16, v98, v90
	v_fmac_f32_e32 v14, v95, v90
	;; [unrolled: 1-line block ×3, first 2 shown]
	v_fma_f32 v19, -v95, v91, v19
	v_fmac_f32_e32 v10, v92, v90
	v_fma_f32 v17, -v97, v91, v17
	v_fmac_f32_e32 v14, v94, v91
	;; [unrolled: 2-line block ×3, first 2 shown]
	v_fma_f32 v18, -v93, v91, v10
	s_wait_alu 0xfffe
	s_or_b32 s4, vcc_lo, s4
	s_wait_alu 0xfffe
	s_and_not1_b32 exec_lo, exec_lo, s4
	s_cbranch_execnz .LBB105_7
; %bb.8:
	s_or_b32 exec_lo, exec_lo, s4
.LBB105_9:
	s_wait_alu 0xfffe
	s_or_b32 exec_lo, exec_lo, s3
	s_cbranch_execz .LBB105_11
	s_branch .LBB105_16
.LBB105_10:
                                        ; implicit-def: $vgpr11
                                        ; implicit-def: $vgpr18
                                        ; implicit-def: $vgpr16
                                        ; implicit-def: $vgpr12
                                        ; implicit-def: $vgpr17
                                        ; implicit-def: $vgpr13
                                        ; implicit-def: $vgpr19
                                        ; implicit-def: $vgpr14
.LBB105_11:
	v_dual_mov_b32 v11, 0 :: v_dual_mov_b32 v18, 0
	v_dual_mov_b32 v16, 0 :: v_dual_mov_b32 v17, 0
	;; [unrolled: 1-line block ×4, first 2 shown]
	s_and_saveexec_b32 s3, s2
	s_cbranch_execz .LBB105_15
; %bb.12:
	v_dual_mov_b32 v9, 0 :: v_dual_lshlrev_b32 v8, 5, v6
	s_mov_b32 s2, 0
	s_delay_alu instid0(VALU_DEP_1)
	v_dual_mov_b32 v11, v9 :: v_dual_mov_b32 v18, v9
	v_dual_mov_b32 v16, v9 :: v_dual_mov_b32 v17, v9
	;; [unrolled: 1-line block ×4, first 2 shown]
.LBB105_13:                             ; =>This Inner Loop Header: Depth=1
	v_ashrrev_i32_e32 v7, 31, v6
	v_lshlrev_b64_e32 v[20:21], 3, v[8:9]
	v_add_nc_u32_e32 v8, 0x100, v8
	s_delay_alu instid0(VALU_DEP_3) | instskip(SKIP_1) | instid1(VALU_DEP_2)
	v_lshlrev_b64_e32 v[22:23], 2, v[6:7]
	v_add_nc_u32_e32 v6, 8, v6
	v_add_co_u32 v22, vcc_lo, s6, v22
	s_wait_alu 0xfffd
	s_delay_alu instid0(VALU_DEP_3)
	v_add_co_ci_u32_e64 v23, null, s7, v23, vcc_lo
	v_add_co_u32 v80, vcc_lo, s8, v20
	s_wait_alu 0xfffd
	v_add_co_ci_u32_e64 v81, null, s9, v21, vcc_lo
	global_load_b32 v7, v[22:23], off
	s_clause 0xf
	global_load_b128 v[20:23], v[80:81], off offset:16
	global_load_b128 v[24:27], v[80:81], off
	global_load_b128 v[28:31], v[80:81], off offset:80
	global_load_b128 v[32:35], v[80:81], off offset:64
	;; [unrolled: 1-line block ×14, first 2 shown]
	s_wait_loadcnt 0x10
	v_subrev_nc_u32_e32 v7, s12, v7
	s_delay_alu instid0(VALU_DEP_1) | instskip(NEXT) | instid1(VALU_DEP_1)
	v_dual_mov_b32 v85, v9 :: v_dual_lshlrev_b32 v84, 3, v7
	v_lshlrev_b64_e32 v[84:85], 3, v[84:85]
	s_delay_alu instid0(VALU_DEP_1) | instskip(SKIP_1) | instid1(VALU_DEP_2)
	v_add_co_u32 v96, vcc_lo, s10, v84
	s_wait_alu 0xfffd
	v_add_co_ci_u32_e64 v97, null, s11, v85, vcc_lo
	s_clause 0x2
	global_load_b128 v[84:87], v[96:97], off
	global_load_b128 v[88:91], v[96:97], off offset:16
	global_load_b128 v[92:95], v[96:97], off offset:32
	v_cmp_ge_i32_e32 vcc_lo, v6, v15
	s_wait_alu 0xfffe
	s_or_b32 s2, vcc_lo, s2
	s_wait_loadcnt 0x2
	v_fmac_f32_e32 v18, v24, v84
	v_fmac_f32_e32 v11, v25, v84
	;; [unrolled: 1-line block ×5, first 2 shown]
	v_fma_f32 v7, -v25, v85, v18
	v_fmac_f32_e32 v11, v24, v85
	v_fmac_f32_e32 v16, v48, v84
	v_fma_f32 v10, -v33, v85, v19
	s_delay_alu instid0(VALU_DEP_4) | instskip(NEXT) | instid1(VALU_DEP_4)
	v_dual_fmac_f32 v14, v32, v85 :: v_dual_fmac_f32 v7, v26, v86
	v_fmac_f32_e32 v11, v27, v86
	v_fmac_f32_e32 v17, v40, v84
	v_dual_fmac_f32 v12, v49, v84 :: v_dual_fmac_f32 v13, v40, v85
	s_delay_alu instid0(VALU_DEP_4) | instskip(NEXT) | instid1(VALU_DEP_4)
	v_fma_f32 v7, -v27, v87, v7
	v_fmac_f32_e32 v11, v26, v87
	global_load_b128 v[24:27], v[96:97], off offset:48
	v_fmac_f32_e32 v10, v34, v86
	v_fma_f32 v16, -v49, v85, v16
	v_fmac_f32_e32 v14, v35, v86
	v_fma_f32 v17, -v41, v85, v17
	v_dual_fmac_f32 v12, v48, v85 :: v_dual_fmac_f32 v13, v43, v86
	s_wait_loadcnt 0x2
	v_dual_fmac_f32 v16, v50, v86 :: v_dual_fmac_f32 v7, v20, v88
	s_delay_alu instid0(VALU_DEP_3) | instskip(SKIP_3) | instid1(VALU_DEP_4)
	v_fmac_f32_e32 v17, v42, v86
	v_fma_f32 v10, -v35, v87, v10
	v_fmac_f32_e32 v14, v34, v87
	v_dual_fmac_f32 v12, v51, v86 :: v_dual_fmac_f32 v13, v42, v87
	v_fma_f32 v17, -v43, v87, v17
	v_fma_f32 v16, -v51, v87, v16
	s_delay_alu instid0(VALU_DEP_3) | instskip(SKIP_3) | instid1(VALU_DEP_4)
	v_dual_fmac_f32 v11, v21, v88 :: v_dual_fmac_f32 v12, v50, v87
	v_fmac_f32_e32 v14, v29, v88
	v_fma_f32 v7, -v21, v89, v7
	v_fmac_f32_e32 v10, v28, v88
	v_fmac_f32_e32 v11, v20, v89
	s_delay_alu instid0(VALU_DEP_4)
	v_dual_fmac_f32 v13, v37, v88 :: v_dual_fmac_f32 v14, v28, v89
	v_fmac_f32_e32 v16, v44, v88
	v_dual_fmac_f32 v12, v45, v88 :: v_dual_fmac_f32 v7, v22, v90
	v_fma_f32 v10, -v29, v89, v10
	v_fmac_f32_e32 v17, v36, v88
	v_fmac_f32_e32 v13, v36, v89
	;; [unrolled: 1-line block ×3, first 2 shown]
	v_fma_f32 v16, -v45, v89, v16
	v_fmac_f32_e32 v10, v30, v90
	v_fma_f32 v17, -v37, v89, v17
	v_fmac_f32_e32 v12, v44, v89
	v_dual_fmac_f32 v14, v31, v90 :: v_dual_fmac_f32 v11, v22, v91
	v_fma_f32 v7, -v23, v91, v7
	s_delay_alu instid0(VALU_DEP_4) | instskip(NEXT) | instid1(VALU_DEP_3)
	v_fmac_f32_e32 v17, v38, v90
	v_dual_fmac_f32 v13, v39, v90 :: v_dual_fmac_f32 v14, v30, v91
	s_wait_loadcnt 0x1
	s_delay_alu instid0(VALU_DEP_3) | instskip(NEXT) | instid1(VALU_DEP_2)
	v_dual_fmac_f32 v16, v46, v90 :: v_dual_fmac_f32 v7, v56, v92
	v_dual_fmac_f32 v12, v47, v90 :: v_dual_fmac_f32 v13, v38, v91
	v_fma_f32 v10, -v31, v91, v10
	v_fma_f32 v17, -v39, v91, v17
	s_delay_alu instid0(VALU_DEP_4) | instskip(NEXT) | instid1(VALU_DEP_4)
	v_fma_f32 v16, -v47, v91, v16
	v_dual_fmac_f32 v12, v46, v91 :: v_dual_fmac_f32 v11, v57, v92
	v_fmac_f32_e32 v14, v65, v92
	v_fma_f32 v7, -v57, v93, v7
	v_fmac_f32_e32 v10, v64, v92
	s_delay_alu instid0(VALU_DEP_4) | instskip(NEXT) | instid1(VALU_DEP_4)
	v_fmac_f32_e32 v11, v56, v93
	v_dual_fmac_f32 v13, v73, v92 :: v_dual_fmac_f32 v14, v64, v93
	v_fmac_f32_e32 v16, v76, v92
	v_dual_fmac_f32 v12, v77, v92 :: v_dual_fmac_f32 v7, v58, v94
	v_fma_f32 v10, -v65, v93, v10
	v_fmac_f32_e32 v17, v72, v92
	v_fmac_f32_e32 v13, v72, v93
	;; [unrolled: 1-line block ×3, first 2 shown]
	v_fma_f32 v16, -v77, v93, v16
	v_fmac_f32_e32 v10, v66, v94
	v_fma_f32 v17, -v73, v93, v17
	v_fmac_f32_e32 v12, v76, v93
	v_dual_fmac_f32 v14, v67, v94 :: v_dual_fmac_f32 v11, v58, v95
	v_fma_f32 v7, -v59, v95, v7
	s_delay_alu instid0(VALU_DEP_4) | instskip(NEXT) | instid1(VALU_DEP_3)
	v_fmac_f32_e32 v17, v74, v94
	v_dual_fmac_f32 v13, v75, v94 :: v_dual_fmac_f32 v14, v66, v95
	v_fmac_f32_e32 v16, v78, v94
	v_fmac_f32_e32 v12, v79, v94
	v_fma_f32 v10, -v67, v95, v10
	v_fma_f32 v17, -v75, v95, v17
	v_fmac_f32_e32 v13, v74, v95
	s_wait_loadcnt 0x0
	v_dual_fmac_f32 v12, v78, v95 :: v_dual_fmac_f32 v11, v53, v24
	v_fmac_f32_e32 v7, v52, v24
	v_fma_f32 v16, -v79, v95, v16
	s_delay_alu instid0(VALU_DEP_3) | instskip(NEXT) | instid1(VALU_DEP_3)
	v_dual_fmac_f32 v14, v61, v24 :: v_dual_fmac_f32 v11, v52, v25
	v_fma_f32 v7, -v53, v25, v7
	v_fmac_f32_e32 v10, v60, v24
	s_delay_alu instid0(VALU_DEP_3) | instskip(NEXT) | instid1(VALU_DEP_4)
	v_dual_fmac_f32 v13, v69, v24 :: v_dual_fmac_f32 v14, v60, v25
	v_dual_fmac_f32 v16, v80, v24 :: v_dual_fmac_f32 v11, v55, v26
	s_delay_alu instid0(VALU_DEP_2)
	v_dual_fmac_f32 v12, v81, v24 :: v_dual_fmac_f32 v13, v68, v25
	v_fmac_f32_e32 v7, v54, v26
	v_fma_f32 v10, -v61, v25, v10
	v_fmac_f32_e32 v17, v68, v24
	v_fma_f32 v16, -v81, v25, v16
	v_dual_fmac_f32 v14, v63, v26 :: v_dual_fmac_f32 v11, v54, v27
	s_delay_alu instid0(VALU_DEP_4) | instskip(NEXT) | instid1(VALU_DEP_4)
	v_fmac_f32_e32 v10, v62, v26
	v_fma_f32 v17, -v69, v25, v17
	v_dual_fmac_f32 v12, v80, v25 :: v_dual_fmac_f32 v13, v71, v26
	s_delay_alu instid0(VALU_DEP_4) | instskip(SKIP_1) | instid1(VALU_DEP_4)
	v_fmac_f32_e32 v14, v62, v27
	v_fmac_f32_e32 v16, v82, v26
	;; [unrolled: 1-line block ×3, first 2 shown]
	s_delay_alu instid0(VALU_DEP_4) | instskip(SKIP_2) | instid1(VALU_DEP_4)
	v_dual_fmac_f32 v12, v83, v26 :: v_dual_fmac_f32 v13, v70, v27
	v_fma_f32 v18, -v55, v27, v7
	v_fma_f32 v19, -v63, v27, v10
	;; [unrolled: 1-line block ×4, first 2 shown]
	v_fmac_f32_e32 v12, v82, v27
	s_wait_alu 0xfffe
	s_and_not1_b32 exec_lo, exec_lo, s2
	s_cbranch_execnz .LBB105_13
; %bb.14:
	s_or_b32 exec_lo, exec_lo, s2
.LBB105_15:
	s_wait_alu 0xfffe
	s_or_b32 exec_lo, exec_lo, s3
.LBB105_16:
	v_mbcnt_lo_u32_b32 v6, -1, 0
	s_delay_alu instid0(VALU_DEP_1) | instskip(SKIP_1) | instid1(VALU_DEP_2)
	v_xor_b32_e32 v7, 4, v6
	v_xor_b32_e32 v23, 2, v6
	v_cmp_gt_i32_e32 vcc_lo, 32, v7
	s_wait_alu 0xfffd
	v_cndmask_b32_e32 v7, v6, v7, vcc_lo
	s_delay_alu instid0(VALU_DEP_3) | instskip(NEXT) | instid1(VALU_DEP_2)
	v_cmp_gt_i32_e32 vcc_lo, 32, v23
	v_lshlrev_b32_e32 v7, 2, v7
	ds_bpermute_b32 v8, v7, v18
	s_wait_dscnt 0x0
	v_add_f32_e32 v8, v18, v8
	ds_bpermute_b32 v9, v7, v11
	ds_bpermute_b32 v15, v7, v14
	;; [unrolled: 1-line block ×7, first 2 shown]
	s_wait_dscnt 0x5
	v_dual_add_f32 v9, v11, v9 :: v_dual_add_f32 v14, v14, v15
	s_wait_alu 0xfffd
	v_cndmask_b32_e32 v23, v6, v23, vcc_lo
	s_wait_dscnt 0x4
	v_add_f32_e32 v11, v19, v10
	s_wait_dscnt 0x1
	v_dual_add_f32 v15, v17, v20 :: v_dual_add_f32 v16, v16, v22
	s_wait_dscnt 0x0
	v_add_f32_e32 v12, v12, v7
	v_lshlrev_b32_e32 v23, 2, v23
	ds_bpermute_b32 v7, v23, v8
	v_add_f32_e32 v17, v13, v21
	ds_bpermute_b32 v10, v23, v9
	ds_bpermute_b32 v13, v23, v11
	;; [unrolled: 1-line block ×7, first 2 shown]
	v_xor_b32_e32 v23, 1, v6
	s_delay_alu instid0(VALU_DEP_1)
	v_cmp_gt_i32_e32 vcc_lo, 32, v23
	s_wait_alu 0xfffd
	v_cndmask_b32_e32 v6, v6, v23, vcc_lo
	v_cmp_eq_u32_e32 vcc_lo, 7, v0
	s_wait_dscnt 0x5
	v_dual_add_f32 v10, v9, v10 :: v_dual_add_f32 v11, v11, v13
	s_delay_alu instid0(VALU_DEP_3)
	v_dual_add_f32 v6, v8, v7 :: v_dual_lshlrev_b32 v23, 2, v6
	s_wait_dscnt 0x3
	v_dual_add_f32 v13, v14, v18 :: v_dual_add_f32 v14, v15, v19
	s_wait_dscnt 0x2
	v_add_f32_e32 v15, v17, v20
	s_wait_dscnt 0x1
	v_add_f32_e32 v7, v16, v21
	;; [unrolled: 2-line block ×3, first 2 shown]
	ds_bpermute_b32 v8, v23, v6
	ds_bpermute_b32 v12, v23, v10
	;; [unrolled: 1-line block ×8, first 2 shown]
	s_and_b32 exec_lo, exec_lo, vcc_lo
	s_cbranch_execz .LBB105_21
; %bb.17:
	s_load_b64 s[2:3], s[0:1], 0x38
	v_cmp_eq_f32_e32 vcc_lo, 0, v3
	v_cmp_eq_f32_e64 s0, 0, v4
	s_wait_dscnt 0x7
	v_add_f32_e32 v8, v6, v8
	s_wait_dscnt 0x0
	v_dual_add_f32 v12, v10, v12 :: v_dual_add_f32 v9, v9, v17
	v_dual_add_f32 v0, v11, v18 :: v_dual_add_f32 v11, v13, v19
	v_add_f32_e32 v6, v14, v20
	v_add_f32_e32 v10, v15, v21
	;; [unrolled: 1-line block ×3, first 2 shown]
	s_and_b32 s0, vcc_lo, s0
	s_wait_alu 0xfffe
	s_and_saveexec_b32 s1, s0
	s_wait_alu 0xfffe
	s_xor_b32 s0, exec_lo, s1
	s_cbranch_execz .LBB105_19
; %bb.18:
	v_dual_mul_f32 v14, v1, v12 :: v_dual_lshlrev_b32 v3, 2, v5
	v_mul_f32_e64 v13, v12, -v2
	v_mul_f32_e64 v15, v11, -v2
	v_mul_f32_e32 v16, v1, v11
	s_delay_alu instid0(VALU_DEP_4)
	v_ashrrev_i32_e32 v4, 31, v3
	v_mul_f32_e64 v17, v10, -v2
	v_mul_f32_e32 v18, v1, v10
	v_mul_f32_e64 v19, v9, -v2
	v_mul_f32_e32 v20, v1, v9
	v_lshlrev_b64_e32 v[3:4], 3, v[3:4]
	s_delay_alu instid0(VALU_DEP_4) | instskip(SKIP_1) | instid1(VALU_DEP_4)
	v_dual_fmac_f32 v13, v1, v8 :: v_dual_fmac_f32 v18, v2, v6
	v_dual_fmac_f32 v14, v2, v8 :: v_dual_fmac_f32 v17, v1, v6
	v_dual_fmac_f32 v15, v1, v0 :: v_dual_fmac_f32 v20, v2, v7
	s_wait_kmcnt 0x0
	s_delay_alu instid0(VALU_DEP_4)
	v_add_co_u32 v3, vcc_lo, s2, v3
	s_wait_alu 0xfffd
	v_add_co_ci_u32_e64 v4, null, s3, v4, vcc_lo
	v_dual_fmac_f32 v16, v2, v0 :: v_dual_fmac_f32 v19, v1, v7
	s_clause 0x1
	global_store_b128 v[3:4], v[13:16], off
	global_store_b128 v[3:4], v[17:20], off offset:16
                                        ; implicit-def: $vgpr5
                                        ; implicit-def: $vgpr8
                                        ; implicit-def: $vgpr12
                                        ; implicit-def: $vgpr0
                                        ; implicit-def: $vgpr11
                                        ; implicit-def: $vgpr6
                                        ; implicit-def: $vgpr10
                                        ; implicit-def: $vgpr7
                                        ; implicit-def: $vgpr9
                                        ; implicit-def: $vgpr1_vgpr2
                                        ; implicit-def: $vgpr3_vgpr4
.LBB105_19:
	s_wait_alu 0xfffe
	s_and_not1_saveexec_b32 s0, s0
	s_cbranch_execz .LBB105_21
; %bb.20:
	v_dual_mul_f32 v22, v1, v12 :: v_dual_lshlrev_b32 v13, 2, v5
	v_mul_f32_e64 v5, v12, -v2
	v_mul_f32_e64 v23, v11, -v2
	;; [unrolled: 1-line block ×3, first 2 shown]
	s_delay_alu instid0(VALU_DEP_4) | instskip(NEXT) | instid1(VALU_DEP_4)
	v_ashrrev_i32_e32 v14, 31, v13
	v_fmac_f32_e32 v5, v1, v8
	s_delay_alu instid0(VALU_DEP_2) | instskip(SKIP_1) | instid1(VALU_DEP_1)
	v_lshlrev_b64_e32 v[13:14], 3, v[13:14]
	s_wait_kmcnt 0x0
	v_add_co_u32 v25, vcc_lo, s2, v13
	s_wait_alu 0xfffd
	s_delay_alu instid0(VALU_DEP_2)
	v_add_co_ci_u32_e64 v26, null, s3, v14, vcc_lo
	s_clause 0x1
	global_load_b128 v[13:16], v[25:26], off
	global_load_b128 v[17:20], v[25:26], off offset:16
	v_mul_f32_e32 v24, v1, v11
	v_mul_f32_e64 v11, v10, -v2
	s_delay_alu instid0(VALU_DEP_1) | instskip(SKIP_1) | instid1(VALU_DEP_1)
	v_dual_fmac_f32 v22, v2, v8 :: v_dual_fmac_f32 v11, v1, v6
	s_wait_loadcnt 0x1
	v_dual_fmac_f32 v27, v1, v7 :: v_dual_fmac_f32 v22, v4, v13
	s_wait_loadcnt 0x0
	s_delay_alu instid0(VALU_DEP_1) | instskip(SKIP_3) | instid1(VALU_DEP_4)
	v_dual_mul_f32 v12, v1, v9 :: v_dual_fmac_f32 v27, v3, v19
	v_fmac_f32_e32 v23, v1, v0
	v_fmac_f32_e32 v11, v3, v17
	;; [unrolled: 1-line block ×4, first 2 shown]
	s_delay_alu instid0(VALU_DEP_4) | instskip(NEXT) | instid1(VALU_DEP_4)
	v_dual_mul_f32 v10, v1, v10 :: v_dual_fmac_f32 v23, v3, v15
	v_fma_f32 v9, -v4, v18, v11
	v_fma_f32 v11, -v4, v20, v27
	s_delay_alu instid0(VALU_DEP_4) | instskip(NEXT) | instid1(VALU_DEP_4)
	v_fmac_f32_e32 v12, v4, v19
	v_dual_fmac_f32 v10, v2, v6 :: v_dual_fmac_f32 v5, v3, v13
	v_fmac_f32_e32 v24, v2, v0
	v_fma_f32 v23, -v4, v16, v23
	s_delay_alu instid0(VALU_DEP_4) | instskip(NEXT) | instid1(VALU_DEP_4)
	v_fmac_f32_e32 v12, v3, v20
	v_fmac_f32_e32 v10, v4, v17
	v_fma_f32 v21, -v4, v14, v5
	v_fmac_f32_e32 v24, v4, v15
	s_delay_alu instid0(VALU_DEP_3) | instskip(NEXT) | instid1(VALU_DEP_2)
	v_fmac_f32_e32 v10, v3, v18
	v_fmac_f32_e32 v24, v3, v16
	s_clause 0x1
	global_store_b128 v[25:26], v[21:24], off
	global_store_b128 v[25:26], v[9:12], off offset:16
.LBB105_21:
	s_nop 0
	s_sendmsg sendmsg(MSG_DEALLOC_VGPRS)
	s_endpgm
	.section	.rodata,"a",@progbits
	.p2align	6, 0x0
	.amdhsa_kernel _ZN9rocsparseL19gebsrmvn_4xn_kernelILj128ELj8ELj8E21rocsparse_complex_numIfEEEvi20rocsparse_direction_NS_24const_host_device_scalarIT2_EEPKiS8_PKS5_SA_S6_PS5_21rocsparse_index_base_b
		.amdhsa_group_segment_fixed_size 0
		.amdhsa_private_segment_fixed_size 0
		.amdhsa_kernarg_size 72
		.amdhsa_user_sgpr_count 2
		.amdhsa_user_sgpr_dispatch_ptr 0
		.amdhsa_user_sgpr_queue_ptr 0
		.amdhsa_user_sgpr_kernarg_segment_ptr 1
		.amdhsa_user_sgpr_dispatch_id 0
		.amdhsa_user_sgpr_private_segment_size 0
		.amdhsa_wavefront_size32 1
		.amdhsa_uses_dynamic_stack 0
		.amdhsa_enable_private_segment 0
		.amdhsa_system_sgpr_workgroup_id_x 1
		.amdhsa_system_sgpr_workgroup_id_y 0
		.amdhsa_system_sgpr_workgroup_id_z 0
		.amdhsa_system_sgpr_workgroup_info 0
		.amdhsa_system_vgpr_workitem_id 0
		.amdhsa_next_free_vgpr 100
		.amdhsa_next_free_sgpr 14
		.amdhsa_reserve_vcc 1
		.amdhsa_float_round_mode_32 0
		.amdhsa_float_round_mode_16_64 0
		.amdhsa_float_denorm_mode_32 3
		.amdhsa_float_denorm_mode_16_64 3
		.amdhsa_fp16_overflow 0
		.amdhsa_workgroup_processor_mode 1
		.amdhsa_memory_ordered 1
		.amdhsa_forward_progress 1
		.amdhsa_inst_pref_size 30
		.amdhsa_round_robin_scheduling 0
		.amdhsa_exception_fp_ieee_invalid_op 0
		.amdhsa_exception_fp_denorm_src 0
		.amdhsa_exception_fp_ieee_div_zero 0
		.amdhsa_exception_fp_ieee_overflow 0
		.amdhsa_exception_fp_ieee_underflow 0
		.amdhsa_exception_fp_ieee_inexact 0
		.amdhsa_exception_int_div_zero 0
	.end_amdhsa_kernel
	.section	.text._ZN9rocsparseL19gebsrmvn_4xn_kernelILj128ELj8ELj8E21rocsparse_complex_numIfEEEvi20rocsparse_direction_NS_24const_host_device_scalarIT2_EEPKiS8_PKS5_SA_S6_PS5_21rocsparse_index_base_b,"axG",@progbits,_ZN9rocsparseL19gebsrmvn_4xn_kernelILj128ELj8ELj8E21rocsparse_complex_numIfEEEvi20rocsparse_direction_NS_24const_host_device_scalarIT2_EEPKiS8_PKS5_SA_S6_PS5_21rocsparse_index_base_b,comdat
.Lfunc_end105:
	.size	_ZN9rocsparseL19gebsrmvn_4xn_kernelILj128ELj8ELj8E21rocsparse_complex_numIfEEEvi20rocsparse_direction_NS_24const_host_device_scalarIT2_EEPKiS8_PKS5_SA_S6_PS5_21rocsparse_index_base_b, .Lfunc_end105-_ZN9rocsparseL19gebsrmvn_4xn_kernelILj128ELj8ELj8E21rocsparse_complex_numIfEEEvi20rocsparse_direction_NS_24const_host_device_scalarIT2_EEPKiS8_PKS5_SA_S6_PS5_21rocsparse_index_base_b
                                        ; -- End function
	.set _ZN9rocsparseL19gebsrmvn_4xn_kernelILj128ELj8ELj8E21rocsparse_complex_numIfEEEvi20rocsparse_direction_NS_24const_host_device_scalarIT2_EEPKiS8_PKS5_SA_S6_PS5_21rocsparse_index_base_b.num_vgpr, 100
	.set _ZN9rocsparseL19gebsrmvn_4xn_kernelILj128ELj8ELj8E21rocsparse_complex_numIfEEEvi20rocsparse_direction_NS_24const_host_device_scalarIT2_EEPKiS8_PKS5_SA_S6_PS5_21rocsparse_index_base_b.num_agpr, 0
	.set _ZN9rocsparseL19gebsrmvn_4xn_kernelILj128ELj8ELj8E21rocsparse_complex_numIfEEEvi20rocsparse_direction_NS_24const_host_device_scalarIT2_EEPKiS8_PKS5_SA_S6_PS5_21rocsparse_index_base_b.numbered_sgpr, 14
	.set _ZN9rocsparseL19gebsrmvn_4xn_kernelILj128ELj8ELj8E21rocsparse_complex_numIfEEEvi20rocsparse_direction_NS_24const_host_device_scalarIT2_EEPKiS8_PKS5_SA_S6_PS5_21rocsparse_index_base_b.num_named_barrier, 0
	.set _ZN9rocsparseL19gebsrmvn_4xn_kernelILj128ELj8ELj8E21rocsparse_complex_numIfEEEvi20rocsparse_direction_NS_24const_host_device_scalarIT2_EEPKiS8_PKS5_SA_S6_PS5_21rocsparse_index_base_b.private_seg_size, 0
	.set _ZN9rocsparseL19gebsrmvn_4xn_kernelILj128ELj8ELj8E21rocsparse_complex_numIfEEEvi20rocsparse_direction_NS_24const_host_device_scalarIT2_EEPKiS8_PKS5_SA_S6_PS5_21rocsparse_index_base_b.uses_vcc, 1
	.set _ZN9rocsparseL19gebsrmvn_4xn_kernelILj128ELj8ELj8E21rocsparse_complex_numIfEEEvi20rocsparse_direction_NS_24const_host_device_scalarIT2_EEPKiS8_PKS5_SA_S6_PS5_21rocsparse_index_base_b.uses_flat_scratch, 0
	.set _ZN9rocsparseL19gebsrmvn_4xn_kernelILj128ELj8ELj8E21rocsparse_complex_numIfEEEvi20rocsparse_direction_NS_24const_host_device_scalarIT2_EEPKiS8_PKS5_SA_S6_PS5_21rocsparse_index_base_b.has_dyn_sized_stack, 0
	.set _ZN9rocsparseL19gebsrmvn_4xn_kernelILj128ELj8ELj8E21rocsparse_complex_numIfEEEvi20rocsparse_direction_NS_24const_host_device_scalarIT2_EEPKiS8_PKS5_SA_S6_PS5_21rocsparse_index_base_b.has_recursion, 0
	.set _ZN9rocsparseL19gebsrmvn_4xn_kernelILj128ELj8ELj8E21rocsparse_complex_numIfEEEvi20rocsparse_direction_NS_24const_host_device_scalarIT2_EEPKiS8_PKS5_SA_S6_PS5_21rocsparse_index_base_b.has_indirect_call, 0
	.section	.AMDGPU.csdata,"",@progbits
; Kernel info:
; codeLenInByte = 3772
; TotalNumSgprs: 16
; NumVgprs: 100
; ScratchSize: 0
; MemoryBound: 0
; FloatMode: 240
; IeeeMode: 1
; LDSByteSize: 0 bytes/workgroup (compile time only)
; SGPRBlocks: 0
; VGPRBlocks: 12
; NumSGPRsForWavesPerEU: 16
; NumVGPRsForWavesPerEU: 100
; Occupancy: 12
; WaveLimiterHint : 1
; COMPUTE_PGM_RSRC2:SCRATCH_EN: 0
; COMPUTE_PGM_RSRC2:USER_SGPR: 2
; COMPUTE_PGM_RSRC2:TRAP_HANDLER: 0
; COMPUTE_PGM_RSRC2:TGID_X_EN: 1
; COMPUTE_PGM_RSRC2:TGID_Y_EN: 0
; COMPUTE_PGM_RSRC2:TGID_Z_EN: 0
; COMPUTE_PGM_RSRC2:TIDIG_COMP_CNT: 0
	.section	.text._ZN9rocsparseL19gebsrmvn_4xn_kernelILj128ELj8ELj16E21rocsparse_complex_numIfEEEvi20rocsparse_direction_NS_24const_host_device_scalarIT2_EEPKiS8_PKS5_SA_S6_PS5_21rocsparse_index_base_b,"axG",@progbits,_ZN9rocsparseL19gebsrmvn_4xn_kernelILj128ELj8ELj16E21rocsparse_complex_numIfEEEvi20rocsparse_direction_NS_24const_host_device_scalarIT2_EEPKiS8_PKS5_SA_S6_PS5_21rocsparse_index_base_b,comdat
	.globl	_ZN9rocsparseL19gebsrmvn_4xn_kernelILj128ELj8ELj16E21rocsparse_complex_numIfEEEvi20rocsparse_direction_NS_24const_host_device_scalarIT2_EEPKiS8_PKS5_SA_S6_PS5_21rocsparse_index_base_b ; -- Begin function _ZN9rocsparseL19gebsrmvn_4xn_kernelILj128ELj8ELj16E21rocsparse_complex_numIfEEEvi20rocsparse_direction_NS_24const_host_device_scalarIT2_EEPKiS8_PKS5_SA_S6_PS5_21rocsparse_index_base_b
	.p2align	8
	.type	_ZN9rocsparseL19gebsrmvn_4xn_kernelILj128ELj8ELj16E21rocsparse_complex_numIfEEEvi20rocsparse_direction_NS_24const_host_device_scalarIT2_EEPKiS8_PKS5_SA_S6_PS5_21rocsparse_index_base_b,@function
_ZN9rocsparseL19gebsrmvn_4xn_kernelILj128ELj8ELj16E21rocsparse_complex_numIfEEEvi20rocsparse_direction_NS_24const_host_device_scalarIT2_EEPKiS8_PKS5_SA_S6_PS5_21rocsparse_index_base_b: ; @_ZN9rocsparseL19gebsrmvn_4xn_kernelILj128ELj8ELj16E21rocsparse_complex_numIfEEEvi20rocsparse_direction_NS_24const_host_device_scalarIT2_EEPKiS8_PKS5_SA_S6_PS5_21rocsparse_index_base_b
; %bb.0:
	s_clause 0x2
	s_load_b64 s[12:13], s[0:1], 0x40
	s_load_b64 s[2:3], s[0:1], 0x8
	;; [unrolled: 1-line block ×3, first 2 shown]
	s_add_nc_u64 s[6:7], s[0:1], 8
	s_wait_kmcnt 0x0
	s_bitcmp1_b32 s13, 0
	s_cselect_b32 s2, s6, s2
	s_cselect_b32 s3, s7, s3
	s_delay_alu instid0(SALU_CYCLE_1)
	v_dual_mov_b32 v1, s2 :: v_dual_mov_b32 v2, s3
	s_add_nc_u64 s[2:3], s[0:1], 48
	s_wait_alu 0xfffe
	s_cselect_b32 s2, s2, s4
	s_cselect_b32 s3, s3, s5
	flat_load_b64 v[1:2], v[1:2]
	s_wait_alu 0xfffe
	v_dual_mov_b32 v3, s2 :: v_dual_mov_b32 v4, s3
	flat_load_b64 v[3:4], v[3:4]
	s_wait_loadcnt_dscnt 0x101
	v_cmp_eq_f32_e32 vcc_lo, 0, v1
	v_cmp_eq_f32_e64 s2, 0, v2
	s_and_b32 s4, vcc_lo, s2
	s_mov_b32 s2, -1
	s_and_saveexec_b32 s3, s4
	s_cbranch_execz .LBB106_2
; %bb.1:
	s_wait_loadcnt_dscnt 0x0
	v_cmp_neq_f32_e32 vcc_lo, 1.0, v3
	v_cmp_neq_f32_e64 s2, 0, v4
	s_wait_alu 0xfffe
	s_or_b32 s2, vcc_lo, s2
	s_wait_alu 0xfffe
	s_or_not1_b32 s2, s2, exec_lo
.LBB106_2:
	s_wait_alu 0xfffe
	s_or_b32 exec_lo, exec_lo, s3
	s_and_saveexec_b32 s3, s2
	s_cbranch_execz .LBB106_21
; %bb.3:
	s_load_b64 s[2:3], s[0:1], 0x0
	v_lshrrev_b32_e32 v5, 4, v0
	s_delay_alu instid0(VALU_DEP_1) | instskip(SKIP_1) | instid1(VALU_DEP_1)
	v_lshl_or_b32 v5, ttmp9, 3, v5
	s_wait_kmcnt 0x0
	v_cmp_gt_i32_e32 vcc_lo, s2, v5
	s_and_b32 exec_lo, exec_lo, vcc_lo
	s_cbranch_execz .LBB106_21
; %bb.4:
	s_load_b256 s[4:11], s[0:1], 0x10
	v_ashrrev_i32_e32 v6, 31, v5
	v_and_b32_e32 v0, 15, v0
	s_cmp_lg_u32 s3, 0
	s_delay_alu instid0(VALU_DEP_2) | instskip(SKIP_1) | instid1(VALU_DEP_1)
	v_lshlrev_b64_e32 v[6:7], 2, v[5:6]
	s_wait_kmcnt 0x0
	v_add_co_u32 v6, vcc_lo, s4, v6
	s_delay_alu instid0(VALU_DEP_1) | instskip(SKIP_4) | instid1(VALU_DEP_2)
	v_add_co_ci_u32_e64 v7, null, s5, v7, vcc_lo
	global_load_b64 v[6:7], v[6:7], off
	s_wait_loadcnt 0x0
	v_subrev_nc_u32_e32 v6, s12, v6
	v_subrev_nc_u32_e32 v15, s12, v7
	v_add_nc_u32_e32 v6, v6, v0
	s_delay_alu instid0(VALU_DEP_1)
	v_cmp_lt_i32_e64 s2, v6, v15
	s_cbranch_scc0 .LBB106_10
; %bb.5:
	v_dual_mov_b32 v11, 0 :: v_dual_mov_b32 v18, 0
	v_dual_mov_b32 v16, 0 :: v_dual_mov_b32 v17, 0
	;; [unrolled: 1-line block ×4, first 2 shown]
	s_and_saveexec_b32 s3, s2
	s_cbranch_execz .LBB106_9
; %bb.6:
	v_dual_mov_b32 v8, 0 :: v_dual_lshlrev_b32 v7, 5, v6
	v_mov_b32_e32 v9, v6
	s_mov_b32 s4, 0
	s_delay_alu instid0(VALU_DEP_2)
	v_dual_mov_b32 v11, v8 :: v_dual_mov_b32 v16, v8
	v_mov_b32_e32 v18, v8
	v_dual_mov_b32 v12, v8 :: v_dual_mov_b32 v17, v8
	v_dual_mov_b32 v13, v8 :: v_dual_mov_b32 v14, v8
	v_mov_b32_e32 v19, v8
.LBB106_7:                              ; =>This Inner Loop Header: Depth=1
	v_ashrrev_i32_e32 v10, 31, v9
	s_delay_alu instid0(VALU_DEP_1) | instskip(NEXT) | instid1(VALU_DEP_1)
	v_lshlrev_b64_e32 v[20:21], 2, v[9:10]
	v_add_co_u32 v20, vcc_lo, s6, v20
	s_wait_alu 0xfffd
	s_delay_alu instid0(VALU_DEP_2) | instskip(SKIP_2) | instid1(VALU_DEP_1)
	v_add_co_ci_u32_e64 v21, null, s7, v21, vcc_lo
	global_load_b32 v10, v[20:21], off
	v_lshlrev_b64_e32 v[20:21], 3, v[7:8]
	v_add_co_u32 v96, vcc_lo, s8, v20
	s_wait_alu 0xfffd
	s_delay_alu instid0(VALU_DEP_2)
	v_add_co_ci_u32_e64 v97, null, s9, v21, vcc_lo
	s_clause 0xa
	global_load_b128 v[20:23], v[96:97], off offset:48
	global_load_b128 v[24:27], v[96:97], off offset:32
	;; [unrolled: 1-line block ×3, first 2 shown]
	global_load_b128 v[32:35], v[96:97], off
	global_load_b128 v[36:39], v[96:97], off offset:80
	global_load_b128 v[40:43], v[96:97], off offset:64
	;; [unrolled: 1-line block ×7, first 2 shown]
	s_wait_loadcnt 0xb
	v_subrev_nc_u32_e32 v10, s12, v10
	s_delay_alu instid0(VALU_DEP_1) | instskip(NEXT) | instid1(VALU_DEP_1)
	v_dual_mov_b32 v65, v8 :: v_dual_lshlrev_b32 v64, 3, v10
	v_lshlrev_b64_e32 v[64:65], 3, v[64:65]
	s_delay_alu instid0(VALU_DEP_1) | instskip(SKIP_1) | instid1(VALU_DEP_2)
	v_add_co_u32 v88, vcc_lo, s10, v64
	s_wait_alu 0xfffd
	v_add_co_ci_u32_e64 v89, null, s11, v65, vcc_lo
	s_clause 0x2
	global_load_b128 v[64:67], v[88:89], off
	global_load_b128 v[68:71], v[88:89], off offset:16
	global_load_b128 v[72:75], v[88:89], off offset:32
	s_clause 0x2
	global_load_b128 v[76:79], v[96:97], off offset:176
	global_load_b128 v[80:83], v[96:97], off offset:192
	;; [unrolled: 1-line block ×4, first 2 shown]
	s_clause 0x1
	global_load_b128 v[92:95], v[96:97], off offset:224
	global_load_b128 v[96:99], v[96:97], off offset:240
	v_add_nc_u32_e32 v7, 0x200, v7
	s_wait_loadcnt 0x8
	v_dual_fmac_f32 v14, v35, v64 :: v_dual_add_nc_u32 v9, 16, v9
	v_fmac_f32_e32 v18, v32, v64
	v_fmac_f32_e32 v11, v33, v64
	s_delay_alu instid0(VALU_DEP_3) | instskip(NEXT) | instid1(VALU_DEP_4)
	v_cmp_ge_i32_e32 vcc_lo, v9, v15
	v_fmac_f32_e32 v14, v34, v65
	s_delay_alu instid0(VALU_DEP_4) | instskip(SKIP_2) | instid1(VALU_DEP_4)
	v_fma_f32 v10, -v33, v65, v18
	v_fmac_f32_e32 v19, v34, v64
	v_dual_fmac_f32 v16, v30, v64 :: v_dual_fmac_f32 v11, v32, v65
	v_fmac_f32_e32 v14, v27, v66
	s_delay_alu instid0(VALU_DEP_4) | instskip(NEXT) | instid1(VALU_DEP_4)
	v_fmac_f32_e32 v10, v24, v66
	v_fma_f32 v18, -v35, v65, v19
	v_fmac_f32_e32 v13, v29, v64
	s_delay_alu instid0(VALU_DEP_4) | instskip(SKIP_1) | instid1(VALU_DEP_4)
	v_dual_fmac_f32 v11, v25, v66 :: v_dual_fmac_f32 v14, v26, v67
	v_fma_f32 v16, -v31, v65, v16
	v_fmac_f32_e32 v18, v26, v66
	s_delay_alu instid0(VALU_DEP_4) | instskip(SKIP_2) | instid1(VALU_DEP_3)
	v_dual_fmac_f32 v12, v31, v64 :: v_dual_fmac_f32 v13, v28, v65
	v_fmac_f32_e32 v17, v28, v64
	v_fma_f32 v10, -v25, v67, v10
	v_dual_fmac_f32 v11, v24, v67 :: v_dual_fmac_f32 v12, v30, v65
	s_delay_alu instid0(VALU_DEP_4) | instskip(NEXT) | instid1(VALU_DEP_4)
	v_fmac_f32_e32 v13, v21, v66
	v_fma_f32 v17, -v29, v65, v17
	v_fma_f32 v18, -v27, v67, v18
	s_wait_loadcnt 0x7
	v_fmac_f32_e32 v10, v40, v68
	v_dual_fmac_f32 v12, v23, v66 :: v_dual_fmac_f32 v11, v41, v68
	v_fmac_f32_e32 v17, v20, v66
	v_dual_fmac_f32 v16, v22, v66 :: v_dual_fmac_f32 v13, v20, v67
	s_delay_alu instid0(VALU_DEP_3) | instskip(NEXT) | instid1(VALU_DEP_4)
	v_fmac_f32_e32 v12, v22, v67
	v_dual_fmac_f32 v18, v42, v68 :: v_dual_fmac_f32 v11, v40, v69
	s_delay_alu instid0(VALU_DEP_4) | instskip(NEXT) | instid1(VALU_DEP_4)
	v_fma_f32 v17, -v21, v67, v17
	v_fma_f32 v16, -v23, v67, v16
	s_delay_alu instid0(VALU_DEP_4) | instskip(SKIP_2) | instid1(VALU_DEP_4)
	v_fmac_f32_e32 v12, v39, v68
	v_fmac_f32_e32 v13, v37, v68
	v_fma_f32 v18, -v43, v69, v18
	v_dual_fmac_f32 v11, v45, v70 :: v_dual_fmac_f32 v16, v38, v68
	s_delay_alu instid0(VALU_DEP_4) | instskip(NEXT) | instid1(VALU_DEP_4)
	v_fmac_f32_e32 v12, v38, v69
	v_dual_fmac_f32 v14, v43, v68 :: v_dual_fmac_f32 v13, v36, v69
	v_fmac_f32_e32 v17, v36, v68
	v_fma_f32 v10, -v41, v69, v10
	v_dual_fmac_f32 v18, v46, v70 :: v_dual_fmac_f32 v11, v44, v71
	s_delay_alu instid0(VALU_DEP_4) | instskip(NEXT) | instid1(VALU_DEP_4)
	v_fmac_f32_e32 v14, v42, v69
	v_fma_f32 v17, -v37, v69, v17
	v_fmac_f32_e32 v13, v49, v70
	s_wait_loadcnt 0x6
	v_dual_fmac_f32 v10, v44, v70 :: v_dual_fmac_f32 v11, v61, v72
	v_fmac_f32_e32 v14, v47, v70
	v_fmac_f32_e32 v17, v48, v70
	v_dual_fmac_f32 v13, v48, v71 :: v_dual_fmac_f32 v12, v51, v70
	v_fma_f32 v16, -v39, v69, v16
	v_fma_f32 v10, -v45, v71, v10
	s_delay_alu instid0(VALU_DEP_4) | instskip(NEXT) | instid1(VALU_DEP_4)
	v_fma_f32 v17, -v49, v71, v17
	v_dual_fmac_f32 v13, v57, v72 :: v_dual_fmac_f32 v12, v50, v71
	s_delay_alu instid0(VALU_DEP_4) | instskip(NEXT) | instid1(VALU_DEP_3)
	v_dual_fmac_f32 v11, v60, v73 :: v_dual_fmac_f32 v16, v50, v70
	v_fmac_f32_e32 v17, v56, v72
	v_fma_f32 v18, -v47, v71, v18
	v_fmac_f32_e32 v14, v46, v71
	s_delay_alu instid0(VALU_DEP_4) | instskip(SKIP_1) | instid1(VALU_DEP_4)
	v_dual_fmac_f32 v10, v60, v72 :: v_dual_fmac_f32 v11, v53, v74
	v_fma_f32 v16, -v51, v71, v16
	v_dual_fmac_f32 v18, v62, v72 :: v_dual_fmac_f32 v13, v56, v73
	s_delay_alu instid0(VALU_DEP_3)
	v_dual_fmac_f32 v12, v59, v72 :: v_dual_fmac_f32 v11, v52, v75
	v_fma_f32 v17, -v57, v73, v17
	v_fmac_f32_e32 v14, v63, v72
	s_wait_loadcnt 0x5
	v_dual_fmac_f32 v16, v58, v72 :: v_dual_fmac_f32 v13, v77, v74
	v_fma_f32 v18, -v63, v73, v18
	s_wait_loadcnt 0x2
	v_dual_fmac_f32 v12, v58, v73 :: v_dual_fmac_f32 v11, v81, v88
	v_dual_fmac_f32 v17, v76, v74 :: v_dual_fmac_f32 v14, v62, v73
	v_fmac_f32_e32 v13, v76, v75
	v_fma_f32 v10, -v61, v73, v10
	v_fma_f32 v16, -v59, v73, v16
	s_delay_alu instid0(VALU_DEP_4)
	v_fma_f32 v17, -v77, v75, v17
	v_fmac_f32_e32 v18, v54, v74
	v_dual_fmac_f32 v14, v55, v74 :: v_dual_fmac_f32 v11, v80, v89
	v_dual_fmac_f32 v10, v52, v74 :: v_dual_fmac_f32 v13, v85, v88
	v_fmac_f32_e32 v16, v78, v74
	s_wait_loadcnt 0x1
	s_delay_alu instid0(VALU_DEP_3)
	v_dual_fmac_f32 v14, v54, v75 :: v_dual_fmac_f32 v11, v93, v90
	v_dual_fmac_f32 v12, v79, v74 :: v_dual_fmac_f32 v17, v84, v88
	v_fma_f32 v18, -v55, v75, v18
	v_fma_f32 v10, -v53, v75, v10
	v_fmac_f32_e32 v13, v84, v89
	v_fma_f32 v16, -v79, v75, v16
	v_fma_f32 v17, -v85, v89, v17
	v_dual_fmac_f32 v18, v82, v88 :: v_dual_fmac_f32 v11, v92, v91
	v_fmac_f32_e32 v12, v78, v75
	s_wait_loadcnt 0x0
	s_delay_alu instid0(VALU_DEP_3) | instskip(SKIP_1) | instid1(VALU_DEP_3)
	v_dual_fmac_f32 v16, v86, v88 :: v_dual_fmac_f32 v17, v96, v90
	v_dual_fmac_f32 v13, v97, v90 :: v_dual_fmac_f32 v14, v83, v88
	v_fmac_f32_e32 v12, v87, v88
	v_fma_f32 v19, -v83, v89, v18
	v_fmac_f32_e32 v10, v80, v88
	v_fma_f32 v16, -v87, v89, v16
	v_dual_fmac_f32 v13, v96, v91 :: v_dual_fmac_f32 v14, v82, v89
	v_fmac_f32_e32 v12, v86, v89
	v_fmac_f32_e32 v19, v94, v90
	v_fma_f32 v10, -v81, v89, v10
	v_fmac_f32_e32 v16, v98, v90
	v_fmac_f32_e32 v14, v95, v90
	;; [unrolled: 1-line block ×3, first 2 shown]
	v_fma_f32 v19, -v95, v91, v19
	v_fmac_f32_e32 v10, v92, v90
	v_fma_f32 v17, -v97, v91, v17
	v_fmac_f32_e32 v14, v94, v91
	;; [unrolled: 2-line block ×3, first 2 shown]
	v_fma_f32 v18, -v93, v91, v10
	s_wait_alu 0xfffe
	s_or_b32 s4, vcc_lo, s4
	s_wait_alu 0xfffe
	s_and_not1_b32 exec_lo, exec_lo, s4
	s_cbranch_execnz .LBB106_7
; %bb.8:
	s_or_b32 exec_lo, exec_lo, s4
.LBB106_9:
	s_wait_alu 0xfffe
	s_or_b32 exec_lo, exec_lo, s3
	s_cbranch_execz .LBB106_11
	s_branch .LBB106_16
.LBB106_10:
                                        ; implicit-def: $vgpr11
                                        ; implicit-def: $vgpr18
                                        ; implicit-def: $vgpr16
                                        ; implicit-def: $vgpr12
                                        ; implicit-def: $vgpr17
                                        ; implicit-def: $vgpr13
                                        ; implicit-def: $vgpr19
                                        ; implicit-def: $vgpr14
.LBB106_11:
	v_dual_mov_b32 v11, 0 :: v_dual_mov_b32 v18, 0
	v_dual_mov_b32 v16, 0 :: v_dual_mov_b32 v17, 0
	;; [unrolled: 1-line block ×4, first 2 shown]
	s_and_saveexec_b32 s3, s2
	s_cbranch_execz .LBB106_15
; %bb.12:
	v_dual_mov_b32 v9, 0 :: v_dual_lshlrev_b32 v8, 5, v6
	s_mov_b32 s2, 0
	s_delay_alu instid0(VALU_DEP_1)
	v_dual_mov_b32 v11, v9 :: v_dual_mov_b32 v18, v9
	v_dual_mov_b32 v16, v9 :: v_dual_mov_b32 v17, v9
	;; [unrolled: 1-line block ×4, first 2 shown]
.LBB106_13:                             ; =>This Inner Loop Header: Depth=1
	v_ashrrev_i32_e32 v7, 31, v6
	v_lshlrev_b64_e32 v[20:21], 3, v[8:9]
	v_add_nc_u32_e32 v8, 0x200, v8
	s_delay_alu instid0(VALU_DEP_3) | instskip(SKIP_1) | instid1(VALU_DEP_2)
	v_lshlrev_b64_e32 v[22:23], 2, v[6:7]
	v_add_nc_u32_e32 v6, 16, v6
	v_add_co_u32 v22, vcc_lo, s6, v22
	s_wait_alu 0xfffd
	s_delay_alu instid0(VALU_DEP_3)
	v_add_co_ci_u32_e64 v23, null, s7, v23, vcc_lo
	v_add_co_u32 v80, vcc_lo, s8, v20
	s_wait_alu 0xfffd
	v_add_co_ci_u32_e64 v81, null, s9, v21, vcc_lo
	global_load_b32 v7, v[22:23], off
	s_clause 0xf
	global_load_b128 v[20:23], v[80:81], off offset:16
	global_load_b128 v[24:27], v[80:81], off
	global_load_b128 v[28:31], v[80:81], off offset:80
	global_load_b128 v[32:35], v[80:81], off offset:64
	;; [unrolled: 1-line block ×14, first 2 shown]
	s_wait_loadcnt 0x10
	v_subrev_nc_u32_e32 v7, s12, v7
	s_delay_alu instid0(VALU_DEP_1) | instskip(NEXT) | instid1(VALU_DEP_1)
	v_dual_mov_b32 v85, v9 :: v_dual_lshlrev_b32 v84, 3, v7
	v_lshlrev_b64_e32 v[84:85], 3, v[84:85]
	s_delay_alu instid0(VALU_DEP_1) | instskip(SKIP_1) | instid1(VALU_DEP_2)
	v_add_co_u32 v96, vcc_lo, s10, v84
	s_wait_alu 0xfffd
	v_add_co_ci_u32_e64 v97, null, s11, v85, vcc_lo
	s_clause 0x2
	global_load_b128 v[84:87], v[96:97], off
	global_load_b128 v[88:91], v[96:97], off offset:16
	global_load_b128 v[92:95], v[96:97], off offset:32
	v_cmp_ge_i32_e32 vcc_lo, v6, v15
	s_wait_alu 0xfffe
	s_or_b32 s2, vcc_lo, s2
	s_wait_loadcnt 0x2
	v_fmac_f32_e32 v18, v24, v84
	v_fmac_f32_e32 v11, v25, v84
	;; [unrolled: 1-line block ×5, first 2 shown]
	v_fma_f32 v7, -v25, v85, v18
	v_fmac_f32_e32 v11, v24, v85
	v_fmac_f32_e32 v16, v48, v84
	v_fma_f32 v10, -v33, v85, v19
	s_delay_alu instid0(VALU_DEP_4) | instskip(NEXT) | instid1(VALU_DEP_4)
	v_dual_fmac_f32 v14, v32, v85 :: v_dual_fmac_f32 v7, v26, v86
	v_fmac_f32_e32 v11, v27, v86
	v_fmac_f32_e32 v17, v40, v84
	v_dual_fmac_f32 v12, v49, v84 :: v_dual_fmac_f32 v13, v40, v85
	s_delay_alu instid0(VALU_DEP_4) | instskip(NEXT) | instid1(VALU_DEP_4)
	v_fma_f32 v7, -v27, v87, v7
	v_fmac_f32_e32 v11, v26, v87
	global_load_b128 v[24:27], v[96:97], off offset:48
	v_fmac_f32_e32 v10, v34, v86
	v_fma_f32 v16, -v49, v85, v16
	v_fmac_f32_e32 v14, v35, v86
	v_fma_f32 v17, -v41, v85, v17
	v_dual_fmac_f32 v12, v48, v85 :: v_dual_fmac_f32 v13, v43, v86
	s_wait_loadcnt 0x2
	v_dual_fmac_f32 v16, v50, v86 :: v_dual_fmac_f32 v7, v20, v88
	s_delay_alu instid0(VALU_DEP_3) | instskip(SKIP_3) | instid1(VALU_DEP_4)
	v_fmac_f32_e32 v17, v42, v86
	v_fma_f32 v10, -v35, v87, v10
	v_fmac_f32_e32 v14, v34, v87
	v_dual_fmac_f32 v12, v51, v86 :: v_dual_fmac_f32 v13, v42, v87
	v_fma_f32 v17, -v43, v87, v17
	v_fma_f32 v16, -v51, v87, v16
	s_delay_alu instid0(VALU_DEP_3) | instskip(SKIP_3) | instid1(VALU_DEP_4)
	v_dual_fmac_f32 v11, v21, v88 :: v_dual_fmac_f32 v12, v50, v87
	v_fmac_f32_e32 v14, v29, v88
	v_fma_f32 v7, -v21, v89, v7
	v_fmac_f32_e32 v10, v28, v88
	v_fmac_f32_e32 v11, v20, v89
	s_delay_alu instid0(VALU_DEP_4)
	v_dual_fmac_f32 v13, v37, v88 :: v_dual_fmac_f32 v14, v28, v89
	v_fmac_f32_e32 v16, v44, v88
	v_dual_fmac_f32 v12, v45, v88 :: v_dual_fmac_f32 v7, v22, v90
	v_fma_f32 v10, -v29, v89, v10
	v_fmac_f32_e32 v17, v36, v88
	v_fmac_f32_e32 v13, v36, v89
	;; [unrolled: 1-line block ×3, first 2 shown]
	v_fma_f32 v16, -v45, v89, v16
	v_fmac_f32_e32 v10, v30, v90
	v_fma_f32 v17, -v37, v89, v17
	v_fmac_f32_e32 v12, v44, v89
	v_dual_fmac_f32 v14, v31, v90 :: v_dual_fmac_f32 v11, v22, v91
	v_fma_f32 v7, -v23, v91, v7
	s_delay_alu instid0(VALU_DEP_4) | instskip(NEXT) | instid1(VALU_DEP_3)
	v_fmac_f32_e32 v17, v38, v90
	v_dual_fmac_f32 v13, v39, v90 :: v_dual_fmac_f32 v14, v30, v91
	s_wait_loadcnt 0x1
	s_delay_alu instid0(VALU_DEP_3) | instskip(NEXT) | instid1(VALU_DEP_2)
	v_dual_fmac_f32 v16, v46, v90 :: v_dual_fmac_f32 v7, v56, v92
	v_dual_fmac_f32 v12, v47, v90 :: v_dual_fmac_f32 v13, v38, v91
	v_fma_f32 v10, -v31, v91, v10
	v_fma_f32 v17, -v39, v91, v17
	s_delay_alu instid0(VALU_DEP_4) | instskip(NEXT) | instid1(VALU_DEP_4)
	v_fma_f32 v16, -v47, v91, v16
	v_dual_fmac_f32 v12, v46, v91 :: v_dual_fmac_f32 v11, v57, v92
	v_fmac_f32_e32 v14, v65, v92
	v_fma_f32 v7, -v57, v93, v7
	v_fmac_f32_e32 v10, v64, v92
	s_delay_alu instid0(VALU_DEP_4) | instskip(NEXT) | instid1(VALU_DEP_4)
	v_fmac_f32_e32 v11, v56, v93
	v_dual_fmac_f32 v13, v73, v92 :: v_dual_fmac_f32 v14, v64, v93
	v_fmac_f32_e32 v16, v76, v92
	v_dual_fmac_f32 v12, v77, v92 :: v_dual_fmac_f32 v7, v58, v94
	v_fma_f32 v10, -v65, v93, v10
	v_fmac_f32_e32 v17, v72, v92
	v_fmac_f32_e32 v13, v72, v93
	;; [unrolled: 1-line block ×3, first 2 shown]
	v_fma_f32 v16, -v77, v93, v16
	v_fmac_f32_e32 v10, v66, v94
	v_fma_f32 v17, -v73, v93, v17
	v_fmac_f32_e32 v12, v76, v93
	v_dual_fmac_f32 v14, v67, v94 :: v_dual_fmac_f32 v11, v58, v95
	v_fma_f32 v7, -v59, v95, v7
	s_delay_alu instid0(VALU_DEP_4) | instskip(NEXT) | instid1(VALU_DEP_3)
	v_fmac_f32_e32 v17, v74, v94
	v_dual_fmac_f32 v13, v75, v94 :: v_dual_fmac_f32 v14, v66, v95
	v_fmac_f32_e32 v16, v78, v94
	v_fmac_f32_e32 v12, v79, v94
	v_fma_f32 v10, -v67, v95, v10
	v_fma_f32 v17, -v75, v95, v17
	v_fmac_f32_e32 v13, v74, v95
	s_wait_loadcnt 0x0
	v_dual_fmac_f32 v12, v78, v95 :: v_dual_fmac_f32 v11, v53, v24
	v_fmac_f32_e32 v7, v52, v24
	v_fma_f32 v16, -v79, v95, v16
	s_delay_alu instid0(VALU_DEP_3) | instskip(NEXT) | instid1(VALU_DEP_3)
	v_dual_fmac_f32 v14, v61, v24 :: v_dual_fmac_f32 v11, v52, v25
	v_fma_f32 v7, -v53, v25, v7
	v_fmac_f32_e32 v10, v60, v24
	s_delay_alu instid0(VALU_DEP_3) | instskip(NEXT) | instid1(VALU_DEP_4)
	v_dual_fmac_f32 v13, v69, v24 :: v_dual_fmac_f32 v14, v60, v25
	v_dual_fmac_f32 v16, v80, v24 :: v_dual_fmac_f32 v11, v55, v26
	s_delay_alu instid0(VALU_DEP_2)
	v_dual_fmac_f32 v12, v81, v24 :: v_dual_fmac_f32 v13, v68, v25
	v_fmac_f32_e32 v7, v54, v26
	v_fma_f32 v10, -v61, v25, v10
	v_fmac_f32_e32 v17, v68, v24
	v_fma_f32 v16, -v81, v25, v16
	v_dual_fmac_f32 v14, v63, v26 :: v_dual_fmac_f32 v11, v54, v27
	s_delay_alu instid0(VALU_DEP_4) | instskip(NEXT) | instid1(VALU_DEP_4)
	v_fmac_f32_e32 v10, v62, v26
	v_fma_f32 v17, -v69, v25, v17
	v_dual_fmac_f32 v12, v80, v25 :: v_dual_fmac_f32 v13, v71, v26
	s_delay_alu instid0(VALU_DEP_4) | instskip(SKIP_1) | instid1(VALU_DEP_4)
	v_fmac_f32_e32 v14, v62, v27
	v_fmac_f32_e32 v16, v82, v26
	;; [unrolled: 1-line block ×3, first 2 shown]
	s_delay_alu instid0(VALU_DEP_4) | instskip(SKIP_2) | instid1(VALU_DEP_4)
	v_dual_fmac_f32 v12, v83, v26 :: v_dual_fmac_f32 v13, v70, v27
	v_fma_f32 v18, -v55, v27, v7
	v_fma_f32 v19, -v63, v27, v10
	;; [unrolled: 1-line block ×4, first 2 shown]
	v_fmac_f32_e32 v12, v82, v27
	s_wait_alu 0xfffe
	s_and_not1_b32 exec_lo, exec_lo, s2
	s_cbranch_execnz .LBB106_13
; %bb.14:
	s_or_b32 exec_lo, exec_lo, s2
.LBB106_15:
	s_wait_alu 0xfffe
	s_or_b32 exec_lo, exec_lo, s3
.LBB106_16:
	v_mbcnt_lo_u32_b32 v6, -1, 0
	s_delay_alu instid0(VALU_DEP_1) | instskip(SKIP_1) | instid1(VALU_DEP_2)
	v_xor_b32_e32 v7, 8, v6
	v_xor_b32_e32 v23, 4, v6
	v_cmp_gt_i32_e32 vcc_lo, 32, v7
	s_wait_alu 0xfffd
	v_cndmask_b32_e32 v7, v6, v7, vcc_lo
	s_delay_alu instid0(VALU_DEP_3) | instskip(NEXT) | instid1(VALU_DEP_2)
	v_cmp_gt_i32_e32 vcc_lo, 32, v23
	v_lshlrev_b32_e32 v7, 2, v7
	ds_bpermute_b32 v8, v7, v18
	s_wait_dscnt 0x0
	v_add_f32_e32 v8, v18, v8
	ds_bpermute_b32 v9, v7, v11
	ds_bpermute_b32 v15, v7, v14
	;; [unrolled: 1-line block ×7, first 2 shown]
	s_wait_alu 0xfffd
	v_cndmask_b32_e32 v23, v6, v23, vcc_lo
	s_wait_dscnt 0x6
	v_add_f32_e32 v9, v11, v9
	s_wait_dscnt 0x4
	v_dual_add_f32 v11, v14, v15 :: v_dual_add_f32 v14, v17, v20
	s_wait_dscnt 0x3
	v_dual_add_f32 v10, v19, v10 :: v_dual_lshlrev_b32 v23, 2, v23
	s_wait_dscnt 0x0
	v_add_f32_e32 v7, v12, v7
	ds_bpermute_b32 v12, v23, v8
	s_wait_dscnt 0x0
	v_add_f32_e32 v8, v8, v12
	ds_bpermute_b32 v19, v23, v14
	ds_bpermute_b32 v17, v23, v10
	v_add_f32_e32 v15, v16, v22
	ds_bpermute_b32 v18, v23, v11
	v_add_f32_e32 v13, v13, v21
	ds_bpermute_b32 v22, v23, v7
	s_wait_dscnt 0x3
	v_add_f32_e32 v14, v14, v19
	ds_bpermute_b32 v16, v23, v9
	s_wait_dscnt 0x3
	;; [unrolled: 3-line block ×3, first 2 shown]
	v_dual_add_f32 v9, v9, v16 :: v_dual_add_f32 v16, v11, v18
	ds_bpermute_b32 v20, v23, v13
	v_xor_b32_e32 v23, 2, v6
	s_wait_dscnt 0x1
	v_add_f32_e32 v18, v15, v21
	s_delay_alu instid0(VALU_DEP_2) | instskip(SKIP_2) | instid1(VALU_DEP_1)
	v_cmp_gt_i32_e32 vcc_lo, 32, v23
	s_wait_alu 0xfffd
	v_cndmask_b32_e32 v23, v6, v23, vcc_lo
	v_lshlrev_b32_e32 v23, 2, v23
	ds_bpermute_b32 v10, v23, v9
	ds_bpermute_b32 v15, v23, v14
	;; [unrolled: 1-line block ×4, first 2 shown]
	s_wait_dscnt 0x3
	v_add_f32_e32 v10, v9, v10
	s_wait_dscnt 0x2
	v_dual_add_f32 v19, v7, v22 :: v_dual_add_f32 v14, v14, v15
	ds_bpermute_b32 v7, v23, v8
	v_add_f32_e32 v17, v13, v20
	ds_bpermute_b32 v13, v23, v16
	ds_bpermute_b32 v22, v23, v19
	s_wait_dscnt 0x4
	v_add_f32_e32 v11, v12, v11
	ds_bpermute_b32 v20, v23, v17
	v_xor_b32_e32 v23, 1, v6
	s_delay_alu instid0(VALU_DEP_1) | instskip(SKIP_4) | instid1(VALU_DEP_2)
	v_cmp_gt_i32_e32 vcc_lo, 32, v23
	s_wait_alu 0xfffd
	v_cndmask_b32_e32 v6, v6, v23, vcc_lo
	v_cmp_eq_u32_e32 vcc_lo, 15, v0
	s_wait_dscnt 0x3
	v_dual_add_f32 v6, v8, v7 :: v_dual_lshlrev_b32 v23, 2, v6
	s_wait_dscnt 0x2
	v_add_f32_e32 v13, v16, v13
	v_add_f32_e32 v7, v18, v21
	s_wait_dscnt 0x0
	v_add_f32_e32 v15, v17, v20
	v_add_f32_e32 v9, v19, v22
	ds_bpermute_b32 v8, v23, v6
	ds_bpermute_b32 v12, v23, v10
	;; [unrolled: 1-line block ×8, first 2 shown]
	s_and_b32 exec_lo, exec_lo, vcc_lo
	s_cbranch_execz .LBB106_21
; %bb.17:
	s_load_b64 s[2:3], s[0:1], 0x38
	v_cmp_eq_f32_e32 vcc_lo, 0, v3
	v_cmp_eq_f32_e64 s0, 0, v4
	s_wait_dscnt 0x7
	v_add_f32_e32 v8, v6, v8
	s_wait_dscnt 0x0
	v_dual_add_f32 v12, v10, v12 :: v_dual_add_f32 v9, v9, v17
	v_dual_add_f32 v0, v11, v18 :: v_dual_add_f32 v11, v13, v19
	v_add_f32_e32 v6, v14, v20
	v_add_f32_e32 v10, v15, v21
	;; [unrolled: 1-line block ×3, first 2 shown]
	s_and_b32 s0, vcc_lo, s0
	s_wait_alu 0xfffe
	s_and_saveexec_b32 s1, s0
	s_wait_alu 0xfffe
	s_xor_b32 s0, exec_lo, s1
	s_cbranch_execz .LBB106_19
; %bb.18:
	v_dual_mul_f32 v14, v1, v12 :: v_dual_lshlrev_b32 v3, 2, v5
	v_mul_f32_e64 v13, v12, -v2
	v_mul_f32_e64 v15, v11, -v2
	v_mul_f32_e32 v16, v1, v11
	s_delay_alu instid0(VALU_DEP_4)
	v_ashrrev_i32_e32 v4, 31, v3
	v_mul_f32_e64 v17, v10, -v2
	v_mul_f32_e32 v18, v1, v10
	v_mul_f32_e64 v19, v9, -v2
	v_mul_f32_e32 v20, v1, v9
	v_lshlrev_b64_e32 v[3:4], 3, v[3:4]
	s_delay_alu instid0(VALU_DEP_4) | instskip(SKIP_1) | instid1(VALU_DEP_4)
	v_dual_fmac_f32 v13, v1, v8 :: v_dual_fmac_f32 v18, v2, v6
	v_dual_fmac_f32 v14, v2, v8 :: v_dual_fmac_f32 v17, v1, v6
	;; [unrolled: 1-line block ×3, first 2 shown]
	s_wait_kmcnt 0x0
	s_delay_alu instid0(VALU_DEP_4)
	v_add_co_u32 v3, vcc_lo, s2, v3
	s_wait_alu 0xfffd
	v_add_co_ci_u32_e64 v4, null, s3, v4, vcc_lo
	v_dual_fmac_f32 v16, v2, v0 :: v_dual_fmac_f32 v19, v1, v7
	s_clause 0x1
	global_store_b128 v[3:4], v[13:16], off
	global_store_b128 v[3:4], v[17:20], off offset:16
                                        ; implicit-def: $vgpr5
                                        ; implicit-def: $vgpr8
                                        ; implicit-def: $vgpr12
                                        ; implicit-def: $vgpr0
                                        ; implicit-def: $vgpr11
                                        ; implicit-def: $vgpr6
                                        ; implicit-def: $vgpr10
                                        ; implicit-def: $vgpr7
                                        ; implicit-def: $vgpr9
                                        ; implicit-def: $vgpr1_vgpr2
                                        ; implicit-def: $vgpr3_vgpr4
.LBB106_19:
	s_wait_alu 0xfffe
	s_and_not1_saveexec_b32 s0, s0
	s_cbranch_execz .LBB106_21
; %bb.20:
	v_dual_mul_f32 v22, v1, v12 :: v_dual_lshlrev_b32 v13, 2, v5
	v_mul_f32_e64 v5, v12, -v2
	v_mul_f32_e64 v23, v11, -v2
	;; [unrolled: 1-line block ×3, first 2 shown]
	s_delay_alu instid0(VALU_DEP_4) | instskip(NEXT) | instid1(VALU_DEP_4)
	v_ashrrev_i32_e32 v14, 31, v13
	v_fmac_f32_e32 v5, v1, v8
	s_delay_alu instid0(VALU_DEP_2) | instskip(SKIP_1) | instid1(VALU_DEP_1)
	v_lshlrev_b64_e32 v[13:14], 3, v[13:14]
	s_wait_kmcnt 0x0
	v_add_co_u32 v25, vcc_lo, s2, v13
	s_wait_alu 0xfffd
	s_delay_alu instid0(VALU_DEP_2)
	v_add_co_ci_u32_e64 v26, null, s3, v14, vcc_lo
	s_clause 0x1
	global_load_b128 v[13:16], v[25:26], off
	global_load_b128 v[17:20], v[25:26], off offset:16
	v_mul_f32_e32 v24, v1, v11
	v_mul_f32_e64 v11, v10, -v2
	s_delay_alu instid0(VALU_DEP_1) | instskip(SKIP_1) | instid1(VALU_DEP_1)
	v_dual_fmac_f32 v22, v2, v8 :: v_dual_fmac_f32 v11, v1, v6
	s_wait_loadcnt 0x1
	v_dual_fmac_f32 v27, v1, v7 :: v_dual_fmac_f32 v22, v4, v13
	s_wait_loadcnt 0x0
	s_delay_alu instid0(VALU_DEP_1) | instskip(SKIP_3) | instid1(VALU_DEP_4)
	v_dual_mul_f32 v12, v1, v9 :: v_dual_fmac_f32 v27, v3, v19
	v_fmac_f32_e32 v23, v1, v0
	v_fmac_f32_e32 v11, v3, v17
	v_fmac_f32_e32 v22, v3, v14
	v_fmac_f32_e32 v12, v2, v7
	s_delay_alu instid0(VALU_DEP_4) | instskip(NEXT) | instid1(VALU_DEP_4)
	v_dual_mul_f32 v10, v1, v10 :: v_dual_fmac_f32 v23, v3, v15
	v_fma_f32 v9, -v4, v18, v11
	v_fma_f32 v11, -v4, v20, v27
	s_delay_alu instid0(VALU_DEP_4) | instskip(NEXT) | instid1(VALU_DEP_4)
	v_fmac_f32_e32 v12, v4, v19
	v_dual_fmac_f32 v10, v2, v6 :: v_dual_fmac_f32 v5, v3, v13
	v_fmac_f32_e32 v24, v2, v0
	v_fma_f32 v23, -v4, v16, v23
	s_delay_alu instid0(VALU_DEP_4) | instskip(NEXT) | instid1(VALU_DEP_4)
	v_fmac_f32_e32 v12, v3, v20
	v_fmac_f32_e32 v10, v4, v17
	v_fma_f32 v21, -v4, v14, v5
	v_fmac_f32_e32 v24, v4, v15
	s_delay_alu instid0(VALU_DEP_3) | instskip(NEXT) | instid1(VALU_DEP_2)
	v_fmac_f32_e32 v10, v3, v18
	v_fmac_f32_e32 v24, v3, v16
	s_clause 0x1
	global_store_b128 v[25:26], v[21:24], off
	global_store_b128 v[25:26], v[9:12], off offset:16
.LBB106_21:
	s_nop 0
	s_sendmsg sendmsg(MSG_DEALLOC_VGPRS)
	s_endpgm
	.section	.rodata,"a",@progbits
	.p2align	6, 0x0
	.amdhsa_kernel _ZN9rocsparseL19gebsrmvn_4xn_kernelILj128ELj8ELj16E21rocsparse_complex_numIfEEEvi20rocsparse_direction_NS_24const_host_device_scalarIT2_EEPKiS8_PKS5_SA_S6_PS5_21rocsparse_index_base_b
		.amdhsa_group_segment_fixed_size 0
		.amdhsa_private_segment_fixed_size 0
		.amdhsa_kernarg_size 72
		.amdhsa_user_sgpr_count 2
		.amdhsa_user_sgpr_dispatch_ptr 0
		.amdhsa_user_sgpr_queue_ptr 0
		.amdhsa_user_sgpr_kernarg_segment_ptr 1
		.amdhsa_user_sgpr_dispatch_id 0
		.amdhsa_user_sgpr_private_segment_size 0
		.amdhsa_wavefront_size32 1
		.amdhsa_uses_dynamic_stack 0
		.amdhsa_enable_private_segment 0
		.amdhsa_system_sgpr_workgroup_id_x 1
		.amdhsa_system_sgpr_workgroup_id_y 0
		.amdhsa_system_sgpr_workgroup_id_z 0
		.amdhsa_system_sgpr_workgroup_info 0
		.amdhsa_system_vgpr_workitem_id 0
		.amdhsa_next_free_vgpr 100
		.amdhsa_next_free_sgpr 14
		.amdhsa_reserve_vcc 1
		.amdhsa_float_round_mode_32 0
		.amdhsa_float_round_mode_16_64 0
		.amdhsa_float_denorm_mode_32 3
		.amdhsa_float_denorm_mode_16_64 3
		.amdhsa_fp16_overflow 0
		.amdhsa_workgroup_processor_mode 1
		.amdhsa_memory_ordered 1
		.amdhsa_forward_progress 1
		.amdhsa_inst_pref_size 31
		.amdhsa_round_robin_scheduling 0
		.amdhsa_exception_fp_ieee_invalid_op 0
		.amdhsa_exception_fp_denorm_src 0
		.amdhsa_exception_fp_ieee_div_zero 0
		.amdhsa_exception_fp_ieee_overflow 0
		.amdhsa_exception_fp_ieee_underflow 0
		.amdhsa_exception_fp_ieee_inexact 0
		.amdhsa_exception_int_div_zero 0
	.end_amdhsa_kernel
	.section	.text._ZN9rocsparseL19gebsrmvn_4xn_kernelILj128ELj8ELj16E21rocsparse_complex_numIfEEEvi20rocsparse_direction_NS_24const_host_device_scalarIT2_EEPKiS8_PKS5_SA_S6_PS5_21rocsparse_index_base_b,"axG",@progbits,_ZN9rocsparseL19gebsrmvn_4xn_kernelILj128ELj8ELj16E21rocsparse_complex_numIfEEEvi20rocsparse_direction_NS_24const_host_device_scalarIT2_EEPKiS8_PKS5_SA_S6_PS5_21rocsparse_index_base_b,comdat
.Lfunc_end106:
	.size	_ZN9rocsparseL19gebsrmvn_4xn_kernelILj128ELj8ELj16E21rocsparse_complex_numIfEEEvi20rocsparse_direction_NS_24const_host_device_scalarIT2_EEPKiS8_PKS5_SA_S6_PS5_21rocsparse_index_base_b, .Lfunc_end106-_ZN9rocsparseL19gebsrmvn_4xn_kernelILj128ELj8ELj16E21rocsparse_complex_numIfEEEvi20rocsparse_direction_NS_24const_host_device_scalarIT2_EEPKiS8_PKS5_SA_S6_PS5_21rocsparse_index_base_b
                                        ; -- End function
	.set _ZN9rocsparseL19gebsrmvn_4xn_kernelILj128ELj8ELj16E21rocsparse_complex_numIfEEEvi20rocsparse_direction_NS_24const_host_device_scalarIT2_EEPKiS8_PKS5_SA_S6_PS5_21rocsparse_index_base_b.num_vgpr, 100
	.set _ZN9rocsparseL19gebsrmvn_4xn_kernelILj128ELj8ELj16E21rocsparse_complex_numIfEEEvi20rocsparse_direction_NS_24const_host_device_scalarIT2_EEPKiS8_PKS5_SA_S6_PS5_21rocsparse_index_base_b.num_agpr, 0
	.set _ZN9rocsparseL19gebsrmvn_4xn_kernelILj128ELj8ELj16E21rocsparse_complex_numIfEEEvi20rocsparse_direction_NS_24const_host_device_scalarIT2_EEPKiS8_PKS5_SA_S6_PS5_21rocsparse_index_base_b.numbered_sgpr, 14
	.set _ZN9rocsparseL19gebsrmvn_4xn_kernelILj128ELj8ELj16E21rocsparse_complex_numIfEEEvi20rocsparse_direction_NS_24const_host_device_scalarIT2_EEPKiS8_PKS5_SA_S6_PS5_21rocsparse_index_base_b.num_named_barrier, 0
	.set _ZN9rocsparseL19gebsrmvn_4xn_kernelILj128ELj8ELj16E21rocsparse_complex_numIfEEEvi20rocsparse_direction_NS_24const_host_device_scalarIT2_EEPKiS8_PKS5_SA_S6_PS5_21rocsparse_index_base_b.private_seg_size, 0
	.set _ZN9rocsparseL19gebsrmvn_4xn_kernelILj128ELj8ELj16E21rocsparse_complex_numIfEEEvi20rocsparse_direction_NS_24const_host_device_scalarIT2_EEPKiS8_PKS5_SA_S6_PS5_21rocsparse_index_base_b.uses_vcc, 1
	.set _ZN9rocsparseL19gebsrmvn_4xn_kernelILj128ELj8ELj16E21rocsparse_complex_numIfEEEvi20rocsparse_direction_NS_24const_host_device_scalarIT2_EEPKiS8_PKS5_SA_S6_PS5_21rocsparse_index_base_b.uses_flat_scratch, 0
	.set _ZN9rocsparseL19gebsrmvn_4xn_kernelILj128ELj8ELj16E21rocsparse_complex_numIfEEEvi20rocsparse_direction_NS_24const_host_device_scalarIT2_EEPKiS8_PKS5_SA_S6_PS5_21rocsparse_index_base_b.has_dyn_sized_stack, 0
	.set _ZN9rocsparseL19gebsrmvn_4xn_kernelILj128ELj8ELj16E21rocsparse_complex_numIfEEEvi20rocsparse_direction_NS_24const_host_device_scalarIT2_EEPKiS8_PKS5_SA_S6_PS5_21rocsparse_index_base_b.has_recursion, 0
	.set _ZN9rocsparseL19gebsrmvn_4xn_kernelILj128ELj8ELj16E21rocsparse_complex_numIfEEEvi20rocsparse_direction_NS_24const_host_device_scalarIT2_EEPKiS8_PKS5_SA_S6_PS5_21rocsparse_index_base_b.has_indirect_call, 0
	.section	.AMDGPU.csdata,"",@progbits
; Kernel info:
; codeLenInByte = 3912
; TotalNumSgprs: 16
; NumVgprs: 100
; ScratchSize: 0
; MemoryBound: 0
; FloatMode: 240
; IeeeMode: 1
; LDSByteSize: 0 bytes/workgroup (compile time only)
; SGPRBlocks: 0
; VGPRBlocks: 12
; NumSGPRsForWavesPerEU: 16
; NumVGPRsForWavesPerEU: 100
; Occupancy: 12
; WaveLimiterHint : 1
; COMPUTE_PGM_RSRC2:SCRATCH_EN: 0
; COMPUTE_PGM_RSRC2:USER_SGPR: 2
; COMPUTE_PGM_RSRC2:TRAP_HANDLER: 0
; COMPUTE_PGM_RSRC2:TGID_X_EN: 1
; COMPUTE_PGM_RSRC2:TGID_Y_EN: 0
; COMPUTE_PGM_RSRC2:TGID_Z_EN: 0
; COMPUTE_PGM_RSRC2:TIDIG_COMP_CNT: 0
	.section	.text._ZN9rocsparseL19gebsrmvn_4xn_kernelILj128ELj8ELj32E21rocsparse_complex_numIfEEEvi20rocsparse_direction_NS_24const_host_device_scalarIT2_EEPKiS8_PKS5_SA_S6_PS5_21rocsparse_index_base_b,"axG",@progbits,_ZN9rocsparseL19gebsrmvn_4xn_kernelILj128ELj8ELj32E21rocsparse_complex_numIfEEEvi20rocsparse_direction_NS_24const_host_device_scalarIT2_EEPKiS8_PKS5_SA_S6_PS5_21rocsparse_index_base_b,comdat
	.globl	_ZN9rocsparseL19gebsrmvn_4xn_kernelILj128ELj8ELj32E21rocsparse_complex_numIfEEEvi20rocsparse_direction_NS_24const_host_device_scalarIT2_EEPKiS8_PKS5_SA_S6_PS5_21rocsparse_index_base_b ; -- Begin function _ZN9rocsparseL19gebsrmvn_4xn_kernelILj128ELj8ELj32E21rocsparse_complex_numIfEEEvi20rocsparse_direction_NS_24const_host_device_scalarIT2_EEPKiS8_PKS5_SA_S6_PS5_21rocsparse_index_base_b
	.p2align	8
	.type	_ZN9rocsparseL19gebsrmvn_4xn_kernelILj128ELj8ELj32E21rocsparse_complex_numIfEEEvi20rocsparse_direction_NS_24const_host_device_scalarIT2_EEPKiS8_PKS5_SA_S6_PS5_21rocsparse_index_base_b,@function
_ZN9rocsparseL19gebsrmvn_4xn_kernelILj128ELj8ELj32E21rocsparse_complex_numIfEEEvi20rocsparse_direction_NS_24const_host_device_scalarIT2_EEPKiS8_PKS5_SA_S6_PS5_21rocsparse_index_base_b: ; @_ZN9rocsparseL19gebsrmvn_4xn_kernelILj128ELj8ELj32E21rocsparse_complex_numIfEEEvi20rocsparse_direction_NS_24const_host_device_scalarIT2_EEPKiS8_PKS5_SA_S6_PS5_21rocsparse_index_base_b
; %bb.0:
	s_clause 0x2
	s_load_b64 s[12:13], s[0:1], 0x40
	s_load_b64 s[2:3], s[0:1], 0x8
	;; [unrolled: 1-line block ×3, first 2 shown]
	s_add_nc_u64 s[6:7], s[0:1], 8
	s_wait_kmcnt 0x0
	s_bitcmp1_b32 s13, 0
	s_cselect_b32 s2, s6, s2
	s_cselect_b32 s3, s7, s3
	s_delay_alu instid0(SALU_CYCLE_1)
	v_dual_mov_b32 v1, s2 :: v_dual_mov_b32 v2, s3
	s_add_nc_u64 s[2:3], s[0:1], 48
	s_wait_alu 0xfffe
	s_cselect_b32 s2, s2, s4
	s_cselect_b32 s3, s3, s5
	flat_load_b64 v[1:2], v[1:2]
	s_wait_alu 0xfffe
	v_dual_mov_b32 v3, s2 :: v_dual_mov_b32 v4, s3
	flat_load_b64 v[3:4], v[3:4]
	s_wait_loadcnt_dscnt 0x101
	v_cmp_eq_f32_e32 vcc_lo, 0, v1
	v_cmp_eq_f32_e64 s2, 0, v2
	s_and_b32 s4, vcc_lo, s2
	s_mov_b32 s2, -1
	s_and_saveexec_b32 s3, s4
	s_cbranch_execz .LBB107_2
; %bb.1:
	s_wait_loadcnt_dscnt 0x0
	v_cmp_neq_f32_e32 vcc_lo, 1.0, v3
	v_cmp_neq_f32_e64 s2, 0, v4
	s_wait_alu 0xfffe
	s_or_b32 s2, vcc_lo, s2
	s_wait_alu 0xfffe
	s_or_not1_b32 s2, s2, exec_lo
.LBB107_2:
	s_wait_alu 0xfffe
	s_or_b32 exec_lo, exec_lo, s3
	s_and_saveexec_b32 s3, s2
	s_cbranch_execz .LBB107_21
; %bb.3:
	s_load_b64 s[2:3], s[0:1], 0x0
	v_lshrrev_b32_e32 v5, 5, v0
	s_delay_alu instid0(VALU_DEP_1) | instskip(SKIP_1) | instid1(VALU_DEP_1)
	v_lshl_or_b32 v5, ttmp9, 2, v5
	s_wait_kmcnt 0x0
	v_cmp_gt_i32_e32 vcc_lo, s2, v5
	s_and_b32 exec_lo, exec_lo, vcc_lo
	s_cbranch_execz .LBB107_21
; %bb.4:
	s_load_b256 s[4:11], s[0:1], 0x10
	v_ashrrev_i32_e32 v6, 31, v5
	v_and_b32_e32 v0, 31, v0
	s_cmp_lg_u32 s3, 0
	s_delay_alu instid0(VALU_DEP_2) | instskip(SKIP_1) | instid1(VALU_DEP_1)
	v_lshlrev_b64_e32 v[6:7], 2, v[5:6]
	s_wait_kmcnt 0x0
	v_add_co_u32 v6, vcc_lo, s4, v6
	s_delay_alu instid0(VALU_DEP_1) | instskip(SKIP_4) | instid1(VALU_DEP_2)
	v_add_co_ci_u32_e64 v7, null, s5, v7, vcc_lo
	global_load_b64 v[6:7], v[6:7], off
	s_wait_loadcnt 0x0
	v_subrev_nc_u32_e32 v6, s12, v6
	v_subrev_nc_u32_e32 v15, s12, v7
	v_add_nc_u32_e32 v6, v6, v0
	s_delay_alu instid0(VALU_DEP_1)
	v_cmp_lt_i32_e64 s2, v6, v15
	s_cbranch_scc0 .LBB107_10
; %bb.5:
	v_dual_mov_b32 v11, 0 :: v_dual_mov_b32 v18, 0
	v_dual_mov_b32 v16, 0 :: v_dual_mov_b32 v17, 0
	;; [unrolled: 1-line block ×4, first 2 shown]
	s_and_saveexec_b32 s3, s2
	s_cbranch_execz .LBB107_9
; %bb.6:
	v_dual_mov_b32 v8, 0 :: v_dual_lshlrev_b32 v7, 5, v6
	v_mov_b32_e32 v9, v6
	s_mov_b32 s4, 0
	s_delay_alu instid0(VALU_DEP_2)
	v_dual_mov_b32 v11, v8 :: v_dual_mov_b32 v16, v8
	v_mov_b32_e32 v18, v8
	v_dual_mov_b32 v12, v8 :: v_dual_mov_b32 v17, v8
	v_dual_mov_b32 v13, v8 :: v_dual_mov_b32 v14, v8
	v_mov_b32_e32 v19, v8
.LBB107_7:                              ; =>This Inner Loop Header: Depth=1
	v_ashrrev_i32_e32 v10, 31, v9
	s_delay_alu instid0(VALU_DEP_1) | instskip(NEXT) | instid1(VALU_DEP_1)
	v_lshlrev_b64_e32 v[20:21], 2, v[9:10]
	v_add_co_u32 v20, vcc_lo, s6, v20
	s_wait_alu 0xfffd
	s_delay_alu instid0(VALU_DEP_2) | instskip(SKIP_2) | instid1(VALU_DEP_1)
	v_add_co_ci_u32_e64 v21, null, s7, v21, vcc_lo
	global_load_b32 v10, v[20:21], off
	v_lshlrev_b64_e32 v[20:21], 3, v[7:8]
	v_add_co_u32 v96, vcc_lo, s8, v20
	s_wait_alu 0xfffd
	s_delay_alu instid0(VALU_DEP_2)
	v_add_co_ci_u32_e64 v97, null, s9, v21, vcc_lo
	s_clause 0xa
	global_load_b128 v[20:23], v[96:97], off offset:48
	global_load_b128 v[24:27], v[96:97], off offset:32
	;; [unrolled: 1-line block ×3, first 2 shown]
	global_load_b128 v[32:35], v[96:97], off
	global_load_b128 v[36:39], v[96:97], off offset:80
	global_load_b128 v[40:43], v[96:97], off offset:64
	;; [unrolled: 1-line block ×7, first 2 shown]
	s_wait_loadcnt 0xb
	v_subrev_nc_u32_e32 v10, s12, v10
	s_delay_alu instid0(VALU_DEP_1) | instskip(NEXT) | instid1(VALU_DEP_1)
	v_dual_mov_b32 v65, v8 :: v_dual_lshlrev_b32 v64, 3, v10
	v_lshlrev_b64_e32 v[64:65], 3, v[64:65]
	s_delay_alu instid0(VALU_DEP_1) | instskip(SKIP_1) | instid1(VALU_DEP_2)
	v_add_co_u32 v88, vcc_lo, s10, v64
	s_wait_alu 0xfffd
	v_add_co_ci_u32_e64 v89, null, s11, v65, vcc_lo
	s_clause 0x2
	global_load_b128 v[64:67], v[88:89], off
	global_load_b128 v[68:71], v[88:89], off offset:16
	global_load_b128 v[72:75], v[88:89], off offset:32
	s_clause 0x2
	global_load_b128 v[76:79], v[96:97], off offset:176
	global_load_b128 v[80:83], v[96:97], off offset:192
	;; [unrolled: 1-line block ×4, first 2 shown]
	s_clause 0x1
	global_load_b128 v[92:95], v[96:97], off offset:224
	global_load_b128 v[96:99], v[96:97], off offset:240
	v_add_nc_u32_e32 v7, 0x400, v7
	s_wait_loadcnt 0x8
	v_dual_fmac_f32 v14, v35, v64 :: v_dual_add_nc_u32 v9, 32, v9
	v_fmac_f32_e32 v18, v32, v64
	v_fmac_f32_e32 v11, v33, v64
	s_delay_alu instid0(VALU_DEP_3) | instskip(NEXT) | instid1(VALU_DEP_4)
	v_cmp_ge_i32_e32 vcc_lo, v9, v15
	v_fmac_f32_e32 v14, v34, v65
	s_delay_alu instid0(VALU_DEP_4) | instskip(SKIP_2) | instid1(VALU_DEP_4)
	v_fma_f32 v10, -v33, v65, v18
	v_fmac_f32_e32 v19, v34, v64
	v_dual_fmac_f32 v16, v30, v64 :: v_dual_fmac_f32 v11, v32, v65
	v_fmac_f32_e32 v14, v27, v66
	s_delay_alu instid0(VALU_DEP_4) | instskip(NEXT) | instid1(VALU_DEP_4)
	v_fmac_f32_e32 v10, v24, v66
	v_fma_f32 v18, -v35, v65, v19
	v_fmac_f32_e32 v13, v29, v64
	s_delay_alu instid0(VALU_DEP_4) | instskip(SKIP_1) | instid1(VALU_DEP_4)
	v_dual_fmac_f32 v11, v25, v66 :: v_dual_fmac_f32 v14, v26, v67
	v_fma_f32 v16, -v31, v65, v16
	v_fmac_f32_e32 v18, v26, v66
	s_delay_alu instid0(VALU_DEP_4) | instskip(SKIP_2) | instid1(VALU_DEP_3)
	v_dual_fmac_f32 v12, v31, v64 :: v_dual_fmac_f32 v13, v28, v65
	v_fmac_f32_e32 v17, v28, v64
	v_fma_f32 v10, -v25, v67, v10
	v_dual_fmac_f32 v11, v24, v67 :: v_dual_fmac_f32 v12, v30, v65
	s_delay_alu instid0(VALU_DEP_4) | instskip(NEXT) | instid1(VALU_DEP_4)
	v_fmac_f32_e32 v13, v21, v66
	v_fma_f32 v17, -v29, v65, v17
	v_fma_f32 v18, -v27, v67, v18
	s_wait_loadcnt 0x7
	v_fmac_f32_e32 v10, v40, v68
	v_dual_fmac_f32 v12, v23, v66 :: v_dual_fmac_f32 v11, v41, v68
	v_fmac_f32_e32 v17, v20, v66
	v_dual_fmac_f32 v16, v22, v66 :: v_dual_fmac_f32 v13, v20, v67
	s_delay_alu instid0(VALU_DEP_3) | instskip(NEXT) | instid1(VALU_DEP_4)
	v_fmac_f32_e32 v12, v22, v67
	v_dual_fmac_f32 v18, v42, v68 :: v_dual_fmac_f32 v11, v40, v69
	s_delay_alu instid0(VALU_DEP_4) | instskip(NEXT) | instid1(VALU_DEP_4)
	v_fma_f32 v17, -v21, v67, v17
	v_fma_f32 v16, -v23, v67, v16
	s_delay_alu instid0(VALU_DEP_4) | instskip(SKIP_2) | instid1(VALU_DEP_4)
	v_fmac_f32_e32 v12, v39, v68
	v_fmac_f32_e32 v13, v37, v68
	v_fma_f32 v18, -v43, v69, v18
	v_dual_fmac_f32 v11, v45, v70 :: v_dual_fmac_f32 v16, v38, v68
	s_delay_alu instid0(VALU_DEP_4) | instskip(NEXT) | instid1(VALU_DEP_4)
	v_fmac_f32_e32 v12, v38, v69
	v_dual_fmac_f32 v14, v43, v68 :: v_dual_fmac_f32 v13, v36, v69
	v_fmac_f32_e32 v17, v36, v68
	v_fma_f32 v10, -v41, v69, v10
	v_dual_fmac_f32 v18, v46, v70 :: v_dual_fmac_f32 v11, v44, v71
	s_delay_alu instid0(VALU_DEP_4) | instskip(NEXT) | instid1(VALU_DEP_4)
	v_fmac_f32_e32 v14, v42, v69
	v_fma_f32 v17, -v37, v69, v17
	v_fmac_f32_e32 v13, v49, v70
	s_wait_loadcnt 0x6
	v_dual_fmac_f32 v10, v44, v70 :: v_dual_fmac_f32 v11, v61, v72
	v_fmac_f32_e32 v14, v47, v70
	v_fmac_f32_e32 v17, v48, v70
	v_dual_fmac_f32 v13, v48, v71 :: v_dual_fmac_f32 v12, v51, v70
	v_fma_f32 v16, -v39, v69, v16
	v_fma_f32 v10, -v45, v71, v10
	s_delay_alu instid0(VALU_DEP_4) | instskip(NEXT) | instid1(VALU_DEP_4)
	v_fma_f32 v17, -v49, v71, v17
	v_dual_fmac_f32 v13, v57, v72 :: v_dual_fmac_f32 v12, v50, v71
	s_delay_alu instid0(VALU_DEP_4) | instskip(NEXT) | instid1(VALU_DEP_3)
	v_dual_fmac_f32 v11, v60, v73 :: v_dual_fmac_f32 v16, v50, v70
	v_fmac_f32_e32 v17, v56, v72
	v_fma_f32 v18, -v47, v71, v18
	v_fmac_f32_e32 v14, v46, v71
	s_delay_alu instid0(VALU_DEP_4) | instskip(SKIP_1) | instid1(VALU_DEP_4)
	v_dual_fmac_f32 v10, v60, v72 :: v_dual_fmac_f32 v11, v53, v74
	v_fma_f32 v16, -v51, v71, v16
	v_dual_fmac_f32 v18, v62, v72 :: v_dual_fmac_f32 v13, v56, v73
	s_delay_alu instid0(VALU_DEP_3)
	v_dual_fmac_f32 v12, v59, v72 :: v_dual_fmac_f32 v11, v52, v75
	v_fma_f32 v17, -v57, v73, v17
	v_fmac_f32_e32 v14, v63, v72
	s_wait_loadcnt 0x5
	v_dual_fmac_f32 v16, v58, v72 :: v_dual_fmac_f32 v13, v77, v74
	v_fma_f32 v18, -v63, v73, v18
	s_wait_loadcnt 0x2
	v_dual_fmac_f32 v12, v58, v73 :: v_dual_fmac_f32 v11, v81, v88
	v_dual_fmac_f32 v17, v76, v74 :: v_dual_fmac_f32 v14, v62, v73
	v_fmac_f32_e32 v13, v76, v75
	v_fma_f32 v10, -v61, v73, v10
	v_fma_f32 v16, -v59, v73, v16
	s_delay_alu instid0(VALU_DEP_4)
	v_fma_f32 v17, -v77, v75, v17
	v_fmac_f32_e32 v18, v54, v74
	v_dual_fmac_f32 v14, v55, v74 :: v_dual_fmac_f32 v11, v80, v89
	v_dual_fmac_f32 v10, v52, v74 :: v_dual_fmac_f32 v13, v85, v88
	v_fmac_f32_e32 v16, v78, v74
	s_wait_loadcnt 0x1
	s_delay_alu instid0(VALU_DEP_3)
	v_dual_fmac_f32 v14, v54, v75 :: v_dual_fmac_f32 v11, v93, v90
	v_dual_fmac_f32 v12, v79, v74 :: v_dual_fmac_f32 v17, v84, v88
	v_fma_f32 v18, -v55, v75, v18
	v_fma_f32 v10, -v53, v75, v10
	v_fmac_f32_e32 v13, v84, v89
	v_fma_f32 v16, -v79, v75, v16
	v_fma_f32 v17, -v85, v89, v17
	v_dual_fmac_f32 v18, v82, v88 :: v_dual_fmac_f32 v11, v92, v91
	v_fmac_f32_e32 v12, v78, v75
	s_wait_loadcnt 0x0
	s_delay_alu instid0(VALU_DEP_3) | instskip(SKIP_1) | instid1(VALU_DEP_3)
	v_dual_fmac_f32 v16, v86, v88 :: v_dual_fmac_f32 v17, v96, v90
	v_dual_fmac_f32 v13, v97, v90 :: v_dual_fmac_f32 v14, v83, v88
	v_fmac_f32_e32 v12, v87, v88
	v_fma_f32 v19, -v83, v89, v18
	v_fmac_f32_e32 v10, v80, v88
	v_fma_f32 v16, -v87, v89, v16
	v_dual_fmac_f32 v13, v96, v91 :: v_dual_fmac_f32 v14, v82, v89
	v_fmac_f32_e32 v12, v86, v89
	v_fmac_f32_e32 v19, v94, v90
	v_fma_f32 v10, -v81, v89, v10
	v_fmac_f32_e32 v16, v98, v90
	v_fmac_f32_e32 v14, v95, v90
	;; [unrolled: 1-line block ×3, first 2 shown]
	v_fma_f32 v19, -v95, v91, v19
	v_fmac_f32_e32 v10, v92, v90
	v_fma_f32 v17, -v97, v91, v17
	v_fmac_f32_e32 v14, v94, v91
	;; [unrolled: 2-line block ×3, first 2 shown]
	v_fma_f32 v18, -v93, v91, v10
	s_wait_alu 0xfffe
	s_or_b32 s4, vcc_lo, s4
	s_wait_alu 0xfffe
	s_and_not1_b32 exec_lo, exec_lo, s4
	s_cbranch_execnz .LBB107_7
; %bb.8:
	s_or_b32 exec_lo, exec_lo, s4
.LBB107_9:
	s_wait_alu 0xfffe
	s_or_b32 exec_lo, exec_lo, s3
	s_cbranch_execz .LBB107_11
	s_branch .LBB107_16
.LBB107_10:
                                        ; implicit-def: $vgpr11
                                        ; implicit-def: $vgpr18
                                        ; implicit-def: $vgpr16
                                        ; implicit-def: $vgpr12
                                        ; implicit-def: $vgpr17
                                        ; implicit-def: $vgpr13
                                        ; implicit-def: $vgpr19
                                        ; implicit-def: $vgpr14
.LBB107_11:
	v_dual_mov_b32 v11, 0 :: v_dual_mov_b32 v18, 0
	v_dual_mov_b32 v16, 0 :: v_dual_mov_b32 v17, 0
	v_dual_mov_b32 v12, 0 :: v_dual_mov_b32 v13, 0
	v_dual_mov_b32 v19, 0 :: v_dual_mov_b32 v14, 0
	s_and_saveexec_b32 s3, s2
	s_cbranch_execz .LBB107_15
; %bb.12:
	v_dual_mov_b32 v9, 0 :: v_dual_lshlrev_b32 v8, 5, v6
	s_mov_b32 s2, 0
	s_delay_alu instid0(VALU_DEP_1)
	v_dual_mov_b32 v11, v9 :: v_dual_mov_b32 v18, v9
	v_dual_mov_b32 v16, v9 :: v_dual_mov_b32 v17, v9
	;; [unrolled: 1-line block ×4, first 2 shown]
.LBB107_13:                             ; =>This Inner Loop Header: Depth=1
	v_ashrrev_i32_e32 v7, 31, v6
	v_lshlrev_b64_e32 v[20:21], 3, v[8:9]
	v_add_nc_u32_e32 v8, 0x400, v8
	s_delay_alu instid0(VALU_DEP_3) | instskip(SKIP_1) | instid1(VALU_DEP_2)
	v_lshlrev_b64_e32 v[22:23], 2, v[6:7]
	v_add_nc_u32_e32 v6, 32, v6
	v_add_co_u32 v22, vcc_lo, s6, v22
	s_wait_alu 0xfffd
	s_delay_alu instid0(VALU_DEP_3)
	v_add_co_ci_u32_e64 v23, null, s7, v23, vcc_lo
	v_add_co_u32 v80, vcc_lo, s8, v20
	s_wait_alu 0xfffd
	v_add_co_ci_u32_e64 v81, null, s9, v21, vcc_lo
	global_load_b32 v7, v[22:23], off
	s_clause 0xf
	global_load_b128 v[20:23], v[80:81], off offset:16
	global_load_b128 v[24:27], v[80:81], off
	global_load_b128 v[28:31], v[80:81], off offset:80
	global_load_b128 v[32:35], v[80:81], off offset:64
	;; [unrolled: 1-line block ×14, first 2 shown]
	s_wait_loadcnt 0x10
	v_subrev_nc_u32_e32 v7, s12, v7
	s_delay_alu instid0(VALU_DEP_1) | instskip(NEXT) | instid1(VALU_DEP_1)
	v_dual_mov_b32 v85, v9 :: v_dual_lshlrev_b32 v84, 3, v7
	v_lshlrev_b64_e32 v[84:85], 3, v[84:85]
	s_delay_alu instid0(VALU_DEP_1) | instskip(SKIP_1) | instid1(VALU_DEP_2)
	v_add_co_u32 v96, vcc_lo, s10, v84
	s_wait_alu 0xfffd
	v_add_co_ci_u32_e64 v97, null, s11, v85, vcc_lo
	s_clause 0x2
	global_load_b128 v[84:87], v[96:97], off
	global_load_b128 v[88:91], v[96:97], off offset:16
	global_load_b128 v[92:95], v[96:97], off offset:32
	v_cmp_ge_i32_e32 vcc_lo, v6, v15
	s_wait_alu 0xfffe
	s_or_b32 s2, vcc_lo, s2
	s_wait_loadcnt 0x2
	v_fmac_f32_e32 v18, v24, v84
	v_fmac_f32_e32 v11, v25, v84
	;; [unrolled: 1-line block ×5, first 2 shown]
	v_fma_f32 v7, -v25, v85, v18
	v_fmac_f32_e32 v11, v24, v85
	v_fmac_f32_e32 v16, v48, v84
	v_fma_f32 v10, -v33, v85, v19
	s_delay_alu instid0(VALU_DEP_4) | instskip(NEXT) | instid1(VALU_DEP_4)
	v_dual_fmac_f32 v14, v32, v85 :: v_dual_fmac_f32 v7, v26, v86
	v_fmac_f32_e32 v11, v27, v86
	v_fmac_f32_e32 v17, v40, v84
	v_dual_fmac_f32 v12, v49, v84 :: v_dual_fmac_f32 v13, v40, v85
	s_delay_alu instid0(VALU_DEP_4) | instskip(NEXT) | instid1(VALU_DEP_4)
	v_fma_f32 v7, -v27, v87, v7
	v_fmac_f32_e32 v11, v26, v87
	global_load_b128 v[24:27], v[96:97], off offset:48
	v_fmac_f32_e32 v10, v34, v86
	v_fma_f32 v16, -v49, v85, v16
	v_fmac_f32_e32 v14, v35, v86
	v_fma_f32 v17, -v41, v85, v17
	v_dual_fmac_f32 v12, v48, v85 :: v_dual_fmac_f32 v13, v43, v86
	s_wait_loadcnt 0x2
	v_dual_fmac_f32 v16, v50, v86 :: v_dual_fmac_f32 v7, v20, v88
	s_delay_alu instid0(VALU_DEP_3) | instskip(SKIP_3) | instid1(VALU_DEP_4)
	v_fmac_f32_e32 v17, v42, v86
	v_fma_f32 v10, -v35, v87, v10
	v_fmac_f32_e32 v14, v34, v87
	v_dual_fmac_f32 v12, v51, v86 :: v_dual_fmac_f32 v13, v42, v87
	v_fma_f32 v17, -v43, v87, v17
	v_fma_f32 v16, -v51, v87, v16
	s_delay_alu instid0(VALU_DEP_3) | instskip(SKIP_3) | instid1(VALU_DEP_4)
	v_dual_fmac_f32 v11, v21, v88 :: v_dual_fmac_f32 v12, v50, v87
	v_fmac_f32_e32 v14, v29, v88
	v_fma_f32 v7, -v21, v89, v7
	v_fmac_f32_e32 v10, v28, v88
	v_fmac_f32_e32 v11, v20, v89
	s_delay_alu instid0(VALU_DEP_4)
	v_dual_fmac_f32 v13, v37, v88 :: v_dual_fmac_f32 v14, v28, v89
	v_fmac_f32_e32 v16, v44, v88
	v_dual_fmac_f32 v12, v45, v88 :: v_dual_fmac_f32 v7, v22, v90
	v_fma_f32 v10, -v29, v89, v10
	v_fmac_f32_e32 v17, v36, v88
	v_fmac_f32_e32 v13, v36, v89
	v_fmac_f32_e32 v11, v23, v90
	v_fma_f32 v16, -v45, v89, v16
	v_fmac_f32_e32 v10, v30, v90
	v_fma_f32 v17, -v37, v89, v17
	v_fmac_f32_e32 v12, v44, v89
	v_dual_fmac_f32 v14, v31, v90 :: v_dual_fmac_f32 v11, v22, v91
	v_fma_f32 v7, -v23, v91, v7
	s_delay_alu instid0(VALU_DEP_4) | instskip(NEXT) | instid1(VALU_DEP_3)
	v_fmac_f32_e32 v17, v38, v90
	v_dual_fmac_f32 v13, v39, v90 :: v_dual_fmac_f32 v14, v30, v91
	s_wait_loadcnt 0x1
	s_delay_alu instid0(VALU_DEP_3) | instskip(NEXT) | instid1(VALU_DEP_2)
	v_dual_fmac_f32 v16, v46, v90 :: v_dual_fmac_f32 v7, v56, v92
	v_dual_fmac_f32 v12, v47, v90 :: v_dual_fmac_f32 v13, v38, v91
	v_fma_f32 v10, -v31, v91, v10
	v_fma_f32 v17, -v39, v91, v17
	s_delay_alu instid0(VALU_DEP_4) | instskip(NEXT) | instid1(VALU_DEP_4)
	v_fma_f32 v16, -v47, v91, v16
	v_dual_fmac_f32 v12, v46, v91 :: v_dual_fmac_f32 v11, v57, v92
	v_fmac_f32_e32 v14, v65, v92
	v_fma_f32 v7, -v57, v93, v7
	v_fmac_f32_e32 v10, v64, v92
	s_delay_alu instid0(VALU_DEP_4) | instskip(NEXT) | instid1(VALU_DEP_4)
	v_fmac_f32_e32 v11, v56, v93
	v_dual_fmac_f32 v13, v73, v92 :: v_dual_fmac_f32 v14, v64, v93
	v_fmac_f32_e32 v16, v76, v92
	v_dual_fmac_f32 v12, v77, v92 :: v_dual_fmac_f32 v7, v58, v94
	v_fma_f32 v10, -v65, v93, v10
	v_fmac_f32_e32 v17, v72, v92
	v_fmac_f32_e32 v13, v72, v93
	;; [unrolled: 1-line block ×3, first 2 shown]
	v_fma_f32 v16, -v77, v93, v16
	v_fmac_f32_e32 v10, v66, v94
	v_fma_f32 v17, -v73, v93, v17
	v_fmac_f32_e32 v12, v76, v93
	v_dual_fmac_f32 v14, v67, v94 :: v_dual_fmac_f32 v11, v58, v95
	v_fma_f32 v7, -v59, v95, v7
	s_delay_alu instid0(VALU_DEP_4) | instskip(NEXT) | instid1(VALU_DEP_3)
	v_fmac_f32_e32 v17, v74, v94
	v_dual_fmac_f32 v13, v75, v94 :: v_dual_fmac_f32 v14, v66, v95
	v_fmac_f32_e32 v16, v78, v94
	v_fmac_f32_e32 v12, v79, v94
	v_fma_f32 v10, -v67, v95, v10
	v_fma_f32 v17, -v75, v95, v17
	v_fmac_f32_e32 v13, v74, v95
	s_wait_loadcnt 0x0
	v_dual_fmac_f32 v12, v78, v95 :: v_dual_fmac_f32 v11, v53, v24
	v_fmac_f32_e32 v7, v52, v24
	v_fma_f32 v16, -v79, v95, v16
	s_delay_alu instid0(VALU_DEP_3) | instskip(NEXT) | instid1(VALU_DEP_3)
	v_dual_fmac_f32 v14, v61, v24 :: v_dual_fmac_f32 v11, v52, v25
	v_fma_f32 v7, -v53, v25, v7
	v_fmac_f32_e32 v10, v60, v24
	s_delay_alu instid0(VALU_DEP_3) | instskip(NEXT) | instid1(VALU_DEP_4)
	v_dual_fmac_f32 v13, v69, v24 :: v_dual_fmac_f32 v14, v60, v25
	v_dual_fmac_f32 v16, v80, v24 :: v_dual_fmac_f32 v11, v55, v26
	s_delay_alu instid0(VALU_DEP_2)
	v_dual_fmac_f32 v12, v81, v24 :: v_dual_fmac_f32 v13, v68, v25
	v_fmac_f32_e32 v7, v54, v26
	v_fma_f32 v10, -v61, v25, v10
	v_fmac_f32_e32 v17, v68, v24
	v_fma_f32 v16, -v81, v25, v16
	v_dual_fmac_f32 v14, v63, v26 :: v_dual_fmac_f32 v11, v54, v27
	s_delay_alu instid0(VALU_DEP_4) | instskip(NEXT) | instid1(VALU_DEP_4)
	v_fmac_f32_e32 v10, v62, v26
	v_fma_f32 v17, -v69, v25, v17
	v_dual_fmac_f32 v12, v80, v25 :: v_dual_fmac_f32 v13, v71, v26
	s_delay_alu instid0(VALU_DEP_4) | instskip(SKIP_1) | instid1(VALU_DEP_4)
	v_fmac_f32_e32 v14, v62, v27
	v_fmac_f32_e32 v16, v82, v26
	;; [unrolled: 1-line block ×3, first 2 shown]
	s_delay_alu instid0(VALU_DEP_4) | instskip(SKIP_2) | instid1(VALU_DEP_4)
	v_dual_fmac_f32 v12, v83, v26 :: v_dual_fmac_f32 v13, v70, v27
	v_fma_f32 v18, -v55, v27, v7
	v_fma_f32 v19, -v63, v27, v10
	;; [unrolled: 1-line block ×4, first 2 shown]
	v_fmac_f32_e32 v12, v82, v27
	s_wait_alu 0xfffe
	s_and_not1_b32 exec_lo, exec_lo, s2
	s_cbranch_execnz .LBB107_13
; %bb.14:
	s_or_b32 exec_lo, exec_lo, s2
.LBB107_15:
	s_wait_alu 0xfffe
	s_or_b32 exec_lo, exec_lo, s3
.LBB107_16:
	v_mbcnt_lo_u32_b32 v6, -1, 0
	s_delay_alu instid0(VALU_DEP_1) | instskip(SKIP_1) | instid1(VALU_DEP_2)
	v_xor_b32_e32 v7, 16, v6
	v_xor_b32_e32 v23, 8, v6
	v_cmp_gt_i32_e32 vcc_lo, 32, v7
	s_wait_alu 0xfffd
	v_cndmask_b32_e32 v7, v6, v7, vcc_lo
	s_delay_alu instid0(VALU_DEP_3) | instskip(NEXT) | instid1(VALU_DEP_2)
	v_cmp_gt_i32_e32 vcc_lo, 32, v23
	v_lshlrev_b32_e32 v7, 2, v7
	ds_bpermute_b32 v8, v7, v18
	s_wait_dscnt 0x0
	v_add_f32_e32 v8, v18, v8
	ds_bpermute_b32 v9, v7, v11
	ds_bpermute_b32 v15, v7, v14
	;; [unrolled: 1-line block ×7, first 2 shown]
	s_wait_alu 0xfffd
	v_cndmask_b32_e32 v23, v6, v23, vcc_lo
	s_wait_dscnt 0x6
	v_add_f32_e32 v9, v11, v9
	s_wait_dscnt 0x4
	v_dual_add_f32 v11, v14, v15 :: v_dual_add_f32 v14, v17, v20
	s_wait_dscnt 0x3
	v_dual_add_f32 v10, v19, v10 :: v_dual_lshlrev_b32 v23, 2, v23
	s_wait_dscnt 0x0
	v_add_f32_e32 v7, v12, v7
	ds_bpermute_b32 v12, v23, v8
	s_wait_dscnt 0x0
	v_add_f32_e32 v8, v8, v12
	ds_bpermute_b32 v17, v23, v10
	v_add_f32_e32 v15, v16, v22
	v_add_f32_e32 v13, v13, v21
	ds_bpermute_b32 v19, v23, v14
	ds_bpermute_b32 v22, v23, v7
	;; [unrolled: 1-line block ×3, first 2 shown]
	s_wait_dscnt 0x3
	v_add_f32_e32 v10, v10, v17
	ds_bpermute_b32 v21, v23, v15
	s_wait_dscnt 0x3
	v_add_f32_e32 v12, v14, v19
	ds_bpermute_b32 v16, v23, v9
	s_wait_dscnt 0x1
	v_add_f32_e32 v14, v15, v21
	ds_bpermute_b32 v18, v23, v11
	v_xor_b32_e32 v23, 4, v6
	s_wait_dscnt 0x1
	v_add_f32_e32 v9, v9, v16
	s_delay_alu instid0(VALU_DEP_2) | instskip(SKIP_2) | instid1(VALU_DEP_1)
	v_cmp_gt_i32_e32 vcc_lo, 32, v23
	s_wait_alu 0xfffd
	v_cndmask_b32_e32 v23, v6, v23, vcc_lo
	v_lshlrev_b32_e32 v23, 2, v23
	s_wait_dscnt 0x0
	v_add_f32_e32 v11, v11, v18
	ds_bpermute_b32 v16, v23, v9
	ds_bpermute_b32 v21, v23, v14
	;; [unrolled: 1-line block ×3, first 2 shown]
	s_wait_dscnt 0x0
	v_dual_add_f32 v9, v9, v16 :: v_dual_add_f32 v16, v11, v18
	v_add_f32_e32 v18, v14, v21
	ds_bpermute_b32 v15, v23, v8
	v_add_f32_e32 v7, v7, v22
	ds_bpermute_b32 v19, v23, v12
	ds_bpermute_b32 v17, v23, v10
	;; [unrolled: 1-line block ×3, first 2 shown]
	s_wait_dscnt 0x3
	v_dual_add_f32 v8, v8, v15 :: v_dual_add_f32 v13, v13, v20
	s_wait_dscnt 0x1
	v_dual_add_f32 v12, v12, v19 :: v_dual_add_f32 v15, v10, v17
	ds_bpermute_b32 v20, v23, v13
	v_xor_b32_e32 v23, 2, v6
	s_wait_dscnt 0x1
	v_add_f32_e32 v19, v7, v22
	s_delay_alu instid0(VALU_DEP_2) | instskip(SKIP_2) | instid1(VALU_DEP_1)
	v_cmp_gt_i32_e32 vcc_lo, 32, v23
	s_wait_alu 0xfffd
	v_cndmask_b32_e32 v23, v6, v23, vcc_lo
	v_lshlrev_b32_e32 v23, 2, v23
	s_wait_dscnt 0x0
	v_add_f32_e32 v17, v13, v20
	ds_bpermute_b32 v7, v23, v8
	ds_bpermute_b32 v10, v23, v9
	;; [unrolled: 1-line block ×8, first 2 shown]
	v_xor_b32_e32 v23, 1, v6
	s_delay_alu instid0(VALU_DEP_1)
	v_cmp_gt_i32_e32 vcc_lo, 32, v23
	s_wait_alu 0xfffd
	v_cndmask_b32_e32 v6, v6, v23, vcc_lo
	v_cmp_eq_u32_e32 vcc_lo, 31, v0
	s_wait_dscnt 0x5
	v_dual_add_f32 v10, v9, v10 :: v_dual_add_f32 v11, v15, v11
	s_delay_alu instid0(VALU_DEP_3)
	v_dual_add_f32 v6, v8, v7 :: v_dual_lshlrev_b32 v23, 2, v6
	s_wait_dscnt 0x4
	v_add_f32_e32 v13, v16, v13
	s_wait_dscnt 0x2
	v_dual_add_f32 v14, v12, v14 :: v_dual_add_f32 v15, v17, v20
	s_wait_dscnt 0x1
	v_add_f32_e32 v7, v18, v21
	s_wait_dscnt 0x0
	v_add_f32_e32 v9, v19, v22
	ds_bpermute_b32 v8, v23, v6
	ds_bpermute_b32 v12, v23, v10
	;; [unrolled: 1-line block ×8, first 2 shown]
	s_and_b32 exec_lo, exec_lo, vcc_lo
	s_cbranch_execz .LBB107_21
; %bb.17:
	s_load_b64 s[2:3], s[0:1], 0x38
	v_cmp_eq_f32_e32 vcc_lo, 0, v3
	v_cmp_eq_f32_e64 s0, 0, v4
	s_wait_dscnt 0x7
	v_add_f32_e32 v8, v6, v8
	s_wait_dscnt 0x0
	v_dual_add_f32 v12, v10, v12 :: v_dual_add_f32 v9, v9, v17
	v_dual_add_f32 v0, v11, v18 :: v_dual_add_f32 v11, v13, v19
	v_add_f32_e32 v6, v14, v20
	v_add_f32_e32 v10, v15, v21
	;; [unrolled: 1-line block ×3, first 2 shown]
	s_and_b32 s0, vcc_lo, s0
	s_wait_alu 0xfffe
	s_and_saveexec_b32 s1, s0
	s_wait_alu 0xfffe
	s_xor_b32 s0, exec_lo, s1
	s_cbranch_execz .LBB107_19
; %bb.18:
	v_dual_mul_f32 v14, v1, v12 :: v_dual_lshlrev_b32 v3, 2, v5
	v_mul_f32_e64 v13, v12, -v2
	v_mul_f32_e64 v15, v11, -v2
	v_mul_f32_e32 v16, v1, v11
	s_delay_alu instid0(VALU_DEP_4)
	v_ashrrev_i32_e32 v4, 31, v3
	v_mul_f32_e64 v17, v10, -v2
	v_mul_f32_e32 v18, v1, v10
	v_mul_f32_e64 v19, v9, -v2
	v_mul_f32_e32 v20, v1, v9
	v_lshlrev_b64_e32 v[3:4], 3, v[3:4]
	s_delay_alu instid0(VALU_DEP_4) | instskip(SKIP_1) | instid1(VALU_DEP_4)
	v_dual_fmac_f32 v13, v1, v8 :: v_dual_fmac_f32 v18, v2, v6
	v_dual_fmac_f32 v14, v2, v8 :: v_dual_fmac_f32 v17, v1, v6
	;; [unrolled: 1-line block ×3, first 2 shown]
	s_wait_kmcnt 0x0
	s_delay_alu instid0(VALU_DEP_4)
	v_add_co_u32 v3, vcc_lo, s2, v3
	s_wait_alu 0xfffd
	v_add_co_ci_u32_e64 v4, null, s3, v4, vcc_lo
	v_dual_fmac_f32 v16, v2, v0 :: v_dual_fmac_f32 v19, v1, v7
	s_clause 0x1
	global_store_b128 v[3:4], v[13:16], off
	global_store_b128 v[3:4], v[17:20], off offset:16
                                        ; implicit-def: $vgpr5
                                        ; implicit-def: $vgpr8
                                        ; implicit-def: $vgpr12
                                        ; implicit-def: $vgpr0
                                        ; implicit-def: $vgpr11
                                        ; implicit-def: $vgpr6
                                        ; implicit-def: $vgpr10
                                        ; implicit-def: $vgpr7
                                        ; implicit-def: $vgpr9
                                        ; implicit-def: $vgpr1_vgpr2
                                        ; implicit-def: $vgpr3_vgpr4
.LBB107_19:
	s_wait_alu 0xfffe
	s_and_not1_saveexec_b32 s0, s0
	s_cbranch_execz .LBB107_21
; %bb.20:
	v_dual_mul_f32 v22, v1, v12 :: v_dual_lshlrev_b32 v13, 2, v5
	v_mul_f32_e64 v5, v12, -v2
	v_mul_f32_e64 v23, v11, -v2
	;; [unrolled: 1-line block ×3, first 2 shown]
	s_delay_alu instid0(VALU_DEP_4) | instskip(NEXT) | instid1(VALU_DEP_4)
	v_ashrrev_i32_e32 v14, 31, v13
	v_fmac_f32_e32 v5, v1, v8
	s_delay_alu instid0(VALU_DEP_2) | instskip(SKIP_1) | instid1(VALU_DEP_1)
	v_lshlrev_b64_e32 v[13:14], 3, v[13:14]
	s_wait_kmcnt 0x0
	v_add_co_u32 v25, vcc_lo, s2, v13
	s_wait_alu 0xfffd
	s_delay_alu instid0(VALU_DEP_2)
	v_add_co_ci_u32_e64 v26, null, s3, v14, vcc_lo
	s_clause 0x1
	global_load_b128 v[13:16], v[25:26], off
	global_load_b128 v[17:20], v[25:26], off offset:16
	v_mul_f32_e32 v24, v1, v11
	v_mul_f32_e64 v11, v10, -v2
	s_delay_alu instid0(VALU_DEP_1) | instskip(SKIP_1) | instid1(VALU_DEP_1)
	v_dual_fmac_f32 v22, v2, v8 :: v_dual_fmac_f32 v11, v1, v6
	s_wait_loadcnt 0x1
	v_dual_fmac_f32 v27, v1, v7 :: v_dual_fmac_f32 v22, v4, v13
	s_wait_loadcnt 0x0
	s_delay_alu instid0(VALU_DEP_1) | instskip(SKIP_3) | instid1(VALU_DEP_4)
	v_dual_mul_f32 v12, v1, v9 :: v_dual_fmac_f32 v27, v3, v19
	v_fmac_f32_e32 v23, v1, v0
	v_fmac_f32_e32 v11, v3, v17
	;; [unrolled: 1-line block ×4, first 2 shown]
	s_delay_alu instid0(VALU_DEP_4) | instskip(NEXT) | instid1(VALU_DEP_4)
	v_dual_mul_f32 v10, v1, v10 :: v_dual_fmac_f32 v23, v3, v15
	v_fma_f32 v9, -v4, v18, v11
	v_fma_f32 v11, -v4, v20, v27
	s_delay_alu instid0(VALU_DEP_4) | instskip(NEXT) | instid1(VALU_DEP_4)
	v_fmac_f32_e32 v12, v4, v19
	v_dual_fmac_f32 v10, v2, v6 :: v_dual_fmac_f32 v5, v3, v13
	v_fmac_f32_e32 v24, v2, v0
	v_fma_f32 v23, -v4, v16, v23
	s_delay_alu instid0(VALU_DEP_4) | instskip(NEXT) | instid1(VALU_DEP_4)
	v_fmac_f32_e32 v12, v3, v20
	v_fmac_f32_e32 v10, v4, v17
	v_fma_f32 v21, -v4, v14, v5
	v_fmac_f32_e32 v24, v4, v15
	s_delay_alu instid0(VALU_DEP_3) | instskip(NEXT) | instid1(VALU_DEP_2)
	v_fmac_f32_e32 v10, v3, v18
	v_fmac_f32_e32 v24, v3, v16
	s_clause 0x1
	global_store_b128 v[25:26], v[21:24], off
	global_store_b128 v[25:26], v[9:12], off offset:16
.LBB107_21:
	s_nop 0
	s_sendmsg sendmsg(MSG_DEALLOC_VGPRS)
	s_endpgm
	.section	.rodata,"a",@progbits
	.p2align	6, 0x0
	.amdhsa_kernel _ZN9rocsparseL19gebsrmvn_4xn_kernelILj128ELj8ELj32E21rocsparse_complex_numIfEEEvi20rocsparse_direction_NS_24const_host_device_scalarIT2_EEPKiS8_PKS5_SA_S6_PS5_21rocsparse_index_base_b
		.amdhsa_group_segment_fixed_size 0
		.amdhsa_private_segment_fixed_size 0
		.amdhsa_kernarg_size 72
		.amdhsa_user_sgpr_count 2
		.amdhsa_user_sgpr_dispatch_ptr 0
		.amdhsa_user_sgpr_queue_ptr 0
		.amdhsa_user_sgpr_kernarg_segment_ptr 1
		.amdhsa_user_sgpr_dispatch_id 0
		.amdhsa_user_sgpr_private_segment_size 0
		.amdhsa_wavefront_size32 1
		.amdhsa_uses_dynamic_stack 0
		.amdhsa_enable_private_segment 0
		.amdhsa_system_sgpr_workgroup_id_x 1
		.amdhsa_system_sgpr_workgroup_id_y 0
		.amdhsa_system_sgpr_workgroup_id_z 0
		.amdhsa_system_sgpr_workgroup_info 0
		.amdhsa_system_vgpr_workitem_id 0
		.amdhsa_next_free_vgpr 100
		.amdhsa_next_free_sgpr 14
		.amdhsa_reserve_vcc 1
		.amdhsa_float_round_mode_32 0
		.amdhsa_float_round_mode_16_64 0
		.amdhsa_float_denorm_mode_32 3
		.amdhsa_float_denorm_mode_16_64 3
		.amdhsa_fp16_overflow 0
		.amdhsa_workgroup_processor_mode 1
		.amdhsa_memory_ordered 1
		.amdhsa_forward_progress 1
		.amdhsa_inst_pref_size 32
		.amdhsa_round_robin_scheduling 0
		.amdhsa_exception_fp_ieee_invalid_op 0
		.amdhsa_exception_fp_denorm_src 0
		.amdhsa_exception_fp_ieee_div_zero 0
		.amdhsa_exception_fp_ieee_overflow 0
		.amdhsa_exception_fp_ieee_underflow 0
		.amdhsa_exception_fp_ieee_inexact 0
		.amdhsa_exception_int_div_zero 0
	.end_amdhsa_kernel
	.section	.text._ZN9rocsparseL19gebsrmvn_4xn_kernelILj128ELj8ELj32E21rocsparse_complex_numIfEEEvi20rocsparse_direction_NS_24const_host_device_scalarIT2_EEPKiS8_PKS5_SA_S6_PS5_21rocsparse_index_base_b,"axG",@progbits,_ZN9rocsparseL19gebsrmvn_4xn_kernelILj128ELj8ELj32E21rocsparse_complex_numIfEEEvi20rocsparse_direction_NS_24const_host_device_scalarIT2_EEPKiS8_PKS5_SA_S6_PS5_21rocsparse_index_base_b,comdat
.Lfunc_end107:
	.size	_ZN9rocsparseL19gebsrmvn_4xn_kernelILj128ELj8ELj32E21rocsparse_complex_numIfEEEvi20rocsparse_direction_NS_24const_host_device_scalarIT2_EEPKiS8_PKS5_SA_S6_PS5_21rocsparse_index_base_b, .Lfunc_end107-_ZN9rocsparseL19gebsrmvn_4xn_kernelILj128ELj8ELj32E21rocsparse_complex_numIfEEEvi20rocsparse_direction_NS_24const_host_device_scalarIT2_EEPKiS8_PKS5_SA_S6_PS5_21rocsparse_index_base_b
                                        ; -- End function
	.set _ZN9rocsparseL19gebsrmvn_4xn_kernelILj128ELj8ELj32E21rocsparse_complex_numIfEEEvi20rocsparse_direction_NS_24const_host_device_scalarIT2_EEPKiS8_PKS5_SA_S6_PS5_21rocsparse_index_base_b.num_vgpr, 100
	.set _ZN9rocsparseL19gebsrmvn_4xn_kernelILj128ELj8ELj32E21rocsparse_complex_numIfEEEvi20rocsparse_direction_NS_24const_host_device_scalarIT2_EEPKiS8_PKS5_SA_S6_PS5_21rocsparse_index_base_b.num_agpr, 0
	.set _ZN9rocsparseL19gebsrmvn_4xn_kernelILj128ELj8ELj32E21rocsparse_complex_numIfEEEvi20rocsparse_direction_NS_24const_host_device_scalarIT2_EEPKiS8_PKS5_SA_S6_PS5_21rocsparse_index_base_b.numbered_sgpr, 14
	.set _ZN9rocsparseL19gebsrmvn_4xn_kernelILj128ELj8ELj32E21rocsparse_complex_numIfEEEvi20rocsparse_direction_NS_24const_host_device_scalarIT2_EEPKiS8_PKS5_SA_S6_PS5_21rocsparse_index_base_b.num_named_barrier, 0
	.set _ZN9rocsparseL19gebsrmvn_4xn_kernelILj128ELj8ELj32E21rocsparse_complex_numIfEEEvi20rocsparse_direction_NS_24const_host_device_scalarIT2_EEPKiS8_PKS5_SA_S6_PS5_21rocsparse_index_base_b.private_seg_size, 0
	.set _ZN9rocsparseL19gebsrmvn_4xn_kernelILj128ELj8ELj32E21rocsparse_complex_numIfEEEvi20rocsparse_direction_NS_24const_host_device_scalarIT2_EEPKiS8_PKS5_SA_S6_PS5_21rocsparse_index_base_b.uses_vcc, 1
	.set _ZN9rocsparseL19gebsrmvn_4xn_kernelILj128ELj8ELj32E21rocsparse_complex_numIfEEEvi20rocsparse_direction_NS_24const_host_device_scalarIT2_EEPKiS8_PKS5_SA_S6_PS5_21rocsparse_index_base_b.uses_flat_scratch, 0
	.set _ZN9rocsparseL19gebsrmvn_4xn_kernelILj128ELj8ELj32E21rocsparse_complex_numIfEEEvi20rocsparse_direction_NS_24const_host_device_scalarIT2_EEPKiS8_PKS5_SA_S6_PS5_21rocsparse_index_base_b.has_dyn_sized_stack, 0
	.set _ZN9rocsparseL19gebsrmvn_4xn_kernelILj128ELj8ELj32E21rocsparse_complex_numIfEEEvi20rocsparse_direction_NS_24const_host_device_scalarIT2_EEPKiS8_PKS5_SA_S6_PS5_21rocsparse_index_base_b.has_recursion, 0
	.set _ZN9rocsparseL19gebsrmvn_4xn_kernelILj128ELj8ELj32E21rocsparse_complex_numIfEEEvi20rocsparse_direction_NS_24const_host_device_scalarIT2_EEPKiS8_PKS5_SA_S6_PS5_21rocsparse_index_base_b.has_indirect_call, 0
	.section	.AMDGPU.csdata,"",@progbits
; Kernel info:
; codeLenInByte = 4056
; TotalNumSgprs: 16
; NumVgprs: 100
; ScratchSize: 0
; MemoryBound: 0
; FloatMode: 240
; IeeeMode: 1
; LDSByteSize: 0 bytes/workgroup (compile time only)
; SGPRBlocks: 0
; VGPRBlocks: 12
; NumSGPRsForWavesPerEU: 16
; NumVGPRsForWavesPerEU: 100
; Occupancy: 12
; WaveLimiterHint : 1
; COMPUTE_PGM_RSRC2:SCRATCH_EN: 0
; COMPUTE_PGM_RSRC2:USER_SGPR: 2
; COMPUTE_PGM_RSRC2:TRAP_HANDLER: 0
; COMPUTE_PGM_RSRC2:TGID_X_EN: 1
; COMPUTE_PGM_RSRC2:TGID_Y_EN: 0
; COMPUTE_PGM_RSRC2:TGID_Z_EN: 0
; COMPUTE_PGM_RSRC2:TIDIG_COMP_CNT: 0
	.section	.text._ZN9rocsparseL19gebsrmvn_4xn_kernelILj128ELj8ELj64E21rocsparse_complex_numIfEEEvi20rocsparse_direction_NS_24const_host_device_scalarIT2_EEPKiS8_PKS5_SA_S6_PS5_21rocsparse_index_base_b,"axG",@progbits,_ZN9rocsparseL19gebsrmvn_4xn_kernelILj128ELj8ELj64E21rocsparse_complex_numIfEEEvi20rocsparse_direction_NS_24const_host_device_scalarIT2_EEPKiS8_PKS5_SA_S6_PS5_21rocsparse_index_base_b,comdat
	.globl	_ZN9rocsparseL19gebsrmvn_4xn_kernelILj128ELj8ELj64E21rocsparse_complex_numIfEEEvi20rocsparse_direction_NS_24const_host_device_scalarIT2_EEPKiS8_PKS5_SA_S6_PS5_21rocsparse_index_base_b ; -- Begin function _ZN9rocsparseL19gebsrmvn_4xn_kernelILj128ELj8ELj64E21rocsparse_complex_numIfEEEvi20rocsparse_direction_NS_24const_host_device_scalarIT2_EEPKiS8_PKS5_SA_S6_PS5_21rocsparse_index_base_b
	.p2align	8
	.type	_ZN9rocsparseL19gebsrmvn_4xn_kernelILj128ELj8ELj64E21rocsparse_complex_numIfEEEvi20rocsparse_direction_NS_24const_host_device_scalarIT2_EEPKiS8_PKS5_SA_S6_PS5_21rocsparse_index_base_b,@function
_ZN9rocsparseL19gebsrmvn_4xn_kernelILj128ELj8ELj64E21rocsparse_complex_numIfEEEvi20rocsparse_direction_NS_24const_host_device_scalarIT2_EEPKiS8_PKS5_SA_S6_PS5_21rocsparse_index_base_b: ; @_ZN9rocsparseL19gebsrmvn_4xn_kernelILj128ELj8ELj64E21rocsparse_complex_numIfEEEvi20rocsparse_direction_NS_24const_host_device_scalarIT2_EEPKiS8_PKS5_SA_S6_PS5_21rocsparse_index_base_b
; %bb.0:
	s_clause 0x2
	s_load_b64 s[12:13], s[0:1], 0x40
	s_load_b64 s[2:3], s[0:1], 0x8
	;; [unrolled: 1-line block ×3, first 2 shown]
	s_add_nc_u64 s[6:7], s[0:1], 8
	s_wait_kmcnt 0x0
	s_bitcmp1_b32 s13, 0
	s_cselect_b32 s2, s6, s2
	s_cselect_b32 s3, s7, s3
	s_delay_alu instid0(SALU_CYCLE_1)
	v_dual_mov_b32 v1, s2 :: v_dual_mov_b32 v2, s3
	s_add_nc_u64 s[2:3], s[0:1], 48
	s_wait_alu 0xfffe
	s_cselect_b32 s2, s2, s4
	s_cselect_b32 s3, s3, s5
	flat_load_b64 v[1:2], v[1:2]
	s_wait_alu 0xfffe
	v_dual_mov_b32 v3, s2 :: v_dual_mov_b32 v4, s3
	flat_load_b64 v[3:4], v[3:4]
	s_wait_loadcnt_dscnt 0x101
	v_cmp_eq_f32_e32 vcc_lo, 0, v1
	v_cmp_eq_f32_e64 s2, 0, v2
	s_and_b32 s4, vcc_lo, s2
	s_mov_b32 s2, -1
	s_and_saveexec_b32 s3, s4
	s_cbranch_execz .LBB108_2
; %bb.1:
	s_wait_loadcnt_dscnt 0x0
	v_cmp_neq_f32_e32 vcc_lo, 1.0, v3
	v_cmp_neq_f32_e64 s2, 0, v4
	s_wait_alu 0xfffe
	s_or_b32 s2, vcc_lo, s2
	s_wait_alu 0xfffe
	s_or_not1_b32 s2, s2, exec_lo
.LBB108_2:
	s_wait_alu 0xfffe
	s_or_b32 exec_lo, exec_lo, s3
	s_and_saveexec_b32 s3, s2
	s_cbranch_execz .LBB108_21
; %bb.3:
	s_load_b64 s[2:3], s[0:1], 0x0
	v_lshrrev_b32_e32 v5, 6, v0
	s_delay_alu instid0(VALU_DEP_1) | instskip(SKIP_1) | instid1(VALU_DEP_1)
	v_lshl_or_b32 v5, ttmp9, 1, v5
	s_wait_kmcnt 0x0
	v_cmp_gt_i32_e32 vcc_lo, s2, v5
	s_and_b32 exec_lo, exec_lo, vcc_lo
	s_cbranch_execz .LBB108_21
; %bb.4:
	s_load_b256 s[4:11], s[0:1], 0x10
	v_ashrrev_i32_e32 v6, 31, v5
	v_and_b32_e32 v0, 63, v0
	s_cmp_lg_u32 s3, 0
	s_delay_alu instid0(VALU_DEP_2) | instskip(SKIP_1) | instid1(VALU_DEP_1)
	v_lshlrev_b64_e32 v[6:7], 2, v[5:6]
	s_wait_kmcnt 0x0
	v_add_co_u32 v6, vcc_lo, s4, v6
	s_delay_alu instid0(VALU_DEP_1) | instskip(SKIP_4) | instid1(VALU_DEP_2)
	v_add_co_ci_u32_e64 v7, null, s5, v7, vcc_lo
	global_load_b64 v[6:7], v[6:7], off
	s_wait_loadcnt 0x0
	v_subrev_nc_u32_e32 v6, s12, v6
	v_subrev_nc_u32_e32 v15, s12, v7
	v_add_nc_u32_e32 v6, v6, v0
	s_delay_alu instid0(VALU_DEP_1)
	v_cmp_lt_i32_e64 s2, v6, v15
	s_cbranch_scc0 .LBB108_10
; %bb.5:
	v_dual_mov_b32 v11, 0 :: v_dual_mov_b32 v18, 0
	v_dual_mov_b32 v16, 0 :: v_dual_mov_b32 v17, 0
	;; [unrolled: 1-line block ×4, first 2 shown]
	s_and_saveexec_b32 s3, s2
	s_cbranch_execz .LBB108_9
; %bb.6:
	v_dual_mov_b32 v8, 0 :: v_dual_lshlrev_b32 v7, 5, v6
	v_mov_b32_e32 v9, v6
	s_mov_b32 s4, 0
	s_delay_alu instid0(VALU_DEP_2)
	v_dual_mov_b32 v11, v8 :: v_dual_mov_b32 v16, v8
	v_mov_b32_e32 v18, v8
	v_dual_mov_b32 v12, v8 :: v_dual_mov_b32 v17, v8
	v_dual_mov_b32 v13, v8 :: v_dual_mov_b32 v14, v8
	v_mov_b32_e32 v19, v8
.LBB108_7:                              ; =>This Inner Loop Header: Depth=1
	v_ashrrev_i32_e32 v10, 31, v9
	s_delay_alu instid0(VALU_DEP_1) | instskip(NEXT) | instid1(VALU_DEP_1)
	v_lshlrev_b64_e32 v[20:21], 2, v[9:10]
	v_add_co_u32 v20, vcc_lo, s6, v20
	s_wait_alu 0xfffd
	s_delay_alu instid0(VALU_DEP_2) | instskip(SKIP_2) | instid1(VALU_DEP_1)
	v_add_co_ci_u32_e64 v21, null, s7, v21, vcc_lo
	global_load_b32 v10, v[20:21], off
	v_lshlrev_b64_e32 v[20:21], 3, v[7:8]
	v_add_co_u32 v96, vcc_lo, s8, v20
	s_wait_alu 0xfffd
	s_delay_alu instid0(VALU_DEP_2)
	v_add_co_ci_u32_e64 v97, null, s9, v21, vcc_lo
	s_clause 0xa
	global_load_b128 v[20:23], v[96:97], off offset:48
	global_load_b128 v[24:27], v[96:97], off offset:32
	;; [unrolled: 1-line block ×3, first 2 shown]
	global_load_b128 v[32:35], v[96:97], off
	global_load_b128 v[36:39], v[96:97], off offset:80
	global_load_b128 v[40:43], v[96:97], off offset:64
	;; [unrolled: 1-line block ×7, first 2 shown]
	s_wait_loadcnt 0xb
	v_subrev_nc_u32_e32 v10, s12, v10
	s_delay_alu instid0(VALU_DEP_1) | instskip(NEXT) | instid1(VALU_DEP_1)
	v_dual_mov_b32 v65, v8 :: v_dual_lshlrev_b32 v64, 3, v10
	v_lshlrev_b64_e32 v[64:65], 3, v[64:65]
	s_delay_alu instid0(VALU_DEP_1) | instskip(SKIP_1) | instid1(VALU_DEP_2)
	v_add_co_u32 v88, vcc_lo, s10, v64
	s_wait_alu 0xfffd
	v_add_co_ci_u32_e64 v89, null, s11, v65, vcc_lo
	s_clause 0x2
	global_load_b128 v[64:67], v[88:89], off
	global_load_b128 v[68:71], v[88:89], off offset:16
	global_load_b128 v[72:75], v[88:89], off offset:32
	s_clause 0x2
	global_load_b128 v[76:79], v[96:97], off offset:176
	global_load_b128 v[80:83], v[96:97], off offset:192
	global_load_b128 v[84:87], v[96:97], off offset:208
	global_load_b128 v[88:91], v[88:89], off offset:48
	s_clause 0x1
	global_load_b128 v[92:95], v[96:97], off offset:224
	global_load_b128 v[96:99], v[96:97], off offset:240
	v_add_nc_u32_e32 v7, 0x800, v7
	s_wait_loadcnt 0x8
	v_dual_fmac_f32 v14, v35, v64 :: v_dual_add_nc_u32 v9, 64, v9
	v_fmac_f32_e32 v18, v32, v64
	v_fmac_f32_e32 v11, v33, v64
	s_delay_alu instid0(VALU_DEP_3) | instskip(NEXT) | instid1(VALU_DEP_4)
	v_cmp_ge_i32_e32 vcc_lo, v9, v15
	v_fmac_f32_e32 v14, v34, v65
	s_delay_alu instid0(VALU_DEP_4) | instskip(SKIP_2) | instid1(VALU_DEP_4)
	v_fma_f32 v10, -v33, v65, v18
	v_fmac_f32_e32 v19, v34, v64
	v_dual_fmac_f32 v16, v30, v64 :: v_dual_fmac_f32 v11, v32, v65
	v_fmac_f32_e32 v14, v27, v66
	s_delay_alu instid0(VALU_DEP_4) | instskip(NEXT) | instid1(VALU_DEP_4)
	v_fmac_f32_e32 v10, v24, v66
	v_fma_f32 v18, -v35, v65, v19
	v_fmac_f32_e32 v13, v29, v64
	s_delay_alu instid0(VALU_DEP_4) | instskip(SKIP_1) | instid1(VALU_DEP_4)
	v_dual_fmac_f32 v11, v25, v66 :: v_dual_fmac_f32 v14, v26, v67
	v_fma_f32 v16, -v31, v65, v16
	v_fmac_f32_e32 v18, v26, v66
	s_delay_alu instid0(VALU_DEP_4) | instskip(SKIP_2) | instid1(VALU_DEP_3)
	v_dual_fmac_f32 v12, v31, v64 :: v_dual_fmac_f32 v13, v28, v65
	v_fmac_f32_e32 v17, v28, v64
	v_fma_f32 v10, -v25, v67, v10
	v_dual_fmac_f32 v11, v24, v67 :: v_dual_fmac_f32 v12, v30, v65
	s_delay_alu instid0(VALU_DEP_4) | instskip(NEXT) | instid1(VALU_DEP_4)
	v_fmac_f32_e32 v13, v21, v66
	v_fma_f32 v17, -v29, v65, v17
	v_fma_f32 v18, -v27, v67, v18
	s_wait_loadcnt 0x7
	v_fmac_f32_e32 v10, v40, v68
	v_dual_fmac_f32 v12, v23, v66 :: v_dual_fmac_f32 v11, v41, v68
	v_fmac_f32_e32 v17, v20, v66
	v_dual_fmac_f32 v16, v22, v66 :: v_dual_fmac_f32 v13, v20, v67
	s_delay_alu instid0(VALU_DEP_3) | instskip(NEXT) | instid1(VALU_DEP_4)
	v_fmac_f32_e32 v12, v22, v67
	v_dual_fmac_f32 v18, v42, v68 :: v_dual_fmac_f32 v11, v40, v69
	s_delay_alu instid0(VALU_DEP_4) | instskip(NEXT) | instid1(VALU_DEP_4)
	v_fma_f32 v17, -v21, v67, v17
	v_fma_f32 v16, -v23, v67, v16
	s_delay_alu instid0(VALU_DEP_4) | instskip(SKIP_2) | instid1(VALU_DEP_4)
	v_fmac_f32_e32 v12, v39, v68
	v_fmac_f32_e32 v13, v37, v68
	v_fma_f32 v18, -v43, v69, v18
	v_dual_fmac_f32 v11, v45, v70 :: v_dual_fmac_f32 v16, v38, v68
	s_delay_alu instid0(VALU_DEP_4) | instskip(NEXT) | instid1(VALU_DEP_4)
	v_fmac_f32_e32 v12, v38, v69
	v_dual_fmac_f32 v14, v43, v68 :: v_dual_fmac_f32 v13, v36, v69
	v_fmac_f32_e32 v17, v36, v68
	v_fma_f32 v10, -v41, v69, v10
	v_dual_fmac_f32 v18, v46, v70 :: v_dual_fmac_f32 v11, v44, v71
	s_delay_alu instid0(VALU_DEP_4) | instskip(NEXT) | instid1(VALU_DEP_4)
	v_fmac_f32_e32 v14, v42, v69
	v_fma_f32 v17, -v37, v69, v17
	v_fmac_f32_e32 v13, v49, v70
	s_wait_loadcnt 0x6
	v_dual_fmac_f32 v10, v44, v70 :: v_dual_fmac_f32 v11, v61, v72
	v_fmac_f32_e32 v14, v47, v70
	v_fmac_f32_e32 v17, v48, v70
	v_dual_fmac_f32 v13, v48, v71 :: v_dual_fmac_f32 v12, v51, v70
	v_fma_f32 v16, -v39, v69, v16
	v_fma_f32 v10, -v45, v71, v10
	s_delay_alu instid0(VALU_DEP_4) | instskip(NEXT) | instid1(VALU_DEP_4)
	v_fma_f32 v17, -v49, v71, v17
	v_dual_fmac_f32 v13, v57, v72 :: v_dual_fmac_f32 v12, v50, v71
	s_delay_alu instid0(VALU_DEP_4) | instskip(NEXT) | instid1(VALU_DEP_3)
	v_dual_fmac_f32 v11, v60, v73 :: v_dual_fmac_f32 v16, v50, v70
	v_fmac_f32_e32 v17, v56, v72
	v_fma_f32 v18, -v47, v71, v18
	v_fmac_f32_e32 v14, v46, v71
	s_delay_alu instid0(VALU_DEP_4) | instskip(SKIP_1) | instid1(VALU_DEP_4)
	v_dual_fmac_f32 v10, v60, v72 :: v_dual_fmac_f32 v11, v53, v74
	v_fma_f32 v16, -v51, v71, v16
	v_dual_fmac_f32 v18, v62, v72 :: v_dual_fmac_f32 v13, v56, v73
	s_delay_alu instid0(VALU_DEP_3)
	v_dual_fmac_f32 v12, v59, v72 :: v_dual_fmac_f32 v11, v52, v75
	v_fma_f32 v17, -v57, v73, v17
	v_fmac_f32_e32 v14, v63, v72
	s_wait_loadcnt 0x5
	v_dual_fmac_f32 v16, v58, v72 :: v_dual_fmac_f32 v13, v77, v74
	v_fma_f32 v18, -v63, v73, v18
	s_wait_loadcnt 0x2
	v_dual_fmac_f32 v12, v58, v73 :: v_dual_fmac_f32 v11, v81, v88
	v_dual_fmac_f32 v17, v76, v74 :: v_dual_fmac_f32 v14, v62, v73
	v_fmac_f32_e32 v13, v76, v75
	v_fma_f32 v10, -v61, v73, v10
	v_fma_f32 v16, -v59, v73, v16
	s_delay_alu instid0(VALU_DEP_4)
	v_fma_f32 v17, -v77, v75, v17
	v_fmac_f32_e32 v18, v54, v74
	v_dual_fmac_f32 v14, v55, v74 :: v_dual_fmac_f32 v11, v80, v89
	v_dual_fmac_f32 v10, v52, v74 :: v_dual_fmac_f32 v13, v85, v88
	v_fmac_f32_e32 v16, v78, v74
	s_wait_loadcnt 0x1
	s_delay_alu instid0(VALU_DEP_3)
	v_dual_fmac_f32 v14, v54, v75 :: v_dual_fmac_f32 v11, v93, v90
	v_dual_fmac_f32 v12, v79, v74 :: v_dual_fmac_f32 v17, v84, v88
	v_fma_f32 v18, -v55, v75, v18
	v_fma_f32 v10, -v53, v75, v10
	v_fmac_f32_e32 v13, v84, v89
	v_fma_f32 v16, -v79, v75, v16
	v_fma_f32 v17, -v85, v89, v17
	v_dual_fmac_f32 v18, v82, v88 :: v_dual_fmac_f32 v11, v92, v91
	v_fmac_f32_e32 v12, v78, v75
	s_wait_loadcnt 0x0
	s_delay_alu instid0(VALU_DEP_3) | instskip(SKIP_1) | instid1(VALU_DEP_3)
	v_dual_fmac_f32 v16, v86, v88 :: v_dual_fmac_f32 v17, v96, v90
	v_dual_fmac_f32 v13, v97, v90 :: v_dual_fmac_f32 v14, v83, v88
	v_fmac_f32_e32 v12, v87, v88
	v_fma_f32 v19, -v83, v89, v18
	v_fmac_f32_e32 v10, v80, v88
	v_fma_f32 v16, -v87, v89, v16
	v_dual_fmac_f32 v13, v96, v91 :: v_dual_fmac_f32 v14, v82, v89
	v_fmac_f32_e32 v12, v86, v89
	v_fmac_f32_e32 v19, v94, v90
	v_fma_f32 v10, -v81, v89, v10
	v_fmac_f32_e32 v16, v98, v90
	v_fmac_f32_e32 v14, v95, v90
	;; [unrolled: 1-line block ×3, first 2 shown]
	v_fma_f32 v19, -v95, v91, v19
	v_fmac_f32_e32 v10, v92, v90
	v_fma_f32 v17, -v97, v91, v17
	v_fmac_f32_e32 v14, v94, v91
	;; [unrolled: 2-line block ×3, first 2 shown]
	v_fma_f32 v18, -v93, v91, v10
	s_wait_alu 0xfffe
	s_or_b32 s4, vcc_lo, s4
	s_wait_alu 0xfffe
	s_and_not1_b32 exec_lo, exec_lo, s4
	s_cbranch_execnz .LBB108_7
; %bb.8:
	s_or_b32 exec_lo, exec_lo, s4
.LBB108_9:
	s_wait_alu 0xfffe
	s_or_b32 exec_lo, exec_lo, s3
	s_cbranch_execz .LBB108_11
	s_branch .LBB108_16
.LBB108_10:
                                        ; implicit-def: $vgpr11
                                        ; implicit-def: $vgpr18
                                        ; implicit-def: $vgpr16
                                        ; implicit-def: $vgpr12
                                        ; implicit-def: $vgpr17
                                        ; implicit-def: $vgpr13
                                        ; implicit-def: $vgpr19
                                        ; implicit-def: $vgpr14
.LBB108_11:
	v_dual_mov_b32 v11, 0 :: v_dual_mov_b32 v18, 0
	v_dual_mov_b32 v16, 0 :: v_dual_mov_b32 v17, 0
	;; [unrolled: 1-line block ×4, first 2 shown]
	s_and_saveexec_b32 s3, s2
	s_cbranch_execz .LBB108_15
; %bb.12:
	v_dual_mov_b32 v9, 0 :: v_dual_lshlrev_b32 v8, 5, v6
	s_mov_b32 s2, 0
	s_delay_alu instid0(VALU_DEP_1)
	v_dual_mov_b32 v11, v9 :: v_dual_mov_b32 v18, v9
	v_dual_mov_b32 v16, v9 :: v_dual_mov_b32 v17, v9
	;; [unrolled: 1-line block ×4, first 2 shown]
.LBB108_13:                             ; =>This Inner Loop Header: Depth=1
	v_ashrrev_i32_e32 v7, 31, v6
	v_lshlrev_b64_e32 v[20:21], 3, v[8:9]
	v_add_nc_u32_e32 v8, 0x800, v8
	s_delay_alu instid0(VALU_DEP_3) | instskip(SKIP_1) | instid1(VALU_DEP_2)
	v_lshlrev_b64_e32 v[22:23], 2, v[6:7]
	v_add_nc_u32_e32 v6, 64, v6
	v_add_co_u32 v22, vcc_lo, s6, v22
	s_wait_alu 0xfffd
	s_delay_alu instid0(VALU_DEP_3)
	v_add_co_ci_u32_e64 v23, null, s7, v23, vcc_lo
	v_add_co_u32 v80, vcc_lo, s8, v20
	s_wait_alu 0xfffd
	v_add_co_ci_u32_e64 v81, null, s9, v21, vcc_lo
	global_load_b32 v7, v[22:23], off
	s_clause 0xf
	global_load_b128 v[20:23], v[80:81], off offset:16
	global_load_b128 v[24:27], v[80:81], off
	global_load_b128 v[28:31], v[80:81], off offset:80
	global_load_b128 v[32:35], v[80:81], off offset:64
	;; [unrolled: 1-line block ×14, first 2 shown]
	s_wait_loadcnt 0x10
	v_subrev_nc_u32_e32 v7, s12, v7
	s_delay_alu instid0(VALU_DEP_1) | instskip(NEXT) | instid1(VALU_DEP_1)
	v_dual_mov_b32 v85, v9 :: v_dual_lshlrev_b32 v84, 3, v7
	v_lshlrev_b64_e32 v[84:85], 3, v[84:85]
	s_delay_alu instid0(VALU_DEP_1) | instskip(SKIP_1) | instid1(VALU_DEP_2)
	v_add_co_u32 v96, vcc_lo, s10, v84
	s_wait_alu 0xfffd
	v_add_co_ci_u32_e64 v97, null, s11, v85, vcc_lo
	s_clause 0x2
	global_load_b128 v[84:87], v[96:97], off
	global_load_b128 v[88:91], v[96:97], off offset:16
	global_load_b128 v[92:95], v[96:97], off offset:32
	v_cmp_ge_i32_e32 vcc_lo, v6, v15
	s_wait_alu 0xfffe
	s_or_b32 s2, vcc_lo, s2
	s_wait_loadcnt 0x2
	v_fmac_f32_e32 v18, v24, v84
	v_fmac_f32_e32 v11, v25, v84
	v_fmac_f32_e32 v14, v33, v84
	v_fmac_f32_e32 v19, v32, v84
	v_fmac_f32_e32 v13, v41, v84
	v_fma_f32 v7, -v25, v85, v18
	v_fmac_f32_e32 v11, v24, v85
	v_fmac_f32_e32 v16, v48, v84
	v_fma_f32 v10, -v33, v85, v19
	s_delay_alu instid0(VALU_DEP_4) | instskip(NEXT) | instid1(VALU_DEP_4)
	v_dual_fmac_f32 v14, v32, v85 :: v_dual_fmac_f32 v7, v26, v86
	v_fmac_f32_e32 v11, v27, v86
	v_fmac_f32_e32 v17, v40, v84
	v_dual_fmac_f32 v12, v49, v84 :: v_dual_fmac_f32 v13, v40, v85
	s_delay_alu instid0(VALU_DEP_4) | instskip(NEXT) | instid1(VALU_DEP_4)
	v_fma_f32 v7, -v27, v87, v7
	v_fmac_f32_e32 v11, v26, v87
	global_load_b128 v[24:27], v[96:97], off offset:48
	v_fmac_f32_e32 v10, v34, v86
	v_fma_f32 v16, -v49, v85, v16
	v_fmac_f32_e32 v14, v35, v86
	v_fma_f32 v17, -v41, v85, v17
	v_dual_fmac_f32 v12, v48, v85 :: v_dual_fmac_f32 v13, v43, v86
	s_wait_loadcnt 0x2
	v_dual_fmac_f32 v16, v50, v86 :: v_dual_fmac_f32 v7, v20, v88
	s_delay_alu instid0(VALU_DEP_3) | instskip(SKIP_3) | instid1(VALU_DEP_4)
	v_fmac_f32_e32 v17, v42, v86
	v_fma_f32 v10, -v35, v87, v10
	v_fmac_f32_e32 v14, v34, v87
	v_dual_fmac_f32 v12, v51, v86 :: v_dual_fmac_f32 v13, v42, v87
	v_fma_f32 v17, -v43, v87, v17
	v_fma_f32 v16, -v51, v87, v16
	s_delay_alu instid0(VALU_DEP_3) | instskip(SKIP_3) | instid1(VALU_DEP_4)
	v_dual_fmac_f32 v11, v21, v88 :: v_dual_fmac_f32 v12, v50, v87
	v_fmac_f32_e32 v14, v29, v88
	v_fma_f32 v7, -v21, v89, v7
	v_fmac_f32_e32 v10, v28, v88
	v_fmac_f32_e32 v11, v20, v89
	s_delay_alu instid0(VALU_DEP_4)
	v_dual_fmac_f32 v13, v37, v88 :: v_dual_fmac_f32 v14, v28, v89
	v_fmac_f32_e32 v16, v44, v88
	v_dual_fmac_f32 v12, v45, v88 :: v_dual_fmac_f32 v7, v22, v90
	v_fma_f32 v10, -v29, v89, v10
	v_fmac_f32_e32 v17, v36, v88
	v_fmac_f32_e32 v13, v36, v89
	;; [unrolled: 1-line block ×3, first 2 shown]
	v_fma_f32 v16, -v45, v89, v16
	v_fmac_f32_e32 v10, v30, v90
	v_fma_f32 v17, -v37, v89, v17
	v_fmac_f32_e32 v12, v44, v89
	v_dual_fmac_f32 v14, v31, v90 :: v_dual_fmac_f32 v11, v22, v91
	v_fma_f32 v7, -v23, v91, v7
	s_delay_alu instid0(VALU_DEP_4) | instskip(NEXT) | instid1(VALU_DEP_3)
	v_fmac_f32_e32 v17, v38, v90
	v_dual_fmac_f32 v13, v39, v90 :: v_dual_fmac_f32 v14, v30, v91
	s_wait_loadcnt 0x1
	s_delay_alu instid0(VALU_DEP_3) | instskip(NEXT) | instid1(VALU_DEP_2)
	v_dual_fmac_f32 v16, v46, v90 :: v_dual_fmac_f32 v7, v56, v92
	v_dual_fmac_f32 v12, v47, v90 :: v_dual_fmac_f32 v13, v38, v91
	v_fma_f32 v10, -v31, v91, v10
	v_fma_f32 v17, -v39, v91, v17
	s_delay_alu instid0(VALU_DEP_4) | instskip(NEXT) | instid1(VALU_DEP_4)
	v_fma_f32 v16, -v47, v91, v16
	v_dual_fmac_f32 v12, v46, v91 :: v_dual_fmac_f32 v11, v57, v92
	v_fmac_f32_e32 v14, v65, v92
	v_fma_f32 v7, -v57, v93, v7
	v_fmac_f32_e32 v10, v64, v92
	s_delay_alu instid0(VALU_DEP_4) | instskip(NEXT) | instid1(VALU_DEP_4)
	v_fmac_f32_e32 v11, v56, v93
	v_dual_fmac_f32 v13, v73, v92 :: v_dual_fmac_f32 v14, v64, v93
	v_fmac_f32_e32 v16, v76, v92
	v_dual_fmac_f32 v12, v77, v92 :: v_dual_fmac_f32 v7, v58, v94
	v_fma_f32 v10, -v65, v93, v10
	v_fmac_f32_e32 v17, v72, v92
	v_fmac_f32_e32 v13, v72, v93
	;; [unrolled: 1-line block ×3, first 2 shown]
	v_fma_f32 v16, -v77, v93, v16
	v_fmac_f32_e32 v10, v66, v94
	v_fma_f32 v17, -v73, v93, v17
	v_fmac_f32_e32 v12, v76, v93
	v_dual_fmac_f32 v14, v67, v94 :: v_dual_fmac_f32 v11, v58, v95
	v_fma_f32 v7, -v59, v95, v7
	s_delay_alu instid0(VALU_DEP_4) | instskip(NEXT) | instid1(VALU_DEP_3)
	v_fmac_f32_e32 v17, v74, v94
	v_dual_fmac_f32 v13, v75, v94 :: v_dual_fmac_f32 v14, v66, v95
	v_fmac_f32_e32 v16, v78, v94
	v_fmac_f32_e32 v12, v79, v94
	v_fma_f32 v10, -v67, v95, v10
	v_fma_f32 v17, -v75, v95, v17
	v_fmac_f32_e32 v13, v74, v95
	s_wait_loadcnt 0x0
	v_dual_fmac_f32 v12, v78, v95 :: v_dual_fmac_f32 v11, v53, v24
	v_fmac_f32_e32 v7, v52, v24
	v_fma_f32 v16, -v79, v95, v16
	s_delay_alu instid0(VALU_DEP_3) | instskip(NEXT) | instid1(VALU_DEP_3)
	v_dual_fmac_f32 v14, v61, v24 :: v_dual_fmac_f32 v11, v52, v25
	v_fma_f32 v7, -v53, v25, v7
	v_fmac_f32_e32 v10, v60, v24
	s_delay_alu instid0(VALU_DEP_3) | instskip(NEXT) | instid1(VALU_DEP_4)
	v_dual_fmac_f32 v13, v69, v24 :: v_dual_fmac_f32 v14, v60, v25
	v_dual_fmac_f32 v16, v80, v24 :: v_dual_fmac_f32 v11, v55, v26
	s_delay_alu instid0(VALU_DEP_2)
	v_dual_fmac_f32 v12, v81, v24 :: v_dual_fmac_f32 v13, v68, v25
	v_fmac_f32_e32 v7, v54, v26
	v_fma_f32 v10, -v61, v25, v10
	v_fmac_f32_e32 v17, v68, v24
	v_fma_f32 v16, -v81, v25, v16
	v_dual_fmac_f32 v14, v63, v26 :: v_dual_fmac_f32 v11, v54, v27
	s_delay_alu instid0(VALU_DEP_4) | instskip(NEXT) | instid1(VALU_DEP_4)
	v_fmac_f32_e32 v10, v62, v26
	v_fma_f32 v17, -v69, v25, v17
	v_dual_fmac_f32 v12, v80, v25 :: v_dual_fmac_f32 v13, v71, v26
	s_delay_alu instid0(VALU_DEP_4) | instskip(SKIP_1) | instid1(VALU_DEP_4)
	v_fmac_f32_e32 v14, v62, v27
	v_fmac_f32_e32 v16, v82, v26
	;; [unrolled: 1-line block ×3, first 2 shown]
	s_delay_alu instid0(VALU_DEP_4) | instskip(SKIP_2) | instid1(VALU_DEP_4)
	v_dual_fmac_f32 v12, v83, v26 :: v_dual_fmac_f32 v13, v70, v27
	v_fma_f32 v18, -v55, v27, v7
	v_fma_f32 v19, -v63, v27, v10
	;; [unrolled: 1-line block ×4, first 2 shown]
	v_fmac_f32_e32 v12, v82, v27
	s_wait_alu 0xfffe
	s_and_not1_b32 exec_lo, exec_lo, s2
	s_cbranch_execnz .LBB108_13
; %bb.14:
	s_or_b32 exec_lo, exec_lo, s2
.LBB108_15:
	s_wait_alu 0xfffe
	s_or_b32 exec_lo, exec_lo, s3
.LBB108_16:
	v_mbcnt_lo_u32_b32 v6, -1, 0
	s_delay_alu instid0(VALU_DEP_1) | instskip(SKIP_1) | instid1(VALU_DEP_2)
	v_or_b32_e32 v7, 32, v6
	v_xor_b32_e32 v23, 16, v6
	v_cmp_gt_i32_e32 vcc_lo, 32, v7
	s_wait_alu 0xfffd
	v_cndmask_b32_e32 v7, v6, v7, vcc_lo
	s_delay_alu instid0(VALU_DEP_3) | instskip(NEXT) | instid1(VALU_DEP_2)
	v_cmp_gt_i32_e32 vcc_lo, 32, v23
	v_lshlrev_b32_e32 v7, 2, v7
	ds_bpermute_b32 v8, v7, v18
	s_wait_dscnt 0x0
	v_add_f32_e32 v8, v18, v8
	ds_bpermute_b32 v9, v7, v11
	ds_bpermute_b32 v15, v7, v14
	;; [unrolled: 1-line block ×7, first 2 shown]
	s_wait_alu 0xfffd
	v_cndmask_b32_e32 v23, v6, v23, vcc_lo
	s_wait_dscnt 0x6
	v_add_f32_e32 v9, v11, v9
	s_wait_dscnt 0x4
	v_dual_add_f32 v11, v14, v15 :: v_dual_add_f32 v14, v17, v20
	s_wait_dscnt 0x3
	v_dual_add_f32 v10, v19, v10 :: v_dual_lshlrev_b32 v23, 2, v23
	s_wait_dscnt 0x0
	v_add_f32_e32 v7, v12, v7
	ds_bpermute_b32 v12, v23, v8
	s_wait_dscnt 0x0
	v_add_f32_e32 v8, v8, v12
	ds_bpermute_b32 v17, v23, v10
	v_add_f32_e32 v15, v16, v22
	v_add_f32_e32 v13, v13, v21
	ds_bpermute_b32 v19, v23, v14
	ds_bpermute_b32 v22, v23, v7
	;; [unrolled: 1-line block ×3, first 2 shown]
	s_wait_dscnt 0x3
	v_add_f32_e32 v10, v10, v17
	ds_bpermute_b32 v21, v23, v15
	s_wait_dscnt 0x3
	v_add_f32_e32 v12, v14, v19
	ds_bpermute_b32 v16, v23, v9
	;; [unrolled: 3-line block ×3, first 2 shown]
	v_xor_b32_e32 v23, 8, v6
	s_delay_alu instid0(VALU_DEP_1) | instskip(SKIP_2) | instid1(VALU_DEP_1)
	v_cmp_gt_i32_e32 vcc_lo, 32, v23
	s_wait_alu 0xfffd
	v_cndmask_b32_e32 v23, v6, v23, vcc_lo
	v_lshlrev_b32_e32 v23, 2, v23
	ds_bpermute_b32 v21, v23, v14
	s_wait_dscnt 0x0
	v_add_f32_e32 v14, v14, v21
	ds_bpermute_b32 v15, v23, v8
	ds_bpermute_b32 v17, v23, v10
	;; [unrolled: 1-line block ×3, first 2 shown]
	s_wait_dscnt 0x2
	v_dual_add_f32 v9, v9, v16 :: v_dual_add_f32 v8, v8, v15
	s_wait_dscnt 0x1
	v_dual_add_f32 v11, v11, v18 :: v_dual_add_f32 v10, v10, v17
	;; [unrolled: 2-line block ×3, first 2 shown]
	v_add_f32_e32 v13, v13, v20
	ds_bpermute_b32 v16, v23, v9
	ds_bpermute_b32 v18, v23, v11
	;; [unrolled: 1-line block ×4, first 2 shown]
	v_xor_b32_e32 v23, 4, v6
	s_delay_alu instid0(VALU_DEP_1) | instskip(SKIP_2) | instid1(VALU_DEP_1)
	v_cmp_gt_i32_e32 vcc_lo, 32, v23
	s_wait_alu 0xfffd
	v_cndmask_b32_e32 v23, v6, v23, vcc_lo
	v_lshlrev_b32_e32 v23, 2, v23
	s_wait_dscnt 0x3
	v_add_f32_e32 v9, v9, v16
	ds_bpermute_b32 v15, v23, v8
	ds_bpermute_b32 v16, v23, v9
	;; [unrolled: 1-line block ×5, first 2 shown]
	s_wait_dscnt 0x4
	v_dual_add_f32 v8, v8, v15 :: v_dual_add_f32 v11, v11, v18
	s_wait_dscnt 0x2
	v_dual_add_f32 v9, v9, v16 :: v_dual_add_f32 v12, v12, v19
	v_add_f32_e32 v13, v13, v20
	s_wait_dscnt 0x0
	v_add_f32_e32 v15, v10, v17
	ds_bpermute_b32 v18, v23, v11
	ds_bpermute_b32 v20, v23, v13
	s_wait_dscnt 0x1
	v_add_f32_e32 v16, v11, v18
	v_dual_add_f32 v18, v14, v21 :: v_dual_add_f32 v7, v7, v22
	s_wait_dscnt 0x0
	v_add_f32_e32 v17, v13, v20
	ds_bpermute_b32 v22, v23, v7
	v_xor_b32_e32 v23, 2, v6
	s_delay_alu instid0(VALU_DEP_1) | instskip(SKIP_2) | instid1(VALU_DEP_1)
	v_cmp_gt_i32_e32 vcc_lo, 32, v23
	s_wait_alu 0xfffd
	v_cndmask_b32_e32 v23, v6, v23, vcc_lo
	v_lshlrev_b32_e32 v23, 2, v23
	s_wait_dscnt 0x0
	v_add_f32_e32 v19, v7, v22
	ds_bpermute_b32 v7, v23, v8
	ds_bpermute_b32 v10, v23, v9
	;; [unrolled: 1-line block ×8, first 2 shown]
	v_xor_b32_e32 v23, 1, v6
	s_delay_alu instid0(VALU_DEP_1)
	v_cmp_gt_i32_e32 vcc_lo, 32, v23
	s_wait_alu 0xfffd
	v_cndmask_b32_e32 v6, v6, v23, vcc_lo
	v_cmp_eq_u32_e32 vcc_lo, 63, v0
	s_wait_dscnt 0x5
	v_dual_add_f32 v10, v9, v10 :: v_dual_add_f32 v11, v15, v11
	s_delay_alu instid0(VALU_DEP_3)
	v_dual_add_f32 v6, v8, v7 :: v_dual_lshlrev_b32 v23, 2, v6
	s_wait_dscnt 0x4
	v_add_f32_e32 v13, v16, v13
	s_wait_dscnt 0x2
	v_dual_add_f32 v14, v12, v14 :: v_dual_add_f32 v15, v17, v20
	s_wait_dscnt 0x1
	v_add_f32_e32 v7, v18, v21
	s_wait_dscnt 0x0
	v_add_f32_e32 v9, v19, v22
	ds_bpermute_b32 v8, v23, v6
	ds_bpermute_b32 v12, v23, v10
	;; [unrolled: 1-line block ×8, first 2 shown]
	s_and_b32 exec_lo, exec_lo, vcc_lo
	s_cbranch_execz .LBB108_21
; %bb.17:
	s_load_b64 s[2:3], s[0:1], 0x38
	v_cmp_eq_f32_e32 vcc_lo, 0, v3
	v_cmp_eq_f32_e64 s0, 0, v4
	s_wait_dscnt 0x7
	v_add_f32_e32 v8, v6, v8
	s_wait_dscnt 0x0
	v_dual_add_f32 v12, v10, v12 :: v_dual_add_f32 v9, v9, v17
	v_dual_add_f32 v0, v11, v18 :: v_dual_add_f32 v11, v13, v19
	v_add_f32_e32 v6, v14, v20
	v_add_f32_e32 v10, v15, v21
	;; [unrolled: 1-line block ×3, first 2 shown]
	s_and_b32 s0, vcc_lo, s0
	s_wait_alu 0xfffe
	s_and_saveexec_b32 s1, s0
	s_wait_alu 0xfffe
	s_xor_b32 s0, exec_lo, s1
	s_cbranch_execz .LBB108_19
; %bb.18:
	v_dual_mul_f32 v14, v1, v12 :: v_dual_lshlrev_b32 v3, 2, v5
	v_mul_f32_e64 v13, v12, -v2
	v_mul_f32_e64 v15, v11, -v2
	v_mul_f32_e32 v16, v1, v11
	s_delay_alu instid0(VALU_DEP_4)
	v_ashrrev_i32_e32 v4, 31, v3
	v_mul_f32_e64 v17, v10, -v2
	v_mul_f32_e32 v18, v1, v10
	v_mul_f32_e64 v19, v9, -v2
	v_mul_f32_e32 v20, v1, v9
	v_lshlrev_b64_e32 v[3:4], 3, v[3:4]
	s_delay_alu instid0(VALU_DEP_4) | instskip(SKIP_1) | instid1(VALU_DEP_4)
	v_dual_fmac_f32 v13, v1, v8 :: v_dual_fmac_f32 v18, v2, v6
	v_dual_fmac_f32 v14, v2, v8 :: v_dual_fmac_f32 v17, v1, v6
	;; [unrolled: 1-line block ×3, first 2 shown]
	s_wait_kmcnt 0x0
	s_delay_alu instid0(VALU_DEP_4)
	v_add_co_u32 v3, vcc_lo, s2, v3
	s_wait_alu 0xfffd
	v_add_co_ci_u32_e64 v4, null, s3, v4, vcc_lo
	v_dual_fmac_f32 v16, v2, v0 :: v_dual_fmac_f32 v19, v1, v7
	s_clause 0x1
	global_store_b128 v[3:4], v[13:16], off
	global_store_b128 v[3:4], v[17:20], off offset:16
                                        ; implicit-def: $vgpr5
                                        ; implicit-def: $vgpr8
                                        ; implicit-def: $vgpr12
                                        ; implicit-def: $vgpr0
                                        ; implicit-def: $vgpr11
                                        ; implicit-def: $vgpr6
                                        ; implicit-def: $vgpr10
                                        ; implicit-def: $vgpr7
                                        ; implicit-def: $vgpr9
                                        ; implicit-def: $vgpr1_vgpr2
                                        ; implicit-def: $vgpr3_vgpr4
.LBB108_19:
	s_wait_alu 0xfffe
	s_and_not1_saveexec_b32 s0, s0
	s_cbranch_execz .LBB108_21
; %bb.20:
	v_dual_mul_f32 v22, v1, v12 :: v_dual_lshlrev_b32 v13, 2, v5
	v_mul_f32_e64 v5, v12, -v2
	v_mul_f32_e64 v23, v11, -v2
	;; [unrolled: 1-line block ×3, first 2 shown]
	s_delay_alu instid0(VALU_DEP_4) | instskip(NEXT) | instid1(VALU_DEP_4)
	v_ashrrev_i32_e32 v14, 31, v13
	v_fmac_f32_e32 v5, v1, v8
	s_delay_alu instid0(VALU_DEP_2) | instskip(SKIP_1) | instid1(VALU_DEP_1)
	v_lshlrev_b64_e32 v[13:14], 3, v[13:14]
	s_wait_kmcnt 0x0
	v_add_co_u32 v25, vcc_lo, s2, v13
	s_wait_alu 0xfffd
	s_delay_alu instid0(VALU_DEP_2)
	v_add_co_ci_u32_e64 v26, null, s3, v14, vcc_lo
	s_clause 0x1
	global_load_b128 v[13:16], v[25:26], off
	global_load_b128 v[17:20], v[25:26], off offset:16
	v_mul_f32_e32 v24, v1, v11
	v_mul_f32_e64 v11, v10, -v2
	s_delay_alu instid0(VALU_DEP_1) | instskip(SKIP_1) | instid1(VALU_DEP_1)
	v_dual_fmac_f32 v22, v2, v8 :: v_dual_fmac_f32 v11, v1, v6
	s_wait_loadcnt 0x1
	v_dual_fmac_f32 v27, v1, v7 :: v_dual_fmac_f32 v22, v4, v13
	s_wait_loadcnt 0x0
	s_delay_alu instid0(VALU_DEP_1) | instskip(SKIP_3) | instid1(VALU_DEP_4)
	v_dual_mul_f32 v12, v1, v9 :: v_dual_fmac_f32 v27, v3, v19
	v_fmac_f32_e32 v23, v1, v0
	v_fmac_f32_e32 v11, v3, v17
	v_fmac_f32_e32 v22, v3, v14
	v_fmac_f32_e32 v12, v2, v7
	s_delay_alu instid0(VALU_DEP_4) | instskip(NEXT) | instid1(VALU_DEP_4)
	v_dual_mul_f32 v10, v1, v10 :: v_dual_fmac_f32 v23, v3, v15
	v_fma_f32 v9, -v4, v18, v11
	v_fma_f32 v11, -v4, v20, v27
	s_delay_alu instid0(VALU_DEP_4) | instskip(NEXT) | instid1(VALU_DEP_4)
	v_fmac_f32_e32 v12, v4, v19
	v_dual_fmac_f32 v10, v2, v6 :: v_dual_fmac_f32 v5, v3, v13
	v_fmac_f32_e32 v24, v2, v0
	v_fma_f32 v23, -v4, v16, v23
	s_delay_alu instid0(VALU_DEP_4) | instskip(NEXT) | instid1(VALU_DEP_4)
	v_fmac_f32_e32 v12, v3, v20
	v_fmac_f32_e32 v10, v4, v17
	v_fma_f32 v21, -v4, v14, v5
	v_fmac_f32_e32 v24, v4, v15
	s_delay_alu instid0(VALU_DEP_3) | instskip(NEXT) | instid1(VALU_DEP_2)
	v_fmac_f32_e32 v10, v3, v18
	v_fmac_f32_e32 v24, v3, v16
	s_clause 0x1
	global_store_b128 v[25:26], v[21:24], off
	global_store_b128 v[25:26], v[9:12], off offset:16
.LBB108_21:
	s_nop 0
	s_sendmsg sendmsg(MSG_DEALLOC_VGPRS)
	s_endpgm
	.section	.rodata,"a",@progbits
	.p2align	6, 0x0
	.amdhsa_kernel _ZN9rocsparseL19gebsrmvn_4xn_kernelILj128ELj8ELj64E21rocsparse_complex_numIfEEEvi20rocsparse_direction_NS_24const_host_device_scalarIT2_EEPKiS8_PKS5_SA_S6_PS5_21rocsparse_index_base_b
		.amdhsa_group_segment_fixed_size 0
		.amdhsa_private_segment_fixed_size 0
		.amdhsa_kernarg_size 72
		.amdhsa_user_sgpr_count 2
		.amdhsa_user_sgpr_dispatch_ptr 0
		.amdhsa_user_sgpr_queue_ptr 0
		.amdhsa_user_sgpr_kernarg_segment_ptr 1
		.amdhsa_user_sgpr_dispatch_id 0
		.amdhsa_user_sgpr_private_segment_size 0
		.amdhsa_wavefront_size32 1
		.amdhsa_uses_dynamic_stack 0
		.amdhsa_enable_private_segment 0
		.amdhsa_system_sgpr_workgroup_id_x 1
		.amdhsa_system_sgpr_workgroup_id_y 0
		.amdhsa_system_sgpr_workgroup_id_z 0
		.amdhsa_system_sgpr_workgroup_info 0
		.amdhsa_system_vgpr_workitem_id 0
		.amdhsa_next_free_vgpr 100
		.amdhsa_next_free_sgpr 14
		.amdhsa_reserve_vcc 1
		.amdhsa_float_round_mode_32 0
		.amdhsa_float_round_mode_16_64 0
		.amdhsa_float_denorm_mode_32 3
		.amdhsa_float_denorm_mode_16_64 3
		.amdhsa_fp16_overflow 0
		.amdhsa_workgroup_processor_mode 1
		.amdhsa_memory_ordered 1
		.amdhsa_forward_progress 1
		.amdhsa_inst_pref_size 33
		.amdhsa_round_robin_scheduling 0
		.amdhsa_exception_fp_ieee_invalid_op 0
		.amdhsa_exception_fp_denorm_src 0
		.amdhsa_exception_fp_ieee_div_zero 0
		.amdhsa_exception_fp_ieee_overflow 0
		.amdhsa_exception_fp_ieee_underflow 0
		.amdhsa_exception_fp_ieee_inexact 0
		.amdhsa_exception_int_div_zero 0
	.end_amdhsa_kernel
	.section	.text._ZN9rocsparseL19gebsrmvn_4xn_kernelILj128ELj8ELj64E21rocsparse_complex_numIfEEEvi20rocsparse_direction_NS_24const_host_device_scalarIT2_EEPKiS8_PKS5_SA_S6_PS5_21rocsparse_index_base_b,"axG",@progbits,_ZN9rocsparseL19gebsrmvn_4xn_kernelILj128ELj8ELj64E21rocsparse_complex_numIfEEEvi20rocsparse_direction_NS_24const_host_device_scalarIT2_EEPKiS8_PKS5_SA_S6_PS5_21rocsparse_index_base_b,comdat
.Lfunc_end108:
	.size	_ZN9rocsparseL19gebsrmvn_4xn_kernelILj128ELj8ELj64E21rocsparse_complex_numIfEEEvi20rocsparse_direction_NS_24const_host_device_scalarIT2_EEPKiS8_PKS5_SA_S6_PS5_21rocsparse_index_base_b, .Lfunc_end108-_ZN9rocsparseL19gebsrmvn_4xn_kernelILj128ELj8ELj64E21rocsparse_complex_numIfEEEvi20rocsparse_direction_NS_24const_host_device_scalarIT2_EEPKiS8_PKS5_SA_S6_PS5_21rocsparse_index_base_b
                                        ; -- End function
	.set _ZN9rocsparseL19gebsrmvn_4xn_kernelILj128ELj8ELj64E21rocsparse_complex_numIfEEEvi20rocsparse_direction_NS_24const_host_device_scalarIT2_EEPKiS8_PKS5_SA_S6_PS5_21rocsparse_index_base_b.num_vgpr, 100
	.set _ZN9rocsparseL19gebsrmvn_4xn_kernelILj128ELj8ELj64E21rocsparse_complex_numIfEEEvi20rocsparse_direction_NS_24const_host_device_scalarIT2_EEPKiS8_PKS5_SA_S6_PS5_21rocsparse_index_base_b.num_agpr, 0
	.set _ZN9rocsparseL19gebsrmvn_4xn_kernelILj128ELj8ELj64E21rocsparse_complex_numIfEEEvi20rocsparse_direction_NS_24const_host_device_scalarIT2_EEPKiS8_PKS5_SA_S6_PS5_21rocsparse_index_base_b.numbered_sgpr, 14
	.set _ZN9rocsparseL19gebsrmvn_4xn_kernelILj128ELj8ELj64E21rocsparse_complex_numIfEEEvi20rocsparse_direction_NS_24const_host_device_scalarIT2_EEPKiS8_PKS5_SA_S6_PS5_21rocsparse_index_base_b.num_named_barrier, 0
	.set _ZN9rocsparseL19gebsrmvn_4xn_kernelILj128ELj8ELj64E21rocsparse_complex_numIfEEEvi20rocsparse_direction_NS_24const_host_device_scalarIT2_EEPKiS8_PKS5_SA_S6_PS5_21rocsparse_index_base_b.private_seg_size, 0
	.set _ZN9rocsparseL19gebsrmvn_4xn_kernelILj128ELj8ELj64E21rocsparse_complex_numIfEEEvi20rocsparse_direction_NS_24const_host_device_scalarIT2_EEPKiS8_PKS5_SA_S6_PS5_21rocsparse_index_base_b.uses_vcc, 1
	.set _ZN9rocsparseL19gebsrmvn_4xn_kernelILj128ELj8ELj64E21rocsparse_complex_numIfEEEvi20rocsparse_direction_NS_24const_host_device_scalarIT2_EEPKiS8_PKS5_SA_S6_PS5_21rocsparse_index_base_b.uses_flat_scratch, 0
	.set _ZN9rocsparseL19gebsrmvn_4xn_kernelILj128ELj8ELj64E21rocsparse_complex_numIfEEEvi20rocsparse_direction_NS_24const_host_device_scalarIT2_EEPKiS8_PKS5_SA_S6_PS5_21rocsparse_index_base_b.has_dyn_sized_stack, 0
	.set _ZN9rocsparseL19gebsrmvn_4xn_kernelILj128ELj8ELj64E21rocsparse_complex_numIfEEEvi20rocsparse_direction_NS_24const_host_device_scalarIT2_EEPKiS8_PKS5_SA_S6_PS5_21rocsparse_index_base_b.has_recursion, 0
	.set _ZN9rocsparseL19gebsrmvn_4xn_kernelILj128ELj8ELj64E21rocsparse_complex_numIfEEEvi20rocsparse_direction_NS_24const_host_device_scalarIT2_EEPKiS8_PKS5_SA_S6_PS5_21rocsparse_index_base_b.has_indirect_call, 0
	.section	.AMDGPU.csdata,"",@progbits
; Kernel info:
; codeLenInByte = 4192
; TotalNumSgprs: 16
; NumVgprs: 100
; ScratchSize: 0
; MemoryBound: 0
; FloatMode: 240
; IeeeMode: 1
; LDSByteSize: 0 bytes/workgroup (compile time only)
; SGPRBlocks: 0
; VGPRBlocks: 12
; NumSGPRsForWavesPerEU: 16
; NumVGPRsForWavesPerEU: 100
; Occupancy: 12
; WaveLimiterHint : 1
; COMPUTE_PGM_RSRC2:SCRATCH_EN: 0
; COMPUTE_PGM_RSRC2:USER_SGPR: 2
; COMPUTE_PGM_RSRC2:TRAP_HANDLER: 0
; COMPUTE_PGM_RSRC2:TGID_X_EN: 1
; COMPUTE_PGM_RSRC2:TGID_Y_EN: 0
; COMPUTE_PGM_RSRC2:TGID_Z_EN: 0
; COMPUTE_PGM_RSRC2:TIDIG_COMP_CNT: 0
	.section	.text._ZN9rocsparseL23gebsrmvn_general_kernelILj64ELj16E21rocsparse_complex_numIfEEEvi20rocsparse_direction_NS_24const_host_device_scalarIT1_EEPKiS8_PKS5_iiSA_S6_PS5_21rocsparse_index_base_b,"axG",@progbits,_ZN9rocsparseL23gebsrmvn_general_kernelILj64ELj16E21rocsparse_complex_numIfEEEvi20rocsparse_direction_NS_24const_host_device_scalarIT1_EEPKiS8_PKS5_iiSA_S6_PS5_21rocsparse_index_base_b,comdat
	.globl	_ZN9rocsparseL23gebsrmvn_general_kernelILj64ELj16E21rocsparse_complex_numIfEEEvi20rocsparse_direction_NS_24const_host_device_scalarIT1_EEPKiS8_PKS5_iiSA_S6_PS5_21rocsparse_index_base_b ; -- Begin function _ZN9rocsparseL23gebsrmvn_general_kernelILj64ELj16E21rocsparse_complex_numIfEEEvi20rocsparse_direction_NS_24const_host_device_scalarIT1_EEPKiS8_PKS5_iiSA_S6_PS5_21rocsparse_index_base_b
	.p2align	8
	.type	_ZN9rocsparseL23gebsrmvn_general_kernelILj64ELj16E21rocsparse_complex_numIfEEEvi20rocsparse_direction_NS_24const_host_device_scalarIT1_EEPKiS8_PKS5_iiSA_S6_PS5_21rocsparse_index_base_b,@function
_ZN9rocsparseL23gebsrmvn_general_kernelILj64ELj16E21rocsparse_complex_numIfEEEvi20rocsparse_direction_NS_24const_host_device_scalarIT1_EEPKiS8_PKS5_iiSA_S6_PS5_21rocsparse_index_base_b: ; @_ZN9rocsparseL23gebsrmvn_general_kernelILj64ELj16E21rocsparse_complex_numIfEEEvi20rocsparse_direction_NS_24const_host_device_scalarIT1_EEPKiS8_PKS5_iiSA_S6_PS5_21rocsparse_index_base_b
; %bb.0:
	s_clause 0x2
	s_load_b64 s[8:9], s[0:1], 0x48
	s_load_b64 s[2:3], s[0:1], 0x8
	;; [unrolled: 1-line block ×3, first 2 shown]
	s_add_nc_u64 s[6:7], s[0:1], 8
	s_wait_kmcnt 0x0
	s_bitcmp1_b32 s9, 0
	s_cselect_b32 s2, s6, s2
	s_cselect_b32 s3, s7, s3
	s_delay_alu instid0(SALU_CYCLE_1)
	v_dual_mov_b32 v1, s2 :: v_dual_mov_b32 v2, s3
	s_add_nc_u64 s[2:3], s[0:1], 56
	s_wait_alu 0xfffe
	s_cselect_b32 s2, s2, s4
	s_cselect_b32 s3, s3, s5
	flat_load_b64 v[1:2], v[1:2]
	s_wait_alu 0xfffe
	v_dual_mov_b32 v3, s2 :: v_dual_mov_b32 v4, s3
	flat_load_b64 v[3:4], v[3:4]
	s_wait_loadcnt_dscnt 0x101
	v_cmp_eq_f32_e32 vcc_lo, 0, v1
	v_cmp_eq_f32_e64 s2, 0, v2
	s_and_b32 s4, vcc_lo, s2
	s_mov_b32 s2, -1
	s_and_saveexec_b32 s3, s4
	s_cbranch_execz .LBB109_2
; %bb.1:
	s_wait_loadcnt_dscnt 0x0
	v_cmp_neq_f32_e32 vcc_lo, 1.0, v3
	v_cmp_neq_f32_e64 s2, 0, v4
	s_wait_alu 0xfffe
	s_or_b32 s2, vcc_lo, s2
	s_wait_alu 0xfffe
	s_or_not1_b32 s2, s2, exec_lo
.LBB109_2:
	s_wait_alu 0xfffe
	s_or_b32 exec_lo, exec_lo, s3
	s_and_saveexec_b32 s3, s2
	s_cbranch_execz .LBB109_22
; %bb.3:
	s_load_b64 s[10:11], s[0:1], 0x28
	v_lshrrev_b32_e32 v5, 4, v0
	s_wait_kmcnt 0x0
	s_delay_alu instid0(VALU_DEP_1)
	v_cmp_gt_i32_e32 vcc_lo, s10, v5
	s_and_b32 exec_lo, exec_lo, vcc_lo
	s_cbranch_execz .LBB109_22
; %bb.4:
	s_clause 0x1
	s_load_b128 s[4:7], s[0:1], 0x10
	s_load_b32 s19, s[0:1], 0x4
	v_mbcnt_lo_u32_b32 v6, -1, 0
	s_mov_b32 s2, ttmp9
	s_ashr_i32 s3, ttmp9, 31
	s_mov_b32 s9, 0
	s_wait_alu 0xfffe
	s_lshl_b64 s[2:3], s[2:3], 2
	v_xor_b32_e32 v7, 8, v6
	v_xor_b32_e32 v8, 4, v6
	;; [unrolled: 1-line block ×4, first 2 shown]
	s_mul_i32 s21, s10, ttmp9
	v_cmp_gt_i32_e32 vcc_lo, 32, v7
	v_and_b32_e32 v0, 15, v0
	s_mul_i32 s23, s11, s10
	v_cndmask_b32_e32 v11, v6, v7, vcc_lo
	v_cmp_gt_i32_e32 vcc_lo, 32, v8
	s_wait_kmcnt 0x0
	s_wait_alu 0xfffe
	s_add_nc_u64 s[2:3], s[4:5], s[2:3]
	s_load_b64 s[2:3], s[2:3], 0x0
	v_cndmask_b32_e32 v8, v6, v8, vcc_lo
	v_cmp_gt_i32_e32 vcc_lo, 32, v9
	s_clause 0x2
	s_load_b64 s[4:5], s[0:1], 0x20
	s_load_b64 s[12:13], s[0:1], 0x30
	;; [unrolled: 1-line block ×3, first 2 shown]
	v_cmp_gt_i32_e64 s0, s11, v0
	v_cmp_eq_u32_e64 s1, 15, v0
	v_cndmask_b32_e32 v9, v6, v9, vcc_lo
	v_cmp_gt_i32_e32 vcc_lo, 32, v10
	s_wait_alu 0xfffd
	v_cndmask_b32_e32 v13, v6, v10, vcc_lo
	s_wait_loadcnt_dscnt 0x0
	v_cmp_eq_f32_e32 vcc_lo, 0, v3
	v_lshlrev_b32_e32 v10, 2, v11
	v_lshlrev_b32_e32 v12, 2, v9
	;; [unrolled: 1-line block ×4, first 2 shown]
	s_wait_kmcnt 0x0
	s_sub_co_i32 s16, s2, s8
	s_sub_co_i32 s17, s3, s8
	v_mad_co_u64_u32 v[6:7], null, s10, s16, v[5:6]
	s_cmp_lt_i32 s2, s3
	v_cmp_eq_f32_e64 s2, 0, v4
	s_cselect_b32 s18, -1, 0
	s_cmp_lg_u32 s19, 0
	s_cselect_b32 s19, -1, 0
	v_mul_lo_u32 v14, s11, v6
	s_and_b32 s20, vcc_lo, s2
	s_lshl_b32 s22, s11, 2
	s_branch .LBB109_6
.LBB109_5:                              ;   in Loop: Header=BB109_6 Depth=1
	s_wait_alu 0xfffe
	s_or_b32 exec_lo, exec_lo, s2
	v_add_nc_u32_e32 v5, 4, v5
	v_add_nc_u32_e32 v14, s22, v14
	s_delay_alu instid0(VALU_DEP_2) | instskip(SKIP_1) | instid1(SALU_CYCLE_1)
	v_cmp_le_i32_e32 vcc_lo, s10, v5
	s_or_b32 s9, vcc_lo, s9
	s_and_not1_b32 exec_lo, exec_lo, s9
	s_cbranch_execz .LBB109_22
.LBB109_6:                              ; =>This Loop Header: Depth=1
                                        ;     Child Loop BB109_10 Depth 2
                                        ;       Child Loop BB109_13 Depth 3
	s_wait_dscnt 0x0
	v_dual_mov_b32 v8, 0 :: v_dual_mov_b32 v9, 0
	s_and_not1_b32 vcc_lo, exec_lo, s18
	s_wait_alu 0xfffe
	s_cbranch_vccnz .LBB109_17
; %bb.7:                                ;   in Loop: Header=BB109_6 Depth=1
	v_dual_mov_b32 v8, 0 :: v_dual_mov_b32 v15, v14
	v_mov_b32_e32 v9, 0
	s_mov_b32 s2, s16
	s_branch .LBB109_10
.LBB109_8:                              ;   in Loop: Header=BB109_10 Depth=2
	s_or_b32 exec_lo, exec_lo, s25
.LBB109_9:                              ;   in Loop: Header=BB109_10 Depth=2
	s_delay_alu instid0(SALU_CYCLE_1)
	s_or_b32 exec_lo, exec_lo, s24
	v_add_nc_u32_e32 v15, s23, v15
	s_wait_alu 0xfffe
	s_add_co_i32 s2, s2, 1
	s_wait_alu 0xfffe
	s_cmp_ge_i32 s2, s17
	s_cbranch_scc1 .LBB109_17
.LBB109_10:                             ;   Parent Loop BB109_6 Depth=1
                                        ; =>  This Loop Header: Depth=2
                                        ;       Child Loop BB109_13 Depth 3
	s_and_saveexec_b32 s24, s0
	s_cbranch_execz .LBB109_9
; %bb.11:                               ;   in Loop: Header=BB109_10 Depth=2
	s_wait_alu 0xfffe
	s_ashr_i32 s3, s2, 31
	v_mov_b32_e32 v16, v0
	s_wait_alu 0xfffe
	s_lshl_b64 s[26:27], s[2:3], 2
	s_mov_b32 s25, 0
	s_wait_alu 0xfffe
	s_add_nc_u64 s[26:27], s[6:7], s[26:27]
	s_load_b32 s3, s[26:27], 0x0
	s_wait_kmcnt 0x0
	s_sub_co_i32 s26, s3, s8
	s_mul_i32 s3, s2, s11
	s_wait_alu 0xfffe
	s_mul_i32 s26, s26, s11
	s_branch .LBB109_13
.LBB109_12:                             ;   in Loop: Header=BB109_13 Depth=3
	v_add_nc_u32_e32 v17, s26, v16
	s_delay_alu instid0(VALU_DEP_2) | instskip(NEXT) | instid1(VALU_DEP_2)
	v_ashrrev_i32_e32 v7, 31, v6
	v_ashrrev_i32_e32 v18, 31, v17
	s_delay_alu instid0(VALU_DEP_2) | instskip(NEXT) | instid1(VALU_DEP_2)
	v_lshlrev_b64_e32 v[6:7], 3, v[6:7]
	v_lshlrev_b64_e32 v[17:18], 3, v[17:18]
	s_delay_alu instid0(VALU_DEP_2) | instskip(SKIP_1) | instid1(VALU_DEP_3)
	v_add_co_u32 v6, vcc_lo, s4, v6
	s_wait_alu 0xfffd
	v_add_co_ci_u32_e64 v7, null, s5, v7, vcc_lo
	s_delay_alu instid0(VALU_DEP_3)
	v_add_co_u32 v17, vcc_lo, s12, v17
	s_wait_alu 0xfffd
	v_add_co_ci_u32_e64 v18, null, s13, v18, vcc_lo
	global_load_b64 v[6:7], v[6:7], off
	global_load_b64 v[17:18], v[17:18], off
	s_wait_loadcnt 0x0
	v_dual_fmac_f32 v9, v6, v17 :: v_dual_add_nc_u32 v16, 16, v16
	v_fmac_f32_e32 v8, v7, v17
	s_delay_alu instid0(VALU_DEP_2) | instskip(NEXT) | instid1(VALU_DEP_3)
	v_cmp_le_i32_e32 vcc_lo, s11, v16
	v_fma_f32 v9, -v7, v18, v9
	s_delay_alu instid0(VALU_DEP_3) | instskip(SKIP_1) | instid1(SALU_CYCLE_1)
	v_fmac_f32_e32 v8, v6, v18
	s_or_b32 s25, vcc_lo, s25
	s_and_not1_b32 exec_lo, exec_lo, s25
	s_cbranch_execz .LBB109_8
.LBB109_13:                             ;   Parent Loop BB109_6 Depth=1
                                        ;     Parent Loop BB109_10 Depth=2
                                        ; =>    This Inner Loop Header: Depth=3
	s_and_b32 vcc_lo, exec_lo, s19
	s_wait_alu 0xfffe
	s_cbranch_vccz .LBB109_15
; %bb.14:                               ;   in Loop: Header=BB109_13 Depth=3
	v_add_nc_u32_e32 v6, s3, v16
	s_delay_alu instid0(VALU_DEP_1)
	v_mad_co_u64_u32 v[6:7], null, v6, s10, v[5:6]
	s_cbranch_execnz .LBB109_12
	s_branch .LBB109_16
.LBB109_15:                             ;   in Loop: Header=BB109_13 Depth=3
                                        ; implicit-def: $vgpr6
.LBB109_16:                             ;   in Loop: Header=BB109_13 Depth=3
	v_add_nc_u32_e32 v6, v15, v16
	s_branch .LBB109_12
.LBB109_17:                             ;   in Loop: Header=BB109_6 Depth=1
	ds_bpermute_b32 v6, v10, v9
	ds_bpermute_b32 v7, v10, v8
	s_wait_dscnt 0x0
	v_dual_add_f32 v6, v9, v6 :: v_dual_add_f32 v7, v8, v7
	ds_bpermute_b32 v8, v11, v6
	ds_bpermute_b32 v9, v11, v7
	s_wait_dscnt 0x0
	v_dual_add_f32 v6, v6, v8 :: v_dual_add_f32 v7, v7, v9
	ds_bpermute_b32 v8, v12, v6
	ds_bpermute_b32 v9, v12, v7
	s_wait_dscnt 0x1
	v_add_f32_e32 v6, v6, v8
	s_wait_dscnt 0x0
	v_add_f32_e32 v8, v7, v9
	ds_bpermute_b32 v7, v13, v6
	ds_bpermute_b32 v9, v13, v8
	s_and_saveexec_b32 s2, s1
	s_cbranch_execz .LBB109_5
; %bb.18:                               ;   in Loop: Header=BB109_6 Depth=1
	s_wait_dscnt 0x0
	v_dual_add_f32 v8, v8, v9 :: v_dual_add_f32 v9, v6, v7
	s_delay_alu instid0(VALU_DEP_1) | instskip(SKIP_1) | instid1(VALU_DEP_2)
	v_mul_f32_e64 v6, v8, -v2
	v_dual_mul_f32 v7, v1, v8 :: v_dual_add_nc_u32 v8, s21, v5
	v_fmac_f32_e32 v6, v1, v9
	s_delay_alu instid0(VALU_DEP_2) | instskip(NEXT) | instid1(VALU_DEP_3)
	v_fmac_f32_e32 v7, v2, v9
	v_ashrrev_i32_e32 v9, 31, v8
	s_and_saveexec_b32 s3, s20
	s_wait_alu 0xfffe
	s_xor_b32 s3, exec_lo, s3
	s_cbranch_execz .LBB109_20
; %bb.19:                               ;   in Loop: Header=BB109_6 Depth=1
	v_lshlrev_b64_e32 v[8:9], 3, v[8:9]
	s_delay_alu instid0(VALU_DEP_1) | instskip(SKIP_1) | instid1(VALU_DEP_2)
	v_add_co_u32 v8, vcc_lo, s14, v8
	s_wait_alu 0xfffd
	v_add_co_ci_u32_e64 v9, null, s15, v9, vcc_lo
	global_store_b64 v[8:9], v[6:7], off
                                        ; implicit-def: $vgpr8
                                        ; implicit-def: $vgpr6
.LBB109_20:                             ;   in Loop: Header=BB109_6 Depth=1
	s_wait_alu 0xfffe
	s_and_not1_saveexec_b32 s3, s3
	s_cbranch_execz .LBB109_5
; %bb.21:                               ;   in Loop: Header=BB109_6 Depth=1
	v_lshlrev_b64_e32 v[8:9], 3, v[8:9]
	s_delay_alu instid0(VALU_DEP_1) | instskip(SKIP_1) | instid1(VALU_DEP_2)
	v_add_co_u32 v8, vcc_lo, s14, v8
	s_wait_alu 0xfffd
	v_add_co_ci_u32_e64 v9, null, s15, v9, vcc_lo
	global_load_b64 v[15:16], v[8:9], off
	s_wait_loadcnt 0x0
	v_fmac_f32_e32 v6, v3, v15
	v_fmac_f32_e32 v7, v4, v15
	s_delay_alu instid0(VALU_DEP_2) | instskip(NEXT) | instid1(VALU_DEP_2)
	v_fma_f32 v6, -v4, v16, v6
	v_fmac_f32_e32 v7, v3, v16
	global_store_b64 v[8:9], v[6:7], off
	s_branch .LBB109_5
.LBB109_22:
	s_endpgm
	.section	.rodata,"a",@progbits
	.p2align	6, 0x0
	.amdhsa_kernel _ZN9rocsparseL23gebsrmvn_general_kernelILj64ELj16E21rocsparse_complex_numIfEEEvi20rocsparse_direction_NS_24const_host_device_scalarIT1_EEPKiS8_PKS5_iiSA_S6_PS5_21rocsparse_index_base_b
		.amdhsa_group_segment_fixed_size 0
		.amdhsa_private_segment_fixed_size 0
		.amdhsa_kernarg_size 80
		.amdhsa_user_sgpr_count 2
		.amdhsa_user_sgpr_dispatch_ptr 0
		.amdhsa_user_sgpr_queue_ptr 0
		.amdhsa_user_sgpr_kernarg_segment_ptr 1
		.amdhsa_user_sgpr_dispatch_id 0
		.amdhsa_user_sgpr_private_segment_size 0
		.amdhsa_wavefront_size32 1
		.amdhsa_uses_dynamic_stack 0
		.amdhsa_enable_private_segment 0
		.amdhsa_system_sgpr_workgroup_id_x 1
		.amdhsa_system_sgpr_workgroup_id_y 0
		.amdhsa_system_sgpr_workgroup_id_z 0
		.amdhsa_system_sgpr_workgroup_info 0
		.amdhsa_system_vgpr_workitem_id 0
		.amdhsa_next_free_vgpr 19
		.amdhsa_next_free_sgpr 28
		.amdhsa_reserve_vcc 1
		.amdhsa_float_round_mode_32 0
		.amdhsa_float_round_mode_16_64 0
		.amdhsa_float_denorm_mode_32 3
		.amdhsa_float_denorm_mode_16_64 3
		.amdhsa_fp16_overflow 0
		.amdhsa_workgroup_processor_mode 1
		.amdhsa_memory_ordered 1
		.amdhsa_forward_progress 1
		.amdhsa_inst_pref_size 10
		.amdhsa_round_robin_scheduling 0
		.amdhsa_exception_fp_ieee_invalid_op 0
		.amdhsa_exception_fp_denorm_src 0
		.amdhsa_exception_fp_ieee_div_zero 0
		.amdhsa_exception_fp_ieee_overflow 0
		.amdhsa_exception_fp_ieee_underflow 0
		.amdhsa_exception_fp_ieee_inexact 0
		.amdhsa_exception_int_div_zero 0
	.end_amdhsa_kernel
	.section	.text._ZN9rocsparseL23gebsrmvn_general_kernelILj64ELj16E21rocsparse_complex_numIfEEEvi20rocsparse_direction_NS_24const_host_device_scalarIT1_EEPKiS8_PKS5_iiSA_S6_PS5_21rocsparse_index_base_b,"axG",@progbits,_ZN9rocsparseL23gebsrmvn_general_kernelILj64ELj16E21rocsparse_complex_numIfEEEvi20rocsparse_direction_NS_24const_host_device_scalarIT1_EEPKiS8_PKS5_iiSA_S6_PS5_21rocsparse_index_base_b,comdat
.Lfunc_end109:
	.size	_ZN9rocsparseL23gebsrmvn_general_kernelILj64ELj16E21rocsparse_complex_numIfEEEvi20rocsparse_direction_NS_24const_host_device_scalarIT1_EEPKiS8_PKS5_iiSA_S6_PS5_21rocsparse_index_base_b, .Lfunc_end109-_ZN9rocsparseL23gebsrmvn_general_kernelILj64ELj16E21rocsparse_complex_numIfEEEvi20rocsparse_direction_NS_24const_host_device_scalarIT1_EEPKiS8_PKS5_iiSA_S6_PS5_21rocsparse_index_base_b
                                        ; -- End function
	.set _ZN9rocsparseL23gebsrmvn_general_kernelILj64ELj16E21rocsparse_complex_numIfEEEvi20rocsparse_direction_NS_24const_host_device_scalarIT1_EEPKiS8_PKS5_iiSA_S6_PS5_21rocsparse_index_base_b.num_vgpr, 19
	.set _ZN9rocsparseL23gebsrmvn_general_kernelILj64ELj16E21rocsparse_complex_numIfEEEvi20rocsparse_direction_NS_24const_host_device_scalarIT1_EEPKiS8_PKS5_iiSA_S6_PS5_21rocsparse_index_base_b.num_agpr, 0
	.set _ZN9rocsparseL23gebsrmvn_general_kernelILj64ELj16E21rocsparse_complex_numIfEEEvi20rocsparse_direction_NS_24const_host_device_scalarIT1_EEPKiS8_PKS5_iiSA_S6_PS5_21rocsparse_index_base_b.numbered_sgpr, 28
	.set _ZN9rocsparseL23gebsrmvn_general_kernelILj64ELj16E21rocsparse_complex_numIfEEEvi20rocsparse_direction_NS_24const_host_device_scalarIT1_EEPKiS8_PKS5_iiSA_S6_PS5_21rocsparse_index_base_b.num_named_barrier, 0
	.set _ZN9rocsparseL23gebsrmvn_general_kernelILj64ELj16E21rocsparse_complex_numIfEEEvi20rocsparse_direction_NS_24const_host_device_scalarIT1_EEPKiS8_PKS5_iiSA_S6_PS5_21rocsparse_index_base_b.private_seg_size, 0
	.set _ZN9rocsparseL23gebsrmvn_general_kernelILj64ELj16E21rocsparse_complex_numIfEEEvi20rocsparse_direction_NS_24const_host_device_scalarIT1_EEPKiS8_PKS5_iiSA_S6_PS5_21rocsparse_index_base_b.uses_vcc, 1
	.set _ZN9rocsparseL23gebsrmvn_general_kernelILj64ELj16E21rocsparse_complex_numIfEEEvi20rocsparse_direction_NS_24const_host_device_scalarIT1_EEPKiS8_PKS5_iiSA_S6_PS5_21rocsparse_index_base_b.uses_flat_scratch, 0
	.set _ZN9rocsparseL23gebsrmvn_general_kernelILj64ELj16E21rocsparse_complex_numIfEEEvi20rocsparse_direction_NS_24const_host_device_scalarIT1_EEPKiS8_PKS5_iiSA_S6_PS5_21rocsparse_index_base_b.has_dyn_sized_stack, 0
	.set _ZN9rocsparseL23gebsrmvn_general_kernelILj64ELj16E21rocsparse_complex_numIfEEEvi20rocsparse_direction_NS_24const_host_device_scalarIT1_EEPKiS8_PKS5_iiSA_S6_PS5_21rocsparse_index_base_b.has_recursion, 0
	.set _ZN9rocsparseL23gebsrmvn_general_kernelILj64ELj16E21rocsparse_complex_numIfEEEvi20rocsparse_direction_NS_24const_host_device_scalarIT1_EEPKiS8_PKS5_iiSA_S6_PS5_21rocsparse_index_base_b.has_indirect_call, 0
	.section	.AMDGPU.csdata,"",@progbits
; Kernel info:
; codeLenInByte = 1188
; TotalNumSgprs: 30
; NumVgprs: 19
; ScratchSize: 0
; MemoryBound: 0
; FloatMode: 240
; IeeeMode: 1
; LDSByteSize: 0 bytes/workgroup (compile time only)
; SGPRBlocks: 0
; VGPRBlocks: 2
; NumSGPRsForWavesPerEU: 30
; NumVGPRsForWavesPerEU: 19
; Occupancy: 16
; WaveLimiterHint : 1
; COMPUTE_PGM_RSRC2:SCRATCH_EN: 0
; COMPUTE_PGM_RSRC2:USER_SGPR: 2
; COMPUTE_PGM_RSRC2:TRAP_HANDLER: 0
; COMPUTE_PGM_RSRC2:TGID_X_EN: 1
; COMPUTE_PGM_RSRC2:TGID_Y_EN: 0
; COMPUTE_PGM_RSRC2:TGID_Z_EN: 0
; COMPUTE_PGM_RSRC2:TIDIG_COMP_CNT: 0
	.section	.text._ZN9rocsparseL23gebsrmvn_general_kernelILj128ELj32E21rocsparse_complex_numIfEEEvi20rocsparse_direction_NS_24const_host_device_scalarIT1_EEPKiS8_PKS5_iiSA_S6_PS5_21rocsparse_index_base_b,"axG",@progbits,_ZN9rocsparseL23gebsrmvn_general_kernelILj128ELj32E21rocsparse_complex_numIfEEEvi20rocsparse_direction_NS_24const_host_device_scalarIT1_EEPKiS8_PKS5_iiSA_S6_PS5_21rocsparse_index_base_b,comdat
	.globl	_ZN9rocsparseL23gebsrmvn_general_kernelILj128ELj32E21rocsparse_complex_numIfEEEvi20rocsparse_direction_NS_24const_host_device_scalarIT1_EEPKiS8_PKS5_iiSA_S6_PS5_21rocsparse_index_base_b ; -- Begin function _ZN9rocsparseL23gebsrmvn_general_kernelILj128ELj32E21rocsparse_complex_numIfEEEvi20rocsparse_direction_NS_24const_host_device_scalarIT1_EEPKiS8_PKS5_iiSA_S6_PS5_21rocsparse_index_base_b
	.p2align	8
	.type	_ZN9rocsparseL23gebsrmvn_general_kernelILj128ELj32E21rocsparse_complex_numIfEEEvi20rocsparse_direction_NS_24const_host_device_scalarIT1_EEPKiS8_PKS5_iiSA_S6_PS5_21rocsparse_index_base_b,@function
_ZN9rocsparseL23gebsrmvn_general_kernelILj128ELj32E21rocsparse_complex_numIfEEEvi20rocsparse_direction_NS_24const_host_device_scalarIT1_EEPKiS8_PKS5_iiSA_S6_PS5_21rocsparse_index_base_b: ; @_ZN9rocsparseL23gebsrmvn_general_kernelILj128ELj32E21rocsparse_complex_numIfEEEvi20rocsparse_direction_NS_24const_host_device_scalarIT1_EEPKiS8_PKS5_iiSA_S6_PS5_21rocsparse_index_base_b
; %bb.0:
	s_clause 0x2
	s_load_b64 s[8:9], s[0:1], 0x48
	s_load_b64 s[2:3], s[0:1], 0x8
	;; [unrolled: 1-line block ×3, first 2 shown]
	s_add_nc_u64 s[6:7], s[0:1], 8
	s_wait_kmcnt 0x0
	s_bitcmp1_b32 s9, 0
	s_cselect_b32 s2, s6, s2
	s_cselect_b32 s3, s7, s3
	s_delay_alu instid0(SALU_CYCLE_1)
	v_dual_mov_b32 v1, s2 :: v_dual_mov_b32 v2, s3
	s_add_nc_u64 s[2:3], s[0:1], 56
	s_wait_alu 0xfffe
	s_cselect_b32 s2, s2, s4
	s_cselect_b32 s3, s3, s5
	flat_load_b64 v[1:2], v[1:2]
	s_wait_alu 0xfffe
	v_dual_mov_b32 v3, s2 :: v_dual_mov_b32 v4, s3
	flat_load_b64 v[3:4], v[3:4]
	s_wait_loadcnt_dscnt 0x101
	v_cmp_eq_f32_e32 vcc_lo, 0, v1
	v_cmp_eq_f32_e64 s2, 0, v2
	s_and_b32 s4, vcc_lo, s2
	s_mov_b32 s2, -1
	s_and_saveexec_b32 s3, s4
	s_cbranch_execz .LBB110_2
; %bb.1:
	s_wait_loadcnt_dscnt 0x0
	v_cmp_neq_f32_e32 vcc_lo, 1.0, v3
	v_cmp_neq_f32_e64 s2, 0, v4
	s_wait_alu 0xfffe
	s_or_b32 s2, vcc_lo, s2
	s_wait_alu 0xfffe
	s_or_not1_b32 s2, s2, exec_lo
.LBB110_2:
	s_wait_alu 0xfffe
	s_or_b32 exec_lo, exec_lo, s3
	s_and_saveexec_b32 s3, s2
	s_cbranch_execz .LBB110_22
; %bb.3:
	s_load_b64 s[10:11], s[0:1], 0x28
	v_lshrrev_b32_e32 v5, 5, v0
	s_wait_kmcnt 0x0
	s_delay_alu instid0(VALU_DEP_1)
	v_cmp_gt_i32_e32 vcc_lo, s10, v5
	s_and_b32 exec_lo, exec_lo, vcc_lo
	s_cbranch_execz .LBB110_22
; %bb.4:
	s_clause 0x1
	s_load_b128 s[4:7], s[0:1], 0x10
	s_load_b32 s19, s[0:1], 0x4
	v_mbcnt_lo_u32_b32 v6, -1, 0
	s_mov_b32 s2, ttmp9
	s_ashr_i32 s3, ttmp9, 31
	s_mov_b32 s9, 0
	s_wait_alu 0xfffe
	s_lshl_b64 s[2:3], s[2:3], 2
	v_xor_b32_e32 v7, 16, v6
	v_xor_b32_e32 v8, 8, v6
	;; [unrolled: 1-line block ×5, first 2 shown]
	v_cmp_gt_i32_e32 vcc_lo, 32, v7
	v_and_b32_e32 v0, 31, v0
	s_mul_i32 s21, s10, ttmp9
	s_mul_i32 s23, s11, s10
	v_cndmask_b32_e32 v7, v6, v7, vcc_lo
	v_cmp_gt_i32_e32 vcc_lo, 32, v8
	s_wait_kmcnt 0x0
	s_wait_alu 0xfffe
	s_add_nc_u64 s[2:3], s[4:5], s[2:3]
	s_load_b64 s[2:3], s[2:3], 0x0
	s_clause 0x2
	s_load_b64 s[4:5], s[0:1], 0x20
	s_load_b64 s[12:13], s[0:1], 0x30
	;; [unrolled: 1-line block ×3, first 2 shown]
	v_cndmask_b32_e32 v8, v6, v8, vcc_lo
	v_cmp_gt_i32_e32 vcc_lo, 32, v9
	v_cmp_gt_i32_e64 s0, s11, v0
	v_cmp_eq_u32_e64 s1, 31, v0
	s_wait_alu 0xfffd
	v_cndmask_b32_e32 v9, v6, v9, vcc_lo
	v_cmp_gt_i32_e32 vcc_lo, 32, v10
	s_wait_alu 0xfffd
	v_cndmask_b32_e32 v13, v6, v10, vcc_lo
	v_cmp_gt_i32_e32 vcc_lo, 32, v11
	v_lshlrev_b32_e32 v10, 2, v7
	v_lshlrev_b32_e32 v12, 2, v9
	s_wait_kmcnt 0x0
	s_sub_co_i32 s16, s2, s8
	s_wait_alu 0xfffd
	v_dual_cndmask_b32 v14, v6, v11 :: v_dual_lshlrev_b32 v13, 2, v13
	v_lshlrev_b32_e32 v11, 2, v8
	v_mad_co_u64_u32 v[6:7], null, s10, s16, v[5:6]
	s_sub_co_i32 s17, s3, s8
	s_cmp_lt_i32 s2, s3
	s_wait_loadcnt_dscnt 0x0
	v_cmp_eq_f32_e32 vcc_lo, 0, v3
	v_cmp_eq_f32_e64 s2, 0, v4
	v_lshlrev_b32_e32 v14, 2, v14
	s_cselect_b32 s18, -1, 0
	v_mul_lo_u32 v15, s11, v6
	s_cmp_lg_u32 s19, 0
	s_cselect_b32 s19, -1, 0
	s_and_b32 s20, vcc_lo, s2
	s_lshl_b32 s22, s11, 2
	s_branch .LBB110_6
.LBB110_5:                              ;   in Loop: Header=BB110_6 Depth=1
	s_wait_alu 0xfffe
	s_or_b32 exec_lo, exec_lo, s2
	v_add_nc_u32_e32 v5, 4, v5
	v_add_nc_u32_e32 v15, s22, v15
	s_delay_alu instid0(VALU_DEP_2) | instskip(SKIP_1) | instid1(SALU_CYCLE_1)
	v_cmp_le_i32_e32 vcc_lo, s10, v5
	s_or_b32 s9, vcc_lo, s9
	s_and_not1_b32 exec_lo, exec_lo, s9
	s_cbranch_execz .LBB110_22
.LBB110_6:                              ; =>This Loop Header: Depth=1
                                        ;     Child Loop BB110_10 Depth 2
                                        ;       Child Loop BB110_13 Depth 3
	s_wait_dscnt 0x0
	v_dual_mov_b32 v8, 0 :: v_dual_mov_b32 v9, 0
	s_and_not1_b32 vcc_lo, exec_lo, s18
	s_wait_alu 0xfffe
	s_cbranch_vccnz .LBB110_17
; %bb.7:                                ;   in Loop: Header=BB110_6 Depth=1
	v_dual_mov_b32 v8, 0 :: v_dual_mov_b32 v9, 0
	v_mov_b32_e32 v16, v15
	s_mov_b32 s2, s16
	s_branch .LBB110_10
.LBB110_8:                              ;   in Loop: Header=BB110_10 Depth=2
	s_or_b32 exec_lo, exec_lo, s25
.LBB110_9:                              ;   in Loop: Header=BB110_10 Depth=2
	s_delay_alu instid0(SALU_CYCLE_1)
	s_or_b32 exec_lo, exec_lo, s24
	v_add_nc_u32_e32 v16, s23, v16
	s_wait_alu 0xfffe
	s_add_co_i32 s2, s2, 1
	s_wait_alu 0xfffe
	s_cmp_ge_i32 s2, s17
	s_cbranch_scc1 .LBB110_17
.LBB110_10:                             ;   Parent Loop BB110_6 Depth=1
                                        ; =>  This Loop Header: Depth=2
                                        ;       Child Loop BB110_13 Depth 3
	s_and_saveexec_b32 s24, s0
	s_cbranch_execz .LBB110_9
; %bb.11:                               ;   in Loop: Header=BB110_10 Depth=2
	s_wait_alu 0xfffe
	s_ashr_i32 s3, s2, 31
	v_mov_b32_e32 v17, v0
	s_wait_alu 0xfffe
	s_lshl_b64 s[26:27], s[2:3], 2
	s_mov_b32 s25, 0
	s_wait_alu 0xfffe
	s_add_nc_u64 s[26:27], s[6:7], s[26:27]
	s_load_b32 s3, s[26:27], 0x0
	s_wait_kmcnt 0x0
	s_sub_co_i32 s26, s3, s8
	s_mul_i32 s3, s2, s11
	s_wait_alu 0xfffe
	s_mul_i32 s26, s26, s11
	s_branch .LBB110_13
.LBB110_12:                             ;   in Loop: Header=BB110_13 Depth=3
	v_add_nc_u32_e32 v18, s26, v17
	s_delay_alu instid0(VALU_DEP_2) | instskip(NEXT) | instid1(VALU_DEP_2)
	v_ashrrev_i32_e32 v7, 31, v6
	v_ashrrev_i32_e32 v19, 31, v18
	s_delay_alu instid0(VALU_DEP_2) | instskip(NEXT) | instid1(VALU_DEP_2)
	v_lshlrev_b64_e32 v[6:7], 3, v[6:7]
	v_lshlrev_b64_e32 v[18:19], 3, v[18:19]
	s_delay_alu instid0(VALU_DEP_2) | instskip(SKIP_1) | instid1(VALU_DEP_3)
	v_add_co_u32 v6, vcc_lo, s4, v6
	s_wait_alu 0xfffd
	v_add_co_ci_u32_e64 v7, null, s5, v7, vcc_lo
	s_delay_alu instid0(VALU_DEP_3)
	v_add_co_u32 v18, vcc_lo, s12, v18
	s_wait_alu 0xfffd
	v_add_co_ci_u32_e64 v19, null, s13, v19, vcc_lo
	global_load_b64 v[6:7], v[6:7], off
	global_load_b64 v[18:19], v[18:19], off
	s_wait_loadcnt 0x0
	v_dual_fmac_f32 v8, v7, v18 :: v_dual_add_nc_u32 v17, 32, v17
	v_fmac_f32_e32 v9, v6, v18
	s_delay_alu instid0(VALU_DEP_2) | instskip(NEXT) | instid1(VALU_DEP_3)
	v_cmp_le_i32_e32 vcc_lo, s11, v17
	v_fmac_f32_e32 v8, v6, v19
	s_delay_alu instid0(VALU_DEP_3) | instskip(SKIP_1) | instid1(SALU_CYCLE_1)
	v_fma_f32 v9, -v7, v19, v9
	s_or_b32 s25, vcc_lo, s25
	s_and_not1_b32 exec_lo, exec_lo, s25
	s_cbranch_execz .LBB110_8
.LBB110_13:                             ;   Parent Loop BB110_6 Depth=1
                                        ;     Parent Loop BB110_10 Depth=2
                                        ; =>    This Inner Loop Header: Depth=3
	s_and_b32 vcc_lo, exec_lo, s19
	s_wait_alu 0xfffe
	s_cbranch_vccz .LBB110_15
; %bb.14:                               ;   in Loop: Header=BB110_13 Depth=3
	v_add_nc_u32_e32 v6, s3, v17
	s_delay_alu instid0(VALU_DEP_1)
	v_mad_co_u64_u32 v[6:7], null, v6, s10, v[5:6]
	s_cbranch_execnz .LBB110_12
	s_branch .LBB110_16
.LBB110_15:                             ;   in Loop: Header=BB110_13 Depth=3
                                        ; implicit-def: $vgpr6
.LBB110_16:                             ;   in Loop: Header=BB110_13 Depth=3
	v_add_nc_u32_e32 v6, v16, v17
	s_branch .LBB110_12
.LBB110_17:                             ;   in Loop: Header=BB110_6 Depth=1
	ds_bpermute_b32 v6, v10, v9
	ds_bpermute_b32 v7, v10, v8
	s_wait_dscnt 0x0
	v_dual_add_f32 v6, v9, v6 :: v_dual_add_f32 v7, v8, v7
	ds_bpermute_b32 v8, v11, v6
	ds_bpermute_b32 v9, v11, v7
	s_wait_dscnt 0x0
	v_dual_add_f32 v6, v6, v8 :: v_dual_add_f32 v7, v7, v9
	;; [unrolled: 4-line block ×3, first 2 shown]
	ds_bpermute_b32 v8, v13, v6
	ds_bpermute_b32 v9, v13, v7
	s_wait_dscnt 0x1
	v_add_f32_e32 v6, v6, v8
	s_wait_dscnt 0x0
	v_add_f32_e32 v8, v7, v9
	ds_bpermute_b32 v7, v14, v6
	ds_bpermute_b32 v9, v14, v8
	s_and_saveexec_b32 s2, s1
	s_cbranch_execz .LBB110_5
; %bb.18:                               ;   in Loop: Header=BB110_6 Depth=1
	s_wait_dscnt 0x0
	v_dual_add_f32 v8, v8, v9 :: v_dual_add_f32 v9, v6, v7
	s_delay_alu instid0(VALU_DEP_1) | instskip(SKIP_1) | instid1(VALU_DEP_2)
	v_mul_f32_e64 v6, v8, -v2
	v_dual_mul_f32 v7, v1, v8 :: v_dual_add_nc_u32 v8, s21, v5
	v_fmac_f32_e32 v6, v1, v9
	s_delay_alu instid0(VALU_DEP_2) | instskip(NEXT) | instid1(VALU_DEP_3)
	v_fmac_f32_e32 v7, v2, v9
	v_ashrrev_i32_e32 v9, 31, v8
	s_and_saveexec_b32 s3, s20
	s_wait_alu 0xfffe
	s_xor_b32 s3, exec_lo, s3
	s_cbranch_execz .LBB110_20
; %bb.19:                               ;   in Loop: Header=BB110_6 Depth=1
	v_lshlrev_b64_e32 v[8:9], 3, v[8:9]
	s_delay_alu instid0(VALU_DEP_1) | instskip(SKIP_1) | instid1(VALU_DEP_2)
	v_add_co_u32 v8, vcc_lo, s14, v8
	s_wait_alu 0xfffd
	v_add_co_ci_u32_e64 v9, null, s15, v9, vcc_lo
	global_store_b64 v[8:9], v[6:7], off
                                        ; implicit-def: $vgpr8
                                        ; implicit-def: $vgpr6
.LBB110_20:                             ;   in Loop: Header=BB110_6 Depth=1
	s_wait_alu 0xfffe
	s_and_not1_saveexec_b32 s3, s3
	s_cbranch_execz .LBB110_5
; %bb.21:                               ;   in Loop: Header=BB110_6 Depth=1
	v_lshlrev_b64_e32 v[8:9], 3, v[8:9]
	s_delay_alu instid0(VALU_DEP_1) | instskip(SKIP_1) | instid1(VALU_DEP_2)
	v_add_co_u32 v8, vcc_lo, s14, v8
	s_wait_alu 0xfffd
	v_add_co_ci_u32_e64 v9, null, s15, v9, vcc_lo
	global_load_b64 v[16:17], v[8:9], off
	s_wait_loadcnt 0x0
	v_fmac_f32_e32 v6, v3, v16
	v_fmac_f32_e32 v7, v4, v16
	s_delay_alu instid0(VALU_DEP_2) | instskip(NEXT) | instid1(VALU_DEP_2)
	v_fma_f32 v6, -v4, v17, v6
	v_fmac_f32_e32 v7, v3, v17
	global_store_b64 v[8:9], v[6:7], off
	s_branch .LBB110_5
.LBB110_22:
	s_endpgm
	.section	.rodata,"a",@progbits
	.p2align	6, 0x0
	.amdhsa_kernel _ZN9rocsparseL23gebsrmvn_general_kernelILj128ELj32E21rocsparse_complex_numIfEEEvi20rocsparse_direction_NS_24const_host_device_scalarIT1_EEPKiS8_PKS5_iiSA_S6_PS5_21rocsparse_index_base_b
		.amdhsa_group_segment_fixed_size 0
		.amdhsa_private_segment_fixed_size 0
		.amdhsa_kernarg_size 80
		.amdhsa_user_sgpr_count 2
		.amdhsa_user_sgpr_dispatch_ptr 0
		.amdhsa_user_sgpr_queue_ptr 0
		.amdhsa_user_sgpr_kernarg_segment_ptr 1
		.amdhsa_user_sgpr_dispatch_id 0
		.amdhsa_user_sgpr_private_segment_size 0
		.amdhsa_wavefront_size32 1
		.amdhsa_uses_dynamic_stack 0
		.amdhsa_enable_private_segment 0
		.amdhsa_system_sgpr_workgroup_id_x 1
		.amdhsa_system_sgpr_workgroup_id_y 0
		.amdhsa_system_sgpr_workgroup_id_z 0
		.amdhsa_system_sgpr_workgroup_info 0
		.amdhsa_system_vgpr_workitem_id 0
		.amdhsa_next_free_vgpr 20
		.amdhsa_next_free_sgpr 28
		.amdhsa_reserve_vcc 1
		.amdhsa_float_round_mode_32 0
		.amdhsa_float_round_mode_16_64 0
		.amdhsa_float_denorm_mode_32 3
		.amdhsa_float_denorm_mode_16_64 3
		.amdhsa_fp16_overflow 0
		.amdhsa_workgroup_processor_mode 1
		.amdhsa_memory_ordered 1
		.amdhsa_forward_progress 1
		.amdhsa_inst_pref_size 10
		.amdhsa_round_robin_scheduling 0
		.amdhsa_exception_fp_ieee_invalid_op 0
		.amdhsa_exception_fp_denorm_src 0
		.amdhsa_exception_fp_ieee_div_zero 0
		.amdhsa_exception_fp_ieee_overflow 0
		.amdhsa_exception_fp_ieee_underflow 0
		.amdhsa_exception_fp_ieee_inexact 0
		.amdhsa_exception_int_div_zero 0
	.end_amdhsa_kernel
	.section	.text._ZN9rocsparseL23gebsrmvn_general_kernelILj128ELj32E21rocsparse_complex_numIfEEEvi20rocsparse_direction_NS_24const_host_device_scalarIT1_EEPKiS8_PKS5_iiSA_S6_PS5_21rocsparse_index_base_b,"axG",@progbits,_ZN9rocsparseL23gebsrmvn_general_kernelILj128ELj32E21rocsparse_complex_numIfEEEvi20rocsparse_direction_NS_24const_host_device_scalarIT1_EEPKiS8_PKS5_iiSA_S6_PS5_21rocsparse_index_base_b,comdat
.Lfunc_end110:
	.size	_ZN9rocsparseL23gebsrmvn_general_kernelILj128ELj32E21rocsparse_complex_numIfEEEvi20rocsparse_direction_NS_24const_host_device_scalarIT1_EEPKiS8_PKS5_iiSA_S6_PS5_21rocsparse_index_base_b, .Lfunc_end110-_ZN9rocsparseL23gebsrmvn_general_kernelILj128ELj32E21rocsparse_complex_numIfEEEvi20rocsparse_direction_NS_24const_host_device_scalarIT1_EEPKiS8_PKS5_iiSA_S6_PS5_21rocsparse_index_base_b
                                        ; -- End function
	.set _ZN9rocsparseL23gebsrmvn_general_kernelILj128ELj32E21rocsparse_complex_numIfEEEvi20rocsparse_direction_NS_24const_host_device_scalarIT1_EEPKiS8_PKS5_iiSA_S6_PS5_21rocsparse_index_base_b.num_vgpr, 20
	.set _ZN9rocsparseL23gebsrmvn_general_kernelILj128ELj32E21rocsparse_complex_numIfEEEvi20rocsparse_direction_NS_24const_host_device_scalarIT1_EEPKiS8_PKS5_iiSA_S6_PS5_21rocsparse_index_base_b.num_agpr, 0
	.set _ZN9rocsparseL23gebsrmvn_general_kernelILj128ELj32E21rocsparse_complex_numIfEEEvi20rocsparse_direction_NS_24const_host_device_scalarIT1_EEPKiS8_PKS5_iiSA_S6_PS5_21rocsparse_index_base_b.numbered_sgpr, 28
	.set _ZN9rocsparseL23gebsrmvn_general_kernelILj128ELj32E21rocsparse_complex_numIfEEEvi20rocsparse_direction_NS_24const_host_device_scalarIT1_EEPKiS8_PKS5_iiSA_S6_PS5_21rocsparse_index_base_b.num_named_barrier, 0
	.set _ZN9rocsparseL23gebsrmvn_general_kernelILj128ELj32E21rocsparse_complex_numIfEEEvi20rocsparse_direction_NS_24const_host_device_scalarIT1_EEPKiS8_PKS5_iiSA_S6_PS5_21rocsparse_index_base_b.private_seg_size, 0
	.set _ZN9rocsparseL23gebsrmvn_general_kernelILj128ELj32E21rocsparse_complex_numIfEEEvi20rocsparse_direction_NS_24const_host_device_scalarIT1_EEPKiS8_PKS5_iiSA_S6_PS5_21rocsparse_index_base_b.uses_vcc, 1
	.set _ZN9rocsparseL23gebsrmvn_general_kernelILj128ELj32E21rocsparse_complex_numIfEEEvi20rocsparse_direction_NS_24const_host_device_scalarIT1_EEPKiS8_PKS5_iiSA_S6_PS5_21rocsparse_index_base_b.uses_flat_scratch, 0
	.set _ZN9rocsparseL23gebsrmvn_general_kernelILj128ELj32E21rocsparse_complex_numIfEEEvi20rocsparse_direction_NS_24const_host_device_scalarIT1_EEPKiS8_PKS5_iiSA_S6_PS5_21rocsparse_index_base_b.has_dyn_sized_stack, 0
	.set _ZN9rocsparseL23gebsrmvn_general_kernelILj128ELj32E21rocsparse_complex_numIfEEEvi20rocsparse_direction_NS_24const_host_device_scalarIT1_EEPKiS8_PKS5_iiSA_S6_PS5_21rocsparse_index_base_b.has_recursion, 0
	.set _ZN9rocsparseL23gebsrmvn_general_kernelILj128ELj32E21rocsparse_complex_numIfEEEvi20rocsparse_direction_NS_24const_host_device_scalarIT1_EEPKiS8_PKS5_iiSA_S6_PS5_21rocsparse_index_base_b.has_indirect_call, 0
	.section	.AMDGPU.csdata,"",@progbits
; Kernel info:
; codeLenInByte = 1240
; TotalNumSgprs: 30
; NumVgprs: 20
; ScratchSize: 0
; MemoryBound: 0
; FloatMode: 240
; IeeeMode: 1
; LDSByteSize: 0 bytes/workgroup (compile time only)
; SGPRBlocks: 0
; VGPRBlocks: 2
; NumSGPRsForWavesPerEU: 30
; NumVGPRsForWavesPerEU: 20
; Occupancy: 16
; WaveLimiterHint : 1
; COMPUTE_PGM_RSRC2:SCRATCH_EN: 0
; COMPUTE_PGM_RSRC2:USER_SGPR: 2
; COMPUTE_PGM_RSRC2:TRAP_HANDLER: 0
; COMPUTE_PGM_RSRC2:TGID_X_EN: 1
; COMPUTE_PGM_RSRC2:TGID_Y_EN: 0
; COMPUTE_PGM_RSRC2:TGID_Z_EN: 0
; COMPUTE_PGM_RSRC2:TIDIG_COMP_CNT: 0
	.section	.text._ZN9rocsparseL19gebsrmvn_4xn_kernelILj128ELj1ELj4E21rocsparse_complex_numIdEEEvi20rocsparse_direction_NS_24const_host_device_scalarIT2_EEPKiS8_PKS5_SA_S6_PS5_21rocsparse_index_base_b,"axG",@progbits,_ZN9rocsparseL19gebsrmvn_4xn_kernelILj128ELj1ELj4E21rocsparse_complex_numIdEEEvi20rocsparse_direction_NS_24const_host_device_scalarIT2_EEPKiS8_PKS5_SA_S6_PS5_21rocsparse_index_base_b,comdat
	.globl	_ZN9rocsparseL19gebsrmvn_4xn_kernelILj128ELj1ELj4E21rocsparse_complex_numIdEEEvi20rocsparse_direction_NS_24const_host_device_scalarIT2_EEPKiS8_PKS5_SA_S6_PS5_21rocsparse_index_base_b ; -- Begin function _ZN9rocsparseL19gebsrmvn_4xn_kernelILj128ELj1ELj4E21rocsparse_complex_numIdEEEvi20rocsparse_direction_NS_24const_host_device_scalarIT2_EEPKiS8_PKS5_SA_S6_PS5_21rocsparse_index_base_b
	.p2align	8
	.type	_ZN9rocsparseL19gebsrmvn_4xn_kernelILj128ELj1ELj4E21rocsparse_complex_numIdEEEvi20rocsparse_direction_NS_24const_host_device_scalarIT2_EEPKiS8_PKS5_SA_S6_PS5_21rocsparse_index_base_b,@function
_ZN9rocsparseL19gebsrmvn_4xn_kernelILj128ELj1ELj4E21rocsparse_complex_numIdEEEvi20rocsparse_direction_NS_24const_host_device_scalarIT2_EEPKiS8_PKS5_SA_S6_PS5_21rocsparse_index_base_b: ; @_ZN9rocsparseL19gebsrmvn_4xn_kernelILj128ELj1ELj4E21rocsparse_complex_numIdEEEvi20rocsparse_direction_NS_24const_host_device_scalarIT2_EEPKiS8_PKS5_SA_S6_PS5_21rocsparse_index_base_b
; %bb.0:
	s_clause 0x1
	s_load_b64 s[12:13], s[0:1], 0x50
	s_load_b64 s[2:3], s[0:1], 0x8
	s_add_nc_u64 s[4:5], s[0:1], 8
	s_load_b64 s[6:7], s[0:1], 0x38
	s_wait_kmcnt 0x0
	s_bitcmp1_b32 s13, 0
	s_cselect_b32 s2, s4, s2
	s_cselect_b32 s3, s5, s3
	s_delay_alu instid0(SALU_CYCLE_1)
	v_dual_mov_b32 v1, s2 :: v_dual_mov_b32 v2, s3
	s_add_nc_u64 s[2:3], s[0:1], 56
	s_wait_alu 0xfffe
	s_cselect_b32 s2, s2, s6
	s_cselect_b32 s3, s3, s7
	flat_load_b128 v[1:4], v[1:2]
	s_wait_alu 0xfffe
	v_dual_mov_b32 v5, s2 :: v_dual_mov_b32 v6, s3
	flat_load_b128 v[5:8], v[5:6]
	s_wait_loadcnt_dscnt 0x101
	v_cmp_eq_f64_e32 vcc_lo, 0, v[1:2]
	v_cmp_eq_f64_e64 s2, 0, v[3:4]
	s_and_b32 s4, vcc_lo, s2
	s_mov_b32 s2, -1
	s_and_saveexec_b32 s3, s4
	s_cbranch_execz .LBB111_2
; %bb.1:
	s_wait_loadcnt_dscnt 0x0
	v_cmp_neq_f64_e32 vcc_lo, 1.0, v[5:6]
	v_cmp_neq_f64_e64 s2, 0, v[7:8]
	s_wait_alu 0xfffe
	s_or_b32 s2, vcc_lo, s2
	s_wait_alu 0xfffe
	s_or_not1_b32 s2, s2, exec_lo
.LBB111_2:
	s_wait_alu 0xfffe
	s_or_b32 exec_lo, exec_lo, s3
	s_and_saveexec_b32 s3, s2
	s_cbranch_execz .LBB111_21
; %bb.3:
	s_load_b64 s[2:3], s[0:1], 0x0
	v_lshrrev_b32_e32 v9, 2, v0
	s_delay_alu instid0(VALU_DEP_1) | instskip(SKIP_1) | instid1(VALU_DEP_1)
	v_lshl_or_b32 v9, ttmp9, 5, v9
	s_wait_kmcnt 0x0
	v_cmp_gt_i32_e32 vcc_lo, s2, v9
	s_and_b32 exec_lo, exec_lo, vcc_lo
	s_cbranch_execz .LBB111_21
; %bb.4:
	s_load_b256 s[4:11], s[0:1], 0x18
	v_ashrrev_i32_e32 v10, 31, v9
	v_and_b32_e32 v0, 3, v0
	s_cmp_lg_u32 s3, 0
	s_delay_alu instid0(VALU_DEP_2) | instskip(SKIP_1) | instid1(VALU_DEP_1)
	v_lshlrev_b64_e32 v[10:11], 2, v[9:10]
	s_wait_kmcnt 0x0
	v_add_co_u32 v10, vcc_lo, s4, v10
	s_delay_alu instid0(VALU_DEP_1) | instskip(SKIP_4) | instid1(VALU_DEP_2)
	v_add_co_ci_u32_e64 v11, null, s5, v11, vcc_lo
	global_load_b64 v[10:11], v[10:11], off
	s_wait_loadcnt 0x0
	v_subrev_nc_u32_e32 v10, s12, v10
	v_subrev_nc_u32_e32 v31, s12, v11
	v_add_nc_u32_e32 v26, v10, v0
	s_delay_alu instid0(VALU_DEP_1)
	v_cmp_lt_i32_e64 s2, v26, v31
	s_cbranch_scc0 .LBB111_10
; %bb.5:
	v_mov_b32_e32 v10, 0
	v_mov_b32_e32 v12, 0
	;; [unrolled: 1-line block ×3, first 2 shown]
	v_dual_mov_b32 v22, 0 :: v_dual_mov_b32 v11, 0
	v_dual_mov_b32 v16, 0 :: v_dual_mov_b32 v13, 0
	;; [unrolled: 1-line block ×5, first 2 shown]
	v_mov_b32_e32 v15, 0
	v_mov_b32_e32 v21, 0
	;; [unrolled: 1-line block ×3, first 2 shown]
	s_and_saveexec_b32 s3, s2
	s_cbranch_execz .LBB111_9
; %bb.6:
	v_mov_b32_e32 v16, 0
	v_mov_b32_e32 v14, 0
	v_dual_mov_b32 v20, 0 :: v_dual_lshlrev_b32 v27, 2, v26
	v_dual_mov_b32 v10, 0 :: v_dual_mov_b32 v17, 0
	v_dual_mov_b32 v12, 0 :: v_dual_mov_b32 v15, 0
	v_dual_mov_b32 v18, 0 :: v_dual_mov_b32 v21, 0
	v_mov_b32_e32 v22, 0
	v_dual_mov_b32 v24, 0 :: v_dual_mov_b32 v29, v26
	v_dual_mov_b32 v11, 0 :: v_dual_mov_b32 v28, 0
	v_mov_b32_e32 v13, 0
	v_mov_b32_e32 v19, 0
	;; [unrolled: 1-line block ×4, first 2 shown]
	s_mov_b32 s4, 0
.LBB111_7:                              ; =>This Inner Loop Header: Depth=1
	v_ashrrev_i32_e32 v30, 31, v29
	v_mov_b32_e32 v49, v28
	s_delay_alu instid0(VALU_DEP_2) | instskip(SKIP_1) | instid1(VALU_DEP_2)
	v_lshlrev_b64_e32 v[32:33], 2, v[29:30]
	v_add_nc_u32_e32 v29, 4, v29
	v_add_co_u32 v32, vcc_lo, s6, v32
	s_wait_alu 0xfffd
	s_delay_alu instid0(VALU_DEP_3) | instskip(SKIP_3) | instid1(VALU_DEP_2)
	v_add_co_ci_u32_e64 v33, null, s7, v33, vcc_lo
	global_load_b32 v30, v[32:33], off
	v_lshlrev_b64_e32 v[32:33], 4, v[27:28]
	v_add_nc_u32_e32 v27, 16, v27
	v_add_co_u32 v44, vcc_lo, s8, v32
	s_wait_alu 0xfffd
	s_delay_alu instid0(VALU_DEP_3)
	v_add_co_ci_u32_e64 v45, null, s9, v33, vcc_lo
	s_clause 0x3
	global_load_b128 v[32:35], v[44:45], off offset:48
	global_load_b128 v[36:39], v[44:45], off offset:32
	;; [unrolled: 1-line block ×3, first 2 shown]
	global_load_b128 v[44:47], v[44:45], off
	s_wait_loadcnt 0x4
	v_subrev_nc_u32_e32 v48, s12, v30
	s_delay_alu instid0(VALU_DEP_1) | instskip(NEXT) | instid1(VALU_DEP_1)
	v_lshlrev_b64_e32 v[48:49], 4, v[48:49]
	v_add_co_u32 v48, vcc_lo, s10, v48
	s_wait_alu 0xfffd
	s_delay_alu instid0(VALU_DEP_2)
	v_add_co_ci_u32_e64 v49, null, s11, v49, vcc_lo
	v_cmp_ge_i32_e32 vcc_lo, v29, v31
	global_load_b128 v[48:51], v[48:49], off
	s_wait_alu 0xfffe
	s_or_b32 s4, vcc_lo, s4
	s_wait_loadcnt 0x0
	v_fma_f64 v[16:17], v[44:45], v[48:49], v[16:17]
	v_fma_f64 v[10:11], v[46:47], v[48:49], v[10:11]
	;; [unrolled: 1-line block ×8, first 2 shown]
	v_fma_f64 v[16:17], -v[46:47], v[50:51], v[16:17]
	v_fma_f64 v[10:11], v[44:45], v[50:51], v[10:11]
	v_fma_f64 v[22:23], -v[42:43], v[50:51], v[22:23]
	v_fma_f64 v[24:25], v[40:41], v[50:51], v[24:25]
	v_fma_f64 v[18:19], -v[38:39], v[50:51], v[18:19]
	v_fma_f64 v[20:21], v[36:37], v[50:51], v[20:21]
	v_fma_f64 v[12:13], -v[34:35], v[50:51], v[12:13]
	v_fma_f64 v[14:15], v[32:33], v[50:51], v[14:15]
	s_wait_alu 0xfffe
	s_and_not1_b32 exec_lo, exec_lo, s4
	s_cbranch_execnz .LBB111_7
; %bb.8:
	s_or_b32 exec_lo, exec_lo, s4
.LBB111_9:
	s_wait_alu 0xfffe
	s_or_b32 exec_lo, exec_lo, s3
	s_cbranch_execz .LBB111_11
	s_branch .LBB111_16
.LBB111_10:
                                        ; implicit-def: $vgpr10_vgpr11
                                        ; implicit-def: $vgpr16_vgpr17
                                        ; implicit-def: $vgpr12_vgpr13
                                        ; implicit-def: $vgpr14_vgpr15
                                        ; implicit-def: $vgpr18_vgpr19
                                        ; implicit-def: $vgpr20_vgpr21
                                        ; implicit-def: $vgpr22_vgpr23
                                        ; implicit-def: $vgpr24_vgpr25
.LBB111_11:
	v_mov_b32_e32 v10, 0
	v_mov_b32_e32 v12, 0
	;; [unrolled: 1-line block ×3, first 2 shown]
	v_dual_mov_b32 v22, 0 :: v_dual_mov_b32 v11, 0
	v_dual_mov_b32 v16, 0 :: v_dual_mov_b32 v13, 0
	;; [unrolled: 1-line block ×5, first 2 shown]
	v_mov_b32_e32 v15, 0
	v_mov_b32_e32 v21, 0
	;; [unrolled: 1-line block ×3, first 2 shown]
	s_and_saveexec_b32 s3, s2
	s_cbranch_execz .LBB111_15
; %bb.12:
	v_mov_b32_e32 v10, 0
	v_mov_b32_e32 v16, 0
	;; [unrolled: 1-line block ×7, first 2 shown]
	v_dual_mov_b32 v24, 0 :: v_dual_mov_b32 v29, 0
	v_dual_mov_b32 v11, 0 :: v_dual_lshlrev_b32 v28, 2, v26
	v_mov_b32_e32 v17, 0
	v_mov_b32_e32 v13, 0
	;; [unrolled: 1-line block ×7, first 2 shown]
	s_mov_b32 s2, 0
.LBB111_13:                             ; =>This Inner Loop Header: Depth=1
	v_ashrrev_i32_e32 v27, 31, v26
	v_mov_b32_e32 v49, v29
	s_delay_alu instid0(VALU_DEP_2) | instskip(SKIP_1) | instid1(VALU_DEP_2)
	v_lshlrev_b64_e32 v[32:33], 2, v[26:27]
	v_add_nc_u32_e32 v26, 4, v26
	v_add_co_u32 v32, vcc_lo, s6, v32
	s_wait_alu 0xfffd
	s_delay_alu instid0(VALU_DEP_3) | instskip(SKIP_3) | instid1(VALU_DEP_2)
	v_add_co_ci_u32_e64 v33, null, s7, v33, vcc_lo
	global_load_b32 v27, v[32:33], off
	v_lshlrev_b64_e32 v[32:33], 4, v[28:29]
	v_add_nc_u32_e32 v28, 16, v28
	v_add_co_u32 v44, vcc_lo, s8, v32
	s_wait_alu 0xfffd
	s_delay_alu instid0(VALU_DEP_3)
	v_add_co_ci_u32_e64 v45, null, s9, v33, vcc_lo
	s_clause 0x3
	global_load_b128 v[32:35], v[44:45], off offset:48
	global_load_b128 v[36:39], v[44:45], off offset:32
	;; [unrolled: 1-line block ×3, first 2 shown]
	global_load_b128 v[44:47], v[44:45], off
	s_wait_loadcnt 0x4
	v_subrev_nc_u32_e32 v48, s12, v27
	s_delay_alu instid0(VALU_DEP_1) | instskip(NEXT) | instid1(VALU_DEP_1)
	v_lshlrev_b64_e32 v[48:49], 4, v[48:49]
	v_add_co_u32 v48, vcc_lo, s10, v48
	s_wait_alu 0xfffd
	s_delay_alu instid0(VALU_DEP_2)
	v_add_co_ci_u32_e64 v49, null, s11, v49, vcc_lo
	v_cmp_ge_i32_e32 vcc_lo, v26, v31
	global_load_b128 v[48:51], v[48:49], off
	s_wait_alu 0xfffe
	s_or_b32 s2, vcc_lo, s2
	s_wait_loadcnt 0x0
	v_fma_f64 v[16:17], v[44:45], v[48:49], v[16:17]
	v_fma_f64 v[10:11], v[46:47], v[48:49], v[10:11]
	;; [unrolled: 1-line block ×8, first 2 shown]
	v_fma_f64 v[16:17], -v[46:47], v[50:51], v[16:17]
	v_fma_f64 v[10:11], v[44:45], v[50:51], v[10:11]
	v_fma_f64 v[22:23], -v[42:43], v[50:51], v[22:23]
	v_fma_f64 v[24:25], v[40:41], v[50:51], v[24:25]
	;; [unrolled: 2-line block ×4, first 2 shown]
	s_wait_alu 0xfffe
	s_and_not1_b32 exec_lo, exec_lo, s2
	s_cbranch_execnz .LBB111_13
; %bb.14:
	s_or_b32 exec_lo, exec_lo, s2
.LBB111_15:
	s_wait_alu 0xfffe
	s_or_b32 exec_lo, exec_lo, s3
.LBB111_16:
	v_mbcnt_lo_u32_b32 v46, -1, 0
	s_delay_alu instid0(VALU_DEP_1) | instskip(NEXT) | instid1(VALU_DEP_1)
	v_xor_b32_e32 v26, 2, v46
	v_cmp_gt_i32_e32 vcc_lo, 32, v26
	s_wait_alu 0xfffd
	v_cndmask_b32_e32 v26, v46, v26, vcc_lo
	s_delay_alu instid0(VALU_DEP_1)
	v_lshlrev_b32_e32 v30, 2, v26
	ds_bpermute_b32 v26, v30, v16
	ds_bpermute_b32 v27, v30, v17
	;; [unrolled: 1-line block ×16, first 2 shown]
	s_wait_dscnt 0xe
	v_add_f64_e32 v[32:33], v[16:17], v[26:27]
	s_wait_dscnt 0xc
	v_add_f64_e32 v[30:31], v[10:11], v[28:29]
	v_xor_b32_e32 v10, 1, v46
	s_wait_dscnt 0xa
	v_add_f64_e32 v[28:29], v[22:23], v[34:35]
	s_wait_dscnt 0x8
	v_add_f64_e32 v[22:23], v[24:25], v[36:37]
	;; [unrolled: 2-line block ×3, first 2 shown]
	v_cmp_gt_i32_e32 vcc_lo, 32, v10
	s_wait_dscnt 0x4
	v_add_f64_e32 v[20:21], v[20:21], v[40:41]
	s_wait_dscnt 0x2
	v_add_f64_e32 v[16:17], v[12:13], v[42:43]
	;; [unrolled: 2-line block ×3, first 2 shown]
	s_wait_alu 0xfffd
	v_cndmask_b32_e32 v10, v46, v10, vcc_lo
	v_cmp_eq_u32_e32 vcc_lo, 3, v0
	s_delay_alu instid0(VALU_DEP_2)
	v_lshlrev_b32_e32 v37, 2, v10
	ds_bpermute_b32 v10, v37, v32
	ds_bpermute_b32 v11, v37, v33
	;; [unrolled: 1-line block ×16, first 2 shown]
	s_and_b32 exec_lo, exec_lo, vcc_lo
	s_cbranch_execz .LBB111_21
; %bb.17:
	v_cmp_eq_f64_e32 vcc_lo, 0, v[5:6]
	v_cmp_eq_f64_e64 s2, 0, v[7:8]
	s_wait_dscnt 0xe
	v_add_f64_e32 v[10:11], v[32:33], v[10:11]
	s_wait_dscnt 0xc
	v_add_f64_e32 v[24:25], v[30:31], v[24:25]
	;; [unrolled: 2-line block ×8, first 2 shown]
	s_load_b64 s[0:1], s[0:1], 0x48
	s_and_b32 s2, vcc_lo, s2
	s_wait_alu 0xfffe
	s_and_saveexec_b32 s3, s2
	s_wait_alu 0xfffe
	s_xor_b32 s2, exec_lo, s3
	s_cbranch_execz .LBB111_19
; %bb.18:
	v_mul_f64_e64 v[5:6], v[24:25], -v[3:4]
	v_mul_f64_e32 v[7:8], v[1:2], v[24:25]
	v_mul_f64_e64 v[24:25], v[22:23], -v[3:4]
	v_mul_f64_e32 v[22:23], v[1:2], v[22:23]
	;; [unrolled: 2-line block ×4, first 2 shown]
	v_fma_f64 v[5:6], v[1:2], v[10:11], v[5:6]
	v_fma_f64 v[7:8], v[3:4], v[10:11], v[7:8]
	;; [unrolled: 1-line block ×8, first 2 shown]
	v_lshlrev_b32_e32 v14, 2, v9
                                        ; implicit-def: $vgpr9
                                        ; implicit-def: $vgpr24_vgpr25
                                        ; implicit-def: $vgpr22_vgpr23
                                        ; implicit-def: $vgpr16_vgpr17
	s_delay_alu instid0(VALU_DEP_1) | instskip(NEXT) | instid1(VALU_DEP_1)
	v_ashrrev_i32_e32 v15, 31, v14
	v_lshlrev_b64_e32 v[14:15], 4, v[14:15]
	s_wait_kmcnt 0x0
	s_delay_alu instid0(VALU_DEP_1) | instskip(SKIP_1) | instid1(VALU_DEP_2)
	v_add_co_u32 v14, vcc_lo, s0, v14
	s_wait_alu 0xfffd
	v_add_co_ci_u32_e64 v15, null, s1, v15, vcc_lo
	s_clause 0x3
	global_store_b128 v[14:15], v[5:8], off
	global_store_b128 v[14:15], v[10:13], off offset:16
	global_store_b128 v[14:15], v[18:21], off offset:32
	;; [unrolled: 1-line block ×3, first 2 shown]
                                        ; implicit-def: $vgpr10_vgpr11
                                        ; implicit-def: $vgpr12_vgpr13
                                        ; implicit-def: $vgpr14_vgpr15
                                        ; implicit-def: $vgpr20_vgpr21
                                        ; implicit-def: $vgpr18_vgpr19
                                        ; implicit-def: $vgpr7_vgpr8
                                        ; implicit-def: $vgpr3_vgpr4
.LBB111_19:
	s_wait_alu 0xfffe
	s_and_not1_saveexec_b32 s2, s2
	s_cbranch_execz .LBB111_21
; %bb.20:
	v_lshlrev_b32_e32 v26, 2, v9
	v_mul_f64_e64 v[44:45], v[24:25], -v[3:4]
	v_mul_f64_e32 v[24:25], v[1:2], v[24:25]
	v_mul_f64_e64 v[46:47], v[22:23], -v[3:4]
	v_mul_f64_e32 v[22:23], v[1:2], v[22:23]
	v_ashrrev_i32_e32 v27, 31, v26
	v_mul_f64_e64 v[48:49], v[20:21], -v[3:4]
	v_mul_f64_e32 v[20:21], v[1:2], v[20:21]
	v_mul_f64_e64 v[50:51], v[18:19], -v[3:4]
	v_mul_f64_e32 v[18:19], v[1:2], v[18:19]
	v_lshlrev_b64_e32 v[26:27], 4, v[26:27]
	s_wait_kmcnt 0x0
	s_delay_alu instid0(VALU_DEP_1) | instskip(SKIP_1) | instid1(VALU_DEP_2)
	v_add_co_u32 v42, vcc_lo, s0, v26
	s_wait_alu 0xfffd
	v_add_co_ci_u32_e64 v43, null, s1, v27, vcc_lo
	s_clause 0x3
	global_load_b128 v[26:29], v[42:43], off
	global_load_b128 v[30:33], v[42:43], off offset:16
	global_load_b128 v[34:37], v[42:43], off offset:32
	;; [unrolled: 1-line block ×3, first 2 shown]
	v_fma_f64 v[44:45], v[1:2], v[10:11], v[44:45]
	v_fma_f64 v[9:10], v[3:4], v[10:11], v[24:25]
	v_fma_f64 v[24:25], v[1:2], v[12:13], v[46:47]
	v_fma_f64 v[11:12], v[3:4], v[12:13], v[22:23]
	v_fma_f64 v[22:23], v[1:2], v[14:15], v[48:49]
	v_fma_f64 v[13:14], v[3:4], v[14:15], v[20:21]
	v_fma_f64 v[0:1], v[1:2], v[16:17], v[50:51]
	v_fma_f64 v[2:3], v[3:4], v[16:17], v[18:19]
	s_wait_loadcnt 0x3
	v_fma_f64 v[15:16], v[5:6], v[26:27], v[44:45]
	v_fma_f64 v[9:10], v[7:8], v[26:27], v[9:10]
	s_wait_loadcnt 0x2
	v_fma_f64 v[17:18], v[5:6], v[30:31], v[24:25]
	v_fma_f64 v[11:12], v[7:8], v[30:31], v[11:12]
	;; [unrolled: 3-line block ×4, first 2 shown]
	v_fma_f64 v[0:1], -v[7:8], v[28:29], v[15:16]
	v_fma_f64 v[2:3], v[5:6], v[28:29], v[9:10]
	v_fma_f64 v[9:10], -v[7:8], v[32:33], v[17:18]
	v_fma_f64 v[11:12], v[5:6], v[32:33], v[11:12]
	;; [unrolled: 2-line block ×4, first 2 shown]
	s_clause 0x3
	global_store_b128 v[42:43], v[0:3], off
	global_store_b128 v[42:43], v[9:12], off offset:16
	global_store_b128 v[42:43], v[13:16], off offset:32
	;; [unrolled: 1-line block ×3, first 2 shown]
.LBB111_21:
	s_endpgm
	.section	.rodata,"a",@progbits
	.p2align	6, 0x0
	.amdhsa_kernel _ZN9rocsparseL19gebsrmvn_4xn_kernelILj128ELj1ELj4E21rocsparse_complex_numIdEEEvi20rocsparse_direction_NS_24const_host_device_scalarIT2_EEPKiS8_PKS5_SA_S6_PS5_21rocsparse_index_base_b
		.amdhsa_group_segment_fixed_size 0
		.amdhsa_private_segment_fixed_size 0
		.amdhsa_kernarg_size 88
		.amdhsa_user_sgpr_count 2
		.amdhsa_user_sgpr_dispatch_ptr 0
		.amdhsa_user_sgpr_queue_ptr 0
		.amdhsa_user_sgpr_kernarg_segment_ptr 1
		.amdhsa_user_sgpr_dispatch_id 0
		.amdhsa_user_sgpr_private_segment_size 0
		.amdhsa_wavefront_size32 1
		.amdhsa_uses_dynamic_stack 0
		.amdhsa_enable_private_segment 0
		.amdhsa_system_sgpr_workgroup_id_x 1
		.amdhsa_system_sgpr_workgroup_id_y 0
		.amdhsa_system_sgpr_workgroup_id_z 0
		.amdhsa_system_sgpr_workgroup_info 0
		.amdhsa_system_vgpr_workitem_id 0
		.amdhsa_next_free_vgpr 52
		.amdhsa_next_free_sgpr 14
		.amdhsa_reserve_vcc 1
		.amdhsa_float_round_mode_32 0
		.amdhsa_float_round_mode_16_64 0
		.amdhsa_float_denorm_mode_32 3
		.amdhsa_float_denorm_mode_16_64 3
		.amdhsa_fp16_overflow 0
		.amdhsa_workgroup_processor_mode 1
		.amdhsa_memory_ordered 1
		.amdhsa_forward_progress 1
		.amdhsa_inst_pref_size 20
		.amdhsa_round_robin_scheduling 0
		.amdhsa_exception_fp_ieee_invalid_op 0
		.amdhsa_exception_fp_denorm_src 0
		.amdhsa_exception_fp_ieee_div_zero 0
		.amdhsa_exception_fp_ieee_overflow 0
		.amdhsa_exception_fp_ieee_underflow 0
		.amdhsa_exception_fp_ieee_inexact 0
		.amdhsa_exception_int_div_zero 0
	.end_amdhsa_kernel
	.section	.text._ZN9rocsparseL19gebsrmvn_4xn_kernelILj128ELj1ELj4E21rocsparse_complex_numIdEEEvi20rocsparse_direction_NS_24const_host_device_scalarIT2_EEPKiS8_PKS5_SA_S6_PS5_21rocsparse_index_base_b,"axG",@progbits,_ZN9rocsparseL19gebsrmvn_4xn_kernelILj128ELj1ELj4E21rocsparse_complex_numIdEEEvi20rocsparse_direction_NS_24const_host_device_scalarIT2_EEPKiS8_PKS5_SA_S6_PS5_21rocsparse_index_base_b,comdat
.Lfunc_end111:
	.size	_ZN9rocsparseL19gebsrmvn_4xn_kernelILj128ELj1ELj4E21rocsparse_complex_numIdEEEvi20rocsparse_direction_NS_24const_host_device_scalarIT2_EEPKiS8_PKS5_SA_S6_PS5_21rocsparse_index_base_b, .Lfunc_end111-_ZN9rocsparseL19gebsrmvn_4xn_kernelILj128ELj1ELj4E21rocsparse_complex_numIdEEEvi20rocsparse_direction_NS_24const_host_device_scalarIT2_EEPKiS8_PKS5_SA_S6_PS5_21rocsparse_index_base_b
                                        ; -- End function
	.set _ZN9rocsparseL19gebsrmvn_4xn_kernelILj128ELj1ELj4E21rocsparse_complex_numIdEEEvi20rocsparse_direction_NS_24const_host_device_scalarIT2_EEPKiS8_PKS5_SA_S6_PS5_21rocsparse_index_base_b.num_vgpr, 52
	.set _ZN9rocsparseL19gebsrmvn_4xn_kernelILj128ELj1ELj4E21rocsparse_complex_numIdEEEvi20rocsparse_direction_NS_24const_host_device_scalarIT2_EEPKiS8_PKS5_SA_S6_PS5_21rocsparse_index_base_b.num_agpr, 0
	.set _ZN9rocsparseL19gebsrmvn_4xn_kernelILj128ELj1ELj4E21rocsparse_complex_numIdEEEvi20rocsparse_direction_NS_24const_host_device_scalarIT2_EEPKiS8_PKS5_SA_S6_PS5_21rocsparse_index_base_b.numbered_sgpr, 14
	.set _ZN9rocsparseL19gebsrmvn_4xn_kernelILj128ELj1ELj4E21rocsparse_complex_numIdEEEvi20rocsparse_direction_NS_24const_host_device_scalarIT2_EEPKiS8_PKS5_SA_S6_PS5_21rocsparse_index_base_b.num_named_barrier, 0
	.set _ZN9rocsparseL19gebsrmvn_4xn_kernelILj128ELj1ELj4E21rocsparse_complex_numIdEEEvi20rocsparse_direction_NS_24const_host_device_scalarIT2_EEPKiS8_PKS5_SA_S6_PS5_21rocsparse_index_base_b.private_seg_size, 0
	.set _ZN9rocsparseL19gebsrmvn_4xn_kernelILj128ELj1ELj4E21rocsparse_complex_numIdEEEvi20rocsparse_direction_NS_24const_host_device_scalarIT2_EEPKiS8_PKS5_SA_S6_PS5_21rocsparse_index_base_b.uses_vcc, 1
	.set _ZN9rocsparseL19gebsrmvn_4xn_kernelILj128ELj1ELj4E21rocsparse_complex_numIdEEEvi20rocsparse_direction_NS_24const_host_device_scalarIT2_EEPKiS8_PKS5_SA_S6_PS5_21rocsparse_index_base_b.uses_flat_scratch, 0
	.set _ZN9rocsparseL19gebsrmvn_4xn_kernelILj128ELj1ELj4E21rocsparse_complex_numIdEEEvi20rocsparse_direction_NS_24const_host_device_scalarIT2_EEPKiS8_PKS5_SA_S6_PS5_21rocsparse_index_base_b.has_dyn_sized_stack, 0
	.set _ZN9rocsparseL19gebsrmvn_4xn_kernelILj128ELj1ELj4E21rocsparse_complex_numIdEEEvi20rocsparse_direction_NS_24const_host_device_scalarIT2_EEPKiS8_PKS5_SA_S6_PS5_21rocsparse_index_base_b.has_recursion, 0
	.set _ZN9rocsparseL19gebsrmvn_4xn_kernelILj128ELj1ELj4E21rocsparse_complex_numIdEEEvi20rocsparse_direction_NS_24const_host_device_scalarIT2_EEPKiS8_PKS5_SA_S6_PS5_21rocsparse_index_base_b.has_indirect_call, 0
	.section	.AMDGPU.csdata,"",@progbits
; Kernel info:
; codeLenInByte = 2480
; TotalNumSgprs: 16
; NumVgprs: 52
; ScratchSize: 0
; MemoryBound: 0
; FloatMode: 240
; IeeeMode: 1
; LDSByteSize: 0 bytes/workgroup (compile time only)
; SGPRBlocks: 0
; VGPRBlocks: 6
; NumSGPRsForWavesPerEU: 16
; NumVGPRsForWavesPerEU: 52
; Occupancy: 16
; WaveLimiterHint : 1
; COMPUTE_PGM_RSRC2:SCRATCH_EN: 0
; COMPUTE_PGM_RSRC2:USER_SGPR: 2
; COMPUTE_PGM_RSRC2:TRAP_HANDLER: 0
; COMPUTE_PGM_RSRC2:TGID_X_EN: 1
; COMPUTE_PGM_RSRC2:TGID_Y_EN: 0
; COMPUTE_PGM_RSRC2:TGID_Z_EN: 0
; COMPUTE_PGM_RSRC2:TIDIG_COMP_CNT: 0
	.section	.text._ZN9rocsparseL19gebsrmvn_4xn_kernelILj128ELj1ELj8E21rocsparse_complex_numIdEEEvi20rocsparse_direction_NS_24const_host_device_scalarIT2_EEPKiS8_PKS5_SA_S6_PS5_21rocsparse_index_base_b,"axG",@progbits,_ZN9rocsparseL19gebsrmvn_4xn_kernelILj128ELj1ELj8E21rocsparse_complex_numIdEEEvi20rocsparse_direction_NS_24const_host_device_scalarIT2_EEPKiS8_PKS5_SA_S6_PS5_21rocsparse_index_base_b,comdat
	.globl	_ZN9rocsparseL19gebsrmvn_4xn_kernelILj128ELj1ELj8E21rocsparse_complex_numIdEEEvi20rocsparse_direction_NS_24const_host_device_scalarIT2_EEPKiS8_PKS5_SA_S6_PS5_21rocsparse_index_base_b ; -- Begin function _ZN9rocsparseL19gebsrmvn_4xn_kernelILj128ELj1ELj8E21rocsparse_complex_numIdEEEvi20rocsparse_direction_NS_24const_host_device_scalarIT2_EEPKiS8_PKS5_SA_S6_PS5_21rocsparse_index_base_b
	.p2align	8
	.type	_ZN9rocsparseL19gebsrmvn_4xn_kernelILj128ELj1ELj8E21rocsparse_complex_numIdEEEvi20rocsparse_direction_NS_24const_host_device_scalarIT2_EEPKiS8_PKS5_SA_S6_PS5_21rocsparse_index_base_b,@function
_ZN9rocsparseL19gebsrmvn_4xn_kernelILj128ELj1ELj8E21rocsparse_complex_numIdEEEvi20rocsparse_direction_NS_24const_host_device_scalarIT2_EEPKiS8_PKS5_SA_S6_PS5_21rocsparse_index_base_b: ; @_ZN9rocsparseL19gebsrmvn_4xn_kernelILj128ELj1ELj8E21rocsparse_complex_numIdEEEvi20rocsparse_direction_NS_24const_host_device_scalarIT2_EEPKiS8_PKS5_SA_S6_PS5_21rocsparse_index_base_b
; %bb.0:
	s_clause 0x1
	s_load_b64 s[12:13], s[0:1], 0x50
	s_load_b64 s[2:3], s[0:1], 0x8
	s_add_nc_u64 s[4:5], s[0:1], 8
	s_load_b64 s[6:7], s[0:1], 0x38
	s_wait_kmcnt 0x0
	s_bitcmp1_b32 s13, 0
	s_cselect_b32 s2, s4, s2
	s_cselect_b32 s3, s5, s3
	s_delay_alu instid0(SALU_CYCLE_1)
	v_dual_mov_b32 v1, s2 :: v_dual_mov_b32 v2, s3
	s_add_nc_u64 s[2:3], s[0:1], 56
	s_wait_alu 0xfffe
	s_cselect_b32 s2, s2, s6
	s_cselect_b32 s3, s3, s7
	flat_load_b128 v[1:4], v[1:2]
	s_wait_alu 0xfffe
	v_dual_mov_b32 v5, s2 :: v_dual_mov_b32 v6, s3
	flat_load_b128 v[5:8], v[5:6]
	s_wait_loadcnt_dscnt 0x101
	v_cmp_eq_f64_e32 vcc_lo, 0, v[1:2]
	v_cmp_eq_f64_e64 s2, 0, v[3:4]
	s_and_b32 s4, vcc_lo, s2
	s_mov_b32 s2, -1
	s_and_saveexec_b32 s3, s4
	s_cbranch_execz .LBB112_2
; %bb.1:
	s_wait_loadcnt_dscnt 0x0
	v_cmp_neq_f64_e32 vcc_lo, 1.0, v[5:6]
	v_cmp_neq_f64_e64 s2, 0, v[7:8]
	s_wait_alu 0xfffe
	s_or_b32 s2, vcc_lo, s2
	s_wait_alu 0xfffe
	s_or_not1_b32 s2, s2, exec_lo
.LBB112_2:
	s_wait_alu 0xfffe
	s_or_b32 exec_lo, exec_lo, s3
	s_and_saveexec_b32 s3, s2
	s_cbranch_execz .LBB112_21
; %bb.3:
	s_load_b64 s[2:3], s[0:1], 0x0
	v_lshrrev_b32_e32 v9, 3, v0
	s_delay_alu instid0(VALU_DEP_1) | instskip(SKIP_1) | instid1(VALU_DEP_1)
	v_lshl_or_b32 v9, ttmp9, 4, v9
	s_wait_kmcnt 0x0
	v_cmp_gt_i32_e32 vcc_lo, s2, v9
	s_and_b32 exec_lo, exec_lo, vcc_lo
	s_cbranch_execz .LBB112_21
; %bb.4:
	s_load_b256 s[4:11], s[0:1], 0x18
	v_ashrrev_i32_e32 v10, 31, v9
	v_and_b32_e32 v0, 7, v0
	s_cmp_lg_u32 s3, 0
	s_delay_alu instid0(VALU_DEP_2) | instskip(SKIP_1) | instid1(VALU_DEP_1)
	v_lshlrev_b64_e32 v[10:11], 2, v[9:10]
	s_wait_kmcnt 0x0
	v_add_co_u32 v10, vcc_lo, s4, v10
	s_delay_alu instid0(VALU_DEP_1) | instskip(SKIP_4) | instid1(VALU_DEP_2)
	v_add_co_ci_u32_e64 v11, null, s5, v11, vcc_lo
	global_load_b64 v[10:11], v[10:11], off
	s_wait_loadcnt 0x0
	v_subrev_nc_u32_e32 v10, s12, v10
	v_subrev_nc_u32_e32 v31, s12, v11
	v_add_nc_u32_e32 v26, v10, v0
	s_delay_alu instid0(VALU_DEP_1)
	v_cmp_lt_i32_e64 s2, v26, v31
	s_cbranch_scc0 .LBB112_10
; %bb.5:
	v_mov_b32_e32 v10, 0
	v_mov_b32_e32 v12, 0
	;; [unrolled: 1-line block ×3, first 2 shown]
	v_dual_mov_b32 v22, 0 :: v_dual_mov_b32 v11, 0
	v_dual_mov_b32 v16, 0 :: v_dual_mov_b32 v13, 0
	;; [unrolled: 1-line block ×5, first 2 shown]
	v_mov_b32_e32 v15, 0
	v_mov_b32_e32 v21, 0
	;; [unrolled: 1-line block ×3, first 2 shown]
	s_and_saveexec_b32 s3, s2
	s_cbranch_execz .LBB112_9
; %bb.6:
	v_mov_b32_e32 v16, 0
	v_mov_b32_e32 v14, 0
	v_dual_mov_b32 v20, 0 :: v_dual_lshlrev_b32 v27, 2, v26
	v_dual_mov_b32 v10, 0 :: v_dual_mov_b32 v17, 0
	v_dual_mov_b32 v12, 0 :: v_dual_mov_b32 v15, 0
	;; [unrolled: 1-line block ×3, first 2 shown]
	v_mov_b32_e32 v22, 0
	v_dual_mov_b32 v24, 0 :: v_dual_mov_b32 v29, v26
	v_dual_mov_b32 v11, 0 :: v_dual_mov_b32 v28, 0
	v_mov_b32_e32 v13, 0
	v_mov_b32_e32 v19, 0
	;; [unrolled: 1-line block ×4, first 2 shown]
	s_mov_b32 s4, 0
.LBB112_7:                              ; =>This Inner Loop Header: Depth=1
	v_ashrrev_i32_e32 v30, 31, v29
	v_mov_b32_e32 v49, v28
	s_delay_alu instid0(VALU_DEP_2) | instskip(SKIP_1) | instid1(VALU_DEP_2)
	v_lshlrev_b64_e32 v[32:33], 2, v[29:30]
	v_add_nc_u32_e32 v29, 8, v29
	v_add_co_u32 v32, vcc_lo, s6, v32
	s_wait_alu 0xfffd
	s_delay_alu instid0(VALU_DEP_3) | instskip(SKIP_3) | instid1(VALU_DEP_2)
	v_add_co_ci_u32_e64 v33, null, s7, v33, vcc_lo
	global_load_b32 v30, v[32:33], off
	v_lshlrev_b64_e32 v[32:33], 4, v[27:28]
	v_add_nc_u32_e32 v27, 32, v27
	v_add_co_u32 v44, vcc_lo, s8, v32
	s_wait_alu 0xfffd
	s_delay_alu instid0(VALU_DEP_3)
	v_add_co_ci_u32_e64 v45, null, s9, v33, vcc_lo
	s_clause 0x3
	global_load_b128 v[32:35], v[44:45], off offset:48
	global_load_b128 v[36:39], v[44:45], off offset:32
	;; [unrolled: 1-line block ×3, first 2 shown]
	global_load_b128 v[44:47], v[44:45], off
	s_wait_loadcnt 0x4
	v_subrev_nc_u32_e32 v48, s12, v30
	s_delay_alu instid0(VALU_DEP_1) | instskip(NEXT) | instid1(VALU_DEP_1)
	v_lshlrev_b64_e32 v[48:49], 4, v[48:49]
	v_add_co_u32 v48, vcc_lo, s10, v48
	s_wait_alu 0xfffd
	s_delay_alu instid0(VALU_DEP_2)
	v_add_co_ci_u32_e64 v49, null, s11, v49, vcc_lo
	v_cmp_ge_i32_e32 vcc_lo, v29, v31
	global_load_b128 v[48:51], v[48:49], off
	s_wait_alu 0xfffe
	s_or_b32 s4, vcc_lo, s4
	s_wait_loadcnt 0x0
	v_fma_f64 v[16:17], v[44:45], v[48:49], v[16:17]
	v_fma_f64 v[10:11], v[46:47], v[48:49], v[10:11]
	;; [unrolled: 1-line block ×8, first 2 shown]
	v_fma_f64 v[16:17], -v[46:47], v[50:51], v[16:17]
	v_fma_f64 v[10:11], v[44:45], v[50:51], v[10:11]
	v_fma_f64 v[22:23], -v[42:43], v[50:51], v[22:23]
	v_fma_f64 v[24:25], v[40:41], v[50:51], v[24:25]
	;; [unrolled: 2-line block ×4, first 2 shown]
	s_wait_alu 0xfffe
	s_and_not1_b32 exec_lo, exec_lo, s4
	s_cbranch_execnz .LBB112_7
; %bb.8:
	s_or_b32 exec_lo, exec_lo, s4
.LBB112_9:
	s_wait_alu 0xfffe
	s_or_b32 exec_lo, exec_lo, s3
	s_cbranch_execz .LBB112_11
	s_branch .LBB112_16
.LBB112_10:
                                        ; implicit-def: $vgpr10_vgpr11
                                        ; implicit-def: $vgpr16_vgpr17
                                        ; implicit-def: $vgpr12_vgpr13
                                        ; implicit-def: $vgpr14_vgpr15
                                        ; implicit-def: $vgpr18_vgpr19
                                        ; implicit-def: $vgpr20_vgpr21
                                        ; implicit-def: $vgpr22_vgpr23
                                        ; implicit-def: $vgpr24_vgpr25
.LBB112_11:
	v_mov_b32_e32 v10, 0
	v_mov_b32_e32 v12, 0
	;; [unrolled: 1-line block ×3, first 2 shown]
	v_dual_mov_b32 v22, 0 :: v_dual_mov_b32 v11, 0
	v_dual_mov_b32 v16, 0 :: v_dual_mov_b32 v13, 0
	;; [unrolled: 1-line block ×5, first 2 shown]
	v_mov_b32_e32 v15, 0
	v_mov_b32_e32 v21, 0
	v_mov_b32_e32 v25, 0
	s_and_saveexec_b32 s3, s2
	s_cbranch_execz .LBB112_15
; %bb.12:
	v_mov_b32_e32 v10, 0
	v_mov_b32_e32 v16, 0
	;; [unrolled: 1-line block ×7, first 2 shown]
	v_dual_mov_b32 v24, 0 :: v_dual_mov_b32 v29, 0
	v_dual_mov_b32 v11, 0 :: v_dual_lshlrev_b32 v28, 2, v26
	v_mov_b32_e32 v17, 0
	v_mov_b32_e32 v13, 0
	;; [unrolled: 1-line block ×7, first 2 shown]
	s_mov_b32 s2, 0
.LBB112_13:                             ; =>This Inner Loop Header: Depth=1
	v_ashrrev_i32_e32 v27, 31, v26
	v_mov_b32_e32 v49, v29
	s_delay_alu instid0(VALU_DEP_2) | instskip(SKIP_1) | instid1(VALU_DEP_2)
	v_lshlrev_b64_e32 v[32:33], 2, v[26:27]
	v_add_nc_u32_e32 v26, 8, v26
	v_add_co_u32 v32, vcc_lo, s6, v32
	s_wait_alu 0xfffd
	s_delay_alu instid0(VALU_DEP_3) | instskip(SKIP_3) | instid1(VALU_DEP_2)
	v_add_co_ci_u32_e64 v33, null, s7, v33, vcc_lo
	global_load_b32 v27, v[32:33], off
	v_lshlrev_b64_e32 v[32:33], 4, v[28:29]
	v_add_nc_u32_e32 v28, 32, v28
	v_add_co_u32 v44, vcc_lo, s8, v32
	s_wait_alu 0xfffd
	s_delay_alu instid0(VALU_DEP_3)
	v_add_co_ci_u32_e64 v45, null, s9, v33, vcc_lo
	s_clause 0x3
	global_load_b128 v[32:35], v[44:45], off offset:48
	global_load_b128 v[36:39], v[44:45], off offset:32
	;; [unrolled: 1-line block ×3, first 2 shown]
	global_load_b128 v[44:47], v[44:45], off
	s_wait_loadcnt 0x4
	v_subrev_nc_u32_e32 v48, s12, v27
	s_delay_alu instid0(VALU_DEP_1) | instskip(NEXT) | instid1(VALU_DEP_1)
	v_lshlrev_b64_e32 v[48:49], 4, v[48:49]
	v_add_co_u32 v48, vcc_lo, s10, v48
	s_wait_alu 0xfffd
	s_delay_alu instid0(VALU_DEP_2)
	v_add_co_ci_u32_e64 v49, null, s11, v49, vcc_lo
	v_cmp_ge_i32_e32 vcc_lo, v26, v31
	global_load_b128 v[48:51], v[48:49], off
	s_wait_alu 0xfffe
	s_or_b32 s2, vcc_lo, s2
	s_wait_loadcnt 0x0
	v_fma_f64 v[16:17], v[44:45], v[48:49], v[16:17]
	v_fma_f64 v[10:11], v[46:47], v[48:49], v[10:11]
	;; [unrolled: 1-line block ×8, first 2 shown]
	v_fma_f64 v[16:17], -v[46:47], v[50:51], v[16:17]
	v_fma_f64 v[10:11], v[44:45], v[50:51], v[10:11]
	v_fma_f64 v[22:23], -v[42:43], v[50:51], v[22:23]
	v_fma_f64 v[24:25], v[40:41], v[50:51], v[24:25]
	;; [unrolled: 2-line block ×4, first 2 shown]
	s_wait_alu 0xfffe
	s_and_not1_b32 exec_lo, exec_lo, s2
	s_cbranch_execnz .LBB112_13
; %bb.14:
	s_or_b32 exec_lo, exec_lo, s2
.LBB112_15:
	s_wait_alu 0xfffe
	s_or_b32 exec_lo, exec_lo, s3
.LBB112_16:
	v_mbcnt_lo_u32_b32 v44, -1, 0
	s_delay_alu instid0(VALU_DEP_1) | instskip(NEXT) | instid1(VALU_DEP_1)
	v_xor_b32_e32 v26, 4, v44
	v_cmp_gt_i32_e32 vcc_lo, 32, v26
	s_wait_alu 0xfffd
	v_cndmask_b32_e32 v26, v44, v26, vcc_lo
	s_delay_alu instid0(VALU_DEP_1)
	v_lshlrev_b32_e32 v41, 2, v26
	ds_bpermute_b32 v26, v41, v16
	ds_bpermute_b32 v27, v41, v17
	;; [unrolled: 1-line block ×16, first 2 shown]
	s_wait_dscnt 0xe
	v_add_f64_e32 v[16:17], v[16:17], v[26:27]
	s_wait_dscnt 0xc
	v_add_f64_e32 v[26:27], v[10:11], v[28:29]
	v_xor_b32_e32 v10, 2, v44
	s_wait_dscnt 0xa
	v_add_f64_e32 v[22:23], v[22:23], v[30:31]
	s_wait_dscnt 0x8
	v_add_f64_e32 v[28:29], v[24:25], v[32:33]
	;; [unrolled: 2-line block ×3, first 2 shown]
	v_cmp_gt_i32_e32 vcc_lo, 32, v10
	s_wait_dscnt 0x4
	v_add_f64_e32 v[20:21], v[20:21], v[36:37]
	s_wait_dscnt 0x2
	v_add_f64_e32 v[30:31], v[12:13], v[38:39]
	;; [unrolled: 2-line block ×3, first 2 shown]
	s_wait_alu 0xfffd
	v_cndmask_b32_e32 v10, v44, v10, vcc_lo
	s_delay_alu instid0(VALU_DEP_1)
	v_lshlrev_b32_e32 v24, 2, v10
	ds_bpermute_b32 v10, v24, v16
	ds_bpermute_b32 v11, v24, v17
	;; [unrolled: 1-line block ×16, first 2 shown]
	s_wait_dscnt 0xe
	v_add_f64_e32 v[10:11], v[16:17], v[10:11]
	s_wait_dscnt 0xc
	v_add_f64_e32 v[24:25], v[26:27], v[12:13]
	v_xor_b32_e32 v26, 1, v44
	s_wait_dscnt 0xa
	v_add_f64_e32 v[12:13], v[22:23], v[14:15]
	s_wait_dscnt 0x8
	v_add_f64_e32 v[22:23], v[28:29], v[34:35]
	;; [unrolled: 2-line block ×3, first 2 shown]
	v_cmp_gt_i32_e32 vcc_lo, 32, v26
	s_wait_dscnt 0x4
	v_add_f64_e32 v[20:21], v[20:21], v[38:39]
	s_wait_dscnt 0x2
	v_add_f64_e32 v[16:17], v[30:31], v[40:41]
	;; [unrolled: 2-line block ×3, first 2 shown]
	s_wait_alu 0xfffd
	v_cndmask_b32_e32 v26, v44, v26, vcc_lo
	v_cmp_eq_u32_e32 vcc_lo, 7, v0
	s_delay_alu instid0(VALU_DEP_2)
	v_lshlrev_b32_e32 v29, 2, v26
	ds_bpermute_b32 v40, v29, v10
	ds_bpermute_b32 v41, v29, v11
	;; [unrolled: 1-line block ×16, first 2 shown]
	s_and_b32 exec_lo, exec_lo, vcc_lo
	s_cbranch_execz .LBB112_21
; %bb.17:
	v_cmp_eq_f64_e32 vcc_lo, 0, v[5:6]
	v_cmp_eq_f64_e64 s2, 0, v[7:8]
	s_wait_dscnt 0xe
	v_add_f64_e32 v[10:11], v[10:11], v[40:41]
	s_wait_dscnt 0xc
	v_add_f64_e32 v[24:25], v[24:25], v[38:39]
	;; [unrolled: 2-line block ×8, first 2 shown]
	s_load_b64 s[0:1], s[0:1], 0x48
	s_and_b32 s2, vcc_lo, s2
	s_wait_alu 0xfffe
	s_and_saveexec_b32 s3, s2
	s_wait_alu 0xfffe
	s_xor_b32 s2, exec_lo, s3
	s_cbranch_execz .LBB112_19
; %bb.18:
	v_mul_f64_e64 v[5:6], v[24:25], -v[3:4]
	v_mul_f64_e32 v[7:8], v[1:2], v[24:25]
	v_mul_f64_e64 v[24:25], v[22:23], -v[3:4]
	v_mul_f64_e32 v[22:23], v[1:2], v[22:23]
	;; [unrolled: 2-line block ×4, first 2 shown]
	v_fma_f64 v[5:6], v[1:2], v[10:11], v[5:6]
	v_fma_f64 v[7:8], v[3:4], v[10:11], v[7:8]
	;; [unrolled: 1-line block ×8, first 2 shown]
	v_lshlrev_b32_e32 v14, 2, v9
                                        ; implicit-def: $vgpr9
                                        ; implicit-def: $vgpr24_vgpr25
                                        ; implicit-def: $vgpr22_vgpr23
                                        ; implicit-def: $vgpr16_vgpr17
	s_delay_alu instid0(VALU_DEP_1) | instskip(NEXT) | instid1(VALU_DEP_1)
	v_ashrrev_i32_e32 v15, 31, v14
	v_lshlrev_b64_e32 v[14:15], 4, v[14:15]
	s_wait_kmcnt 0x0
	s_delay_alu instid0(VALU_DEP_1) | instskip(SKIP_1) | instid1(VALU_DEP_2)
	v_add_co_u32 v14, vcc_lo, s0, v14
	s_wait_alu 0xfffd
	v_add_co_ci_u32_e64 v15, null, s1, v15, vcc_lo
	s_clause 0x3
	global_store_b128 v[14:15], v[5:8], off
	global_store_b128 v[14:15], v[10:13], off offset:16
	global_store_b128 v[14:15], v[18:21], off offset:32
	;; [unrolled: 1-line block ×3, first 2 shown]
                                        ; implicit-def: $vgpr10_vgpr11
                                        ; implicit-def: $vgpr12_vgpr13
                                        ; implicit-def: $vgpr14_vgpr15
                                        ; implicit-def: $vgpr20_vgpr21
                                        ; implicit-def: $vgpr18_vgpr19
                                        ; implicit-def: $vgpr7_vgpr8
                                        ; implicit-def: $vgpr3_vgpr4
.LBB112_19:
	s_wait_alu 0xfffe
	s_and_not1_saveexec_b32 s2, s2
	s_cbranch_execz .LBB112_21
; %bb.20:
	v_lshlrev_b32_e32 v26, 2, v9
	v_mul_f64_e64 v[44:45], v[24:25], -v[3:4]
	v_mul_f64_e32 v[24:25], v[1:2], v[24:25]
	v_mul_f64_e64 v[46:47], v[22:23], -v[3:4]
	v_mul_f64_e32 v[22:23], v[1:2], v[22:23]
	v_ashrrev_i32_e32 v27, 31, v26
	v_mul_f64_e64 v[48:49], v[20:21], -v[3:4]
	v_mul_f64_e32 v[20:21], v[1:2], v[20:21]
	v_mul_f64_e64 v[50:51], v[18:19], -v[3:4]
	v_mul_f64_e32 v[18:19], v[1:2], v[18:19]
	v_lshlrev_b64_e32 v[26:27], 4, v[26:27]
	s_wait_kmcnt 0x0
	s_delay_alu instid0(VALU_DEP_1) | instskip(SKIP_1) | instid1(VALU_DEP_2)
	v_add_co_u32 v42, vcc_lo, s0, v26
	s_wait_alu 0xfffd
	v_add_co_ci_u32_e64 v43, null, s1, v27, vcc_lo
	s_clause 0x3
	global_load_b128 v[26:29], v[42:43], off
	global_load_b128 v[30:33], v[42:43], off offset:16
	global_load_b128 v[34:37], v[42:43], off offset:32
	;; [unrolled: 1-line block ×3, first 2 shown]
	v_fma_f64 v[44:45], v[1:2], v[10:11], v[44:45]
	v_fma_f64 v[9:10], v[3:4], v[10:11], v[24:25]
	;; [unrolled: 1-line block ×8, first 2 shown]
	s_wait_loadcnt 0x3
	v_fma_f64 v[15:16], v[5:6], v[26:27], v[44:45]
	v_fma_f64 v[9:10], v[7:8], v[26:27], v[9:10]
	s_wait_loadcnt 0x2
	v_fma_f64 v[17:18], v[5:6], v[30:31], v[24:25]
	v_fma_f64 v[11:12], v[7:8], v[30:31], v[11:12]
	;; [unrolled: 3-line block ×4, first 2 shown]
	v_fma_f64 v[0:1], -v[7:8], v[28:29], v[15:16]
	v_fma_f64 v[2:3], v[5:6], v[28:29], v[9:10]
	v_fma_f64 v[9:10], -v[7:8], v[32:33], v[17:18]
	v_fma_f64 v[11:12], v[5:6], v[32:33], v[11:12]
	;; [unrolled: 2-line block ×4, first 2 shown]
	s_clause 0x3
	global_store_b128 v[42:43], v[0:3], off
	global_store_b128 v[42:43], v[9:12], off offset:16
	global_store_b128 v[42:43], v[13:16], off offset:32
	global_store_b128 v[42:43], v[17:20], off offset:48
.LBB112_21:
	s_endpgm
	.section	.rodata,"a",@progbits
	.p2align	6, 0x0
	.amdhsa_kernel _ZN9rocsparseL19gebsrmvn_4xn_kernelILj128ELj1ELj8E21rocsparse_complex_numIdEEEvi20rocsparse_direction_NS_24const_host_device_scalarIT2_EEPKiS8_PKS5_SA_S6_PS5_21rocsparse_index_base_b
		.amdhsa_group_segment_fixed_size 0
		.amdhsa_private_segment_fixed_size 0
		.amdhsa_kernarg_size 88
		.amdhsa_user_sgpr_count 2
		.amdhsa_user_sgpr_dispatch_ptr 0
		.amdhsa_user_sgpr_queue_ptr 0
		.amdhsa_user_sgpr_kernarg_segment_ptr 1
		.amdhsa_user_sgpr_dispatch_id 0
		.amdhsa_user_sgpr_private_segment_size 0
		.amdhsa_wavefront_size32 1
		.amdhsa_uses_dynamic_stack 0
		.amdhsa_enable_private_segment 0
		.amdhsa_system_sgpr_workgroup_id_x 1
		.amdhsa_system_sgpr_workgroup_id_y 0
		.amdhsa_system_sgpr_workgroup_id_z 0
		.amdhsa_system_sgpr_workgroup_info 0
		.amdhsa_system_vgpr_workitem_id 0
		.amdhsa_next_free_vgpr 52
		.amdhsa_next_free_sgpr 14
		.amdhsa_reserve_vcc 1
		.amdhsa_float_round_mode_32 0
		.amdhsa_float_round_mode_16_64 0
		.amdhsa_float_denorm_mode_32 3
		.amdhsa_float_denorm_mode_16_64 3
		.amdhsa_fp16_overflow 0
		.amdhsa_workgroup_processor_mode 1
		.amdhsa_memory_ordered 1
		.amdhsa_forward_progress 1
		.amdhsa_inst_pref_size 22
		.amdhsa_round_robin_scheduling 0
		.amdhsa_exception_fp_ieee_invalid_op 0
		.amdhsa_exception_fp_denorm_src 0
		.amdhsa_exception_fp_ieee_div_zero 0
		.amdhsa_exception_fp_ieee_overflow 0
		.amdhsa_exception_fp_ieee_underflow 0
		.amdhsa_exception_fp_ieee_inexact 0
		.amdhsa_exception_int_div_zero 0
	.end_amdhsa_kernel
	.section	.text._ZN9rocsparseL19gebsrmvn_4xn_kernelILj128ELj1ELj8E21rocsparse_complex_numIdEEEvi20rocsparse_direction_NS_24const_host_device_scalarIT2_EEPKiS8_PKS5_SA_S6_PS5_21rocsparse_index_base_b,"axG",@progbits,_ZN9rocsparseL19gebsrmvn_4xn_kernelILj128ELj1ELj8E21rocsparse_complex_numIdEEEvi20rocsparse_direction_NS_24const_host_device_scalarIT2_EEPKiS8_PKS5_SA_S6_PS5_21rocsparse_index_base_b,comdat
.Lfunc_end112:
	.size	_ZN9rocsparseL19gebsrmvn_4xn_kernelILj128ELj1ELj8E21rocsparse_complex_numIdEEEvi20rocsparse_direction_NS_24const_host_device_scalarIT2_EEPKiS8_PKS5_SA_S6_PS5_21rocsparse_index_base_b, .Lfunc_end112-_ZN9rocsparseL19gebsrmvn_4xn_kernelILj128ELj1ELj8E21rocsparse_complex_numIdEEEvi20rocsparse_direction_NS_24const_host_device_scalarIT2_EEPKiS8_PKS5_SA_S6_PS5_21rocsparse_index_base_b
                                        ; -- End function
	.set _ZN9rocsparseL19gebsrmvn_4xn_kernelILj128ELj1ELj8E21rocsparse_complex_numIdEEEvi20rocsparse_direction_NS_24const_host_device_scalarIT2_EEPKiS8_PKS5_SA_S6_PS5_21rocsparse_index_base_b.num_vgpr, 52
	.set _ZN9rocsparseL19gebsrmvn_4xn_kernelILj128ELj1ELj8E21rocsparse_complex_numIdEEEvi20rocsparse_direction_NS_24const_host_device_scalarIT2_EEPKiS8_PKS5_SA_S6_PS5_21rocsparse_index_base_b.num_agpr, 0
	.set _ZN9rocsparseL19gebsrmvn_4xn_kernelILj128ELj1ELj8E21rocsparse_complex_numIdEEEvi20rocsparse_direction_NS_24const_host_device_scalarIT2_EEPKiS8_PKS5_SA_S6_PS5_21rocsparse_index_base_b.numbered_sgpr, 14
	.set _ZN9rocsparseL19gebsrmvn_4xn_kernelILj128ELj1ELj8E21rocsparse_complex_numIdEEEvi20rocsparse_direction_NS_24const_host_device_scalarIT2_EEPKiS8_PKS5_SA_S6_PS5_21rocsparse_index_base_b.num_named_barrier, 0
	.set _ZN9rocsparseL19gebsrmvn_4xn_kernelILj128ELj1ELj8E21rocsparse_complex_numIdEEEvi20rocsparse_direction_NS_24const_host_device_scalarIT2_EEPKiS8_PKS5_SA_S6_PS5_21rocsparse_index_base_b.private_seg_size, 0
	.set _ZN9rocsparseL19gebsrmvn_4xn_kernelILj128ELj1ELj8E21rocsparse_complex_numIdEEEvi20rocsparse_direction_NS_24const_host_device_scalarIT2_EEPKiS8_PKS5_SA_S6_PS5_21rocsparse_index_base_b.uses_vcc, 1
	.set _ZN9rocsparseL19gebsrmvn_4xn_kernelILj128ELj1ELj8E21rocsparse_complex_numIdEEEvi20rocsparse_direction_NS_24const_host_device_scalarIT2_EEPKiS8_PKS5_SA_S6_PS5_21rocsparse_index_base_b.uses_flat_scratch, 0
	.set _ZN9rocsparseL19gebsrmvn_4xn_kernelILj128ELj1ELj8E21rocsparse_complex_numIdEEEvi20rocsparse_direction_NS_24const_host_device_scalarIT2_EEPKiS8_PKS5_SA_S6_PS5_21rocsparse_index_base_b.has_dyn_sized_stack, 0
	.set _ZN9rocsparseL19gebsrmvn_4xn_kernelILj128ELj1ELj8E21rocsparse_complex_numIdEEEvi20rocsparse_direction_NS_24const_host_device_scalarIT2_EEPKiS8_PKS5_SA_S6_PS5_21rocsparse_index_base_b.has_recursion, 0
	.set _ZN9rocsparseL19gebsrmvn_4xn_kernelILj128ELj1ELj8E21rocsparse_complex_numIdEEEvi20rocsparse_direction_NS_24const_host_device_scalarIT2_EEPKiS8_PKS5_SA_S6_PS5_21rocsparse_index_base_b.has_indirect_call, 0
	.section	.AMDGPU.csdata,"",@progbits
; Kernel info:
; codeLenInByte = 2696
; TotalNumSgprs: 16
; NumVgprs: 52
; ScratchSize: 0
; MemoryBound: 0
; FloatMode: 240
; IeeeMode: 1
; LDSByteSize: 0 bytes/workgroup (compile time only)
; SGPRBlocks: 0
; VGPRBlocks: 6
; NumSGPRsForWavesPerEU: 16
; NumVGPRsForWavesPerEU: 52
; Occupancy: 16
; WaveLimiterHint : 1
; COMPUTE_PGM_RSRC2:SCRATCH_EN: 0
; COMPUTE_PGM_RSRC2:USER_SGPR: 2
; COMPUTE_PGM_RSRC2:TRAP_HANDLER: 0
; COMPUTE_PGM_RSRC2:TGID_X_EN: 1
; COMPUTE_PGM_RSRC2:TGID_Y_EN: 0
; COMPUTE_PGM_RSRC2:TGID_Z_EN: 0
; COMPUTE_PGM_RSRC2:TIDIG_COMP_CNT: 0
	.section	.text._ZN9rocsparseL19gebsrmvn_4xn_kernelILj128ELj1ELj16E21rocsparse_complex_numIdEEEvi20rocsparse_direction_NS_24const_host_device_scalarIT2_EEPKiS8_PKS5_SA_S6_PS5_21rocsparse_index_base_b,"axG",@progbits,_ZN9rocsparseL19gebsrmvn_4xn_kernelILj128ELj1ELj16E21rocsparse_complex_numIdEEEvi20rocsparse_direction_NS_24const_host_device_scalarIT2_EEPKiS8_PKS5_SA_S6_PS5_21rocsparse_index_base_b,comdat
	.globl	_ZN9rocsparseL19gebsrmvn_4xn_kernelILj128ELj1ELj16E21rocsparse_complex_numIdEEEvi20rocsparse_direction_NS_24const_host_device_scalarIT2_EEPKiS8_PKS5_SA_S6_PS5_21rocsparse_index_base_b ; -- Begin function _ZN9rocsparseL19gebsrmvn_4xn_kernelILj128ELj1ELj16E21rocsparse_complex_numIdEEEvi20rocsparse_direction_NS_24const_host_device_scalarIT2_EEPKiS8_PKS5_SA_S6_PS5_21rocsparse_index_base_b
	.p2align	8
	.type	_ZN9rocsparseL19gebsrmvn_4xn_kernelILj128ELj1ELj16E21rocsparse_complex_numIdEEEvi20rocsparse_direction_NS_24const_host_device_scalarIT2_EEPKiS8_PKS5_SA_S6_PS5_21rocsparse_index_base_b,@function
_ZN9rocsparseL19gebsrmvn_4xn_kernelILj128ELj1ELj16E21rocsparse_complex_numIdEEEvi20rocsparse_direction_NS_24const_host_device_scalarIT2_EEPKiS8_PKS5_SA_S6_PS5_21rocsparse_index_base_b: ; @_ZN9rocsparseL19gebsrmvn_4xn_kernelILj128ELj1ELj16E21rocsparse_complex_numIdEEEvi20rocsparse_direction_NS_24const_host_device_scalarIT2_EEPKiS8_PKS5_SA_S6_PS5_21rocsparse_index_base_b
; %bb.0:
	s_clause 0x1
	s_load_b64 s[12:13], s[0:1], 0x50
	s_load_b64 s[2:3], s[0:1], 0x8
	s_add_nc_u64 s[4:5], s[0:1], 8
	s_load_b64 s[6:7], s[0:1], 0x38
	s_wait_kmcnt 0x0
	s_bitcmp1_b32 s13, 0
	s_cselect_b32 s2, s4, s2
	s_cselect_b32 s3, s5, s3
	s_delay_alu instid0(SALU_CYCLE_1)
	v_dual_mov_b32 v1, s2 :: v_dual_mov_b32 v2, s3
	s_add_nc_u64 s[2:3], s[0:1], 56
	s_wait_alu 0xfffe
	s_cselect_b32 s2, s2, s6
	s_cselect_b32 s3, s3, s7
	flat_load_b128 v[1:4], v[1:2]
	s_wait_alu 0xfffe
	v_dual_mov_b32 v5, s2 :: v_dual_mov_b32 v6, s3
	flat_load_b128 v[5:8], v[5:6]
	s_wait_loadcnt_dscnt 0x101
	v_cmp_eq_f64_e32 vcc_lo, 0, v[1:2]
	v_cmp_eq_f64_e64 s2, 0, v[3:4]
	s_and_b32 s4, vcc_lo, s2
	s_mov_b32 s2, -1
	s_and_saveexec_b32 s3, s4
	s_cbranch_execz .LBB113_2
; %bb.1:
	s_wait_loadcnt_dscnt 0x0
	v_cmp_neq_f64_e32 vcc_lo, 1.0, v[5:6]
	v_cmp_neq_f64_e64 s2, 0, v[7:8]
	s_wait_alu 0xfffe
	s_or_b32 s2, vcc_lo, s2
	s_wait_alu 0xfffe
	s_or_not1_b32 s2, s2, exec_lo
.LBB113_2:
	s_wait_alu 0xfffe
	s_or_b32 exec_lo, exec_lo, s3
	s_and_saveexec_b32 s3, s2
	s_cbranch_execz .LBB113_21
; %bb.3:
	s_load_b64 s[2:3], s[0:1], 0x0
	v_lshrrev_b32_e32 v9, 4, v0
	s_delay_alu instid0(VALU_DEP_1) | instskip(SKIP_1) | instid1(VALU_DEP_1)
	v_lshl_or_b32 v9, ttmp9, 3, v9
	s_wait_kmcnt 0x0
	v_cmp_gt_i32_e32 vcc_lo, s2, v9
	s_and_b32 exec_lo, exec_lo, vcc_lo
	s_cbranch_execz .LBB113_21
; %bb.4:
	s_load_b256 s[4:11], s[0:1], 0x18
	v_ashrrev_i32_e32 v10, 31, v9
	v_and_b32_e32 v0, 15, v0
	s_cmp_lg_u32 s3, 0
	s_delay_alu instid0(VALU_DEP_2) | instskip(SKIP_1) | instid1(VALU_DEP_1)
	v_lshlrev_b64_e32 v[10:11], 2, v[9:10]
	s_wait_kmcnt 0x0
	v_add_co_u32 v10, vcc_lo, s4, v10
	s_delay_alu instid0(VALU_DEP_1) | instskip(SKIP_4) | instid1(VALU_DEP_2)
	v_add_co_ci_u32_e64 v11, null, s5, v11, vcc_lo
	global_load_b64 v[10:11], v[10:11], off
	s_wait_loadcnt 0x0
	v_subrev_nc_u32_e32 v10, s12, v10
	v_subrev_nc_u32_e32 v31, s12, v11
	v_add_nc_u32_e32 v26, v10, v0
	s_delay_alu instid0(VALU_DEP_1)
	v_cmp_lt_i32_e64 s2, v26, v31
	s_cbranch_scc0 .LBB113_10
; %bb.5:
	v_mov_b32_e32 v10, 0
	v_mov_b32_e32 v12, 0
	;; [unrolled: 1-line block ×3, first 2 shown]
	v_dual_mov_b32 v22, 0 :: v_dual_mov_b32 v11, 0
	v_dual_mov_b32 v16, 0 :: v_dual_mov_b32 v13, 0
	;; [unrolled: 1-line block ×5, first 2 shown]
	v_mov_b32_e32 v15, 0
	v_mov_b32_e32 v21, 0
	;; [unrolled: 1-line block ×3, first 2 shown]
	s_and_saveexec_b32 s3, s2
	s_cbranch_execz .LBB113_9
; %bb.6:
	v_mov_b32_e32 v16, 0
	v_mov_b32_e32 v14, 0
	v_dual_mov_b32 v20, 0 :: v_dual_lshlrev_b32 v27, 2, v26
	v_dual_mov_b32 v10, 0 :: v_dual_mov_b32 v17, 0
	v_dual_mov_b32 v12, 0 :: v_dual_mov_b32 v15, 0
	;; [unrolled: 1-line block ×3, first 2 shown]
	v_mov_b32_e32 v22, 0
	v_dual_mov_b32 v24, 0 :: v_dual_mov_b32 v29, v26
	v_dual_mov_b32 v11, 0 :: v_dual_mov_b32 v28, 0
	v_mov_b32_e32 v13, 0
	v_mov_b32_e32 v19, 0
	;; [unrolled: 1-line block ×4, first 2 shown]
	s_mov_b32 s4, 0
.LBB113_7:                              ; =>This Inner Loop Header: Depth=1
	v_ashrrev_i32_e32 v30, 31, v29
	v_mov_b32_e32 v49, v28
	s_delay_alu instid0(VALU_DEP_2) | instskip(SKIP_1) | instid1(VALU_DEP_2)
	v_lshlrev_b64_e32 v[32:33], 2, v[29:30]
	v_add_nc_u32_e32 v29, 16, v29
	v_add_co_u32 v32, vcc_lo, s6, v32
	s_wait_alu 0xfffd
	s_delay_alu instid0(VALU_DEP_3) | instskip(SKIP_3) | instid1(VALU_DEP_2)
	v_add_co_ci_u32_e64 v33, null, s7, v33, vcc_lo
	global_load_b32 v30, v[32:33], off
	v_lshlrev_b64_e32 v[32:33], 4, v[27:28]
	v_add_nc_u32_e32 v27, 64, v27
	v_add_co_u32 v44, vcc_lo, s8, v32
	s_wait_alu 0xfffd
	s_delay_alu instid0(VALU_DEP_3)
	v_add_co_ci_u32_e64 v45, null, s9, v33, vcc_lo
	s_clause 0x3
	global_load_b128 v[32:35], v[44:45], off offset:48
	global_load_b128 v[36:39], v[44:45], off offset:32
	;; [unrolled: 1-line block ×3, first 2 shown]
	global_load_b128 v[44:47], v[44:45], off
	s_wait_loadcnt 0x4
	v_subrev_nc_u32_e32 v48, s12, v30
	s_delay_alu instid0(VALU_DEP_1) | instskip(NEXT) | instid1(VALU_DEP_1)
	v_lshlrev_b64_e32 v[48:49], 4, v[48:49]
	v_add_co_u32 v48, vcc_lo, s10, v48
	s_wait_alu 0xfffd
	s_delay_alu instid0(VALU_DEP_2)
	v_add_co_ci_u32_e64 v49, null, s11, v49, vcc_lo
	v_cmp_ge_i32_e32 vcc_lo, v29, v31
	global_load_b128 v[48:51], v[48:49], off
	s_wait_alu 0xfffe
	s_or_b32 s4, vcc_lo, s4
	s_wait_loadcnt 0x0
	v_fma_f64 v[16:17], v[44:45], v[48:49], v[16:17]
	v_fma_f64 v[10:11], v[46:47], v[48:49], v[10:11]
	;; [unrolled: 1-line block ×8, first 2 shown]
	v_fma_f64 v[16:17], -v[46:47], v[50:51], v[16:17]
	v_fma_f64 v[10:11], v[44:45], v[50:51], v[10:11]
	v_fma_f64 v[22:23], -v[42:43], v[50:51], v[22:23]
	v_fma_f64 v[24:25], v[40:41], v[50:51], v[24:25]
	;; [unrolled: 2-line block ×4, first 2 shown]
	s_wait_alu 0xfffe
	s_and_not1_b32 exec_lo, exec_lo, s4
	s_cbranch_execnz .LBB113_7
; %bb.8:
	s_or_b32 exec_lo, exec_lo, s4
.LBB113_9:
	s_wait_alu 0xfffe
	s_or_b32 exec_lo, exec_lo, s3
	s_cbranch_execz .LBB113_11
	s_branch .LBB113_16
.LBB113_10:
                                        ; implicit-def: $vgpr10_vgpr11
                                        ; implicit-def: $vgpr16_vgpr17
                                        ; implicit-def: $vgpr12_vgpr13
                                        ; implicit-def: $vgpr14_vgpr15
                                        ; implicit-def: $vgpr18_vgpr19
                                        ; implicit-def: $vgpr20_vgpr21
                                        ; implicit-def: $vgpr22_vgpr23
                                        ; implicit-def: $vgpr24_vgpr25
.LBB113_11:
	v_mov_b32_e32 v10, 0
	v_mov_b32_e32 v12, 0
	v_mov_b32_e32 v18, 0
	v_dual_mov_b32 v22, 0 :: v_dual_mov_b32 v11, 0
	v_dual_mov_b32 v16, 0 :: v_dual_mov_b32 v13, 0
	;; [unrolled: 1-line block ×5, first 2 shown]
	v_mov_b32_e32 v15, 0
	v_mov_b32_e32 v21, 0
	v_mov_b32_e32 v25, 0
	s_and_saveexec_b32 s3, s2
	s_cbranch_execz .LBB113_15
; %bb.12:
	v_mov_b32_e32 v10, 0
	v_mov_b32_e32 v16, 0
	;; [unrolled: 1-line block ×7, first 2 shown]
	v_dual_mov_b32 v24, 0 :: v_dual_mov_b32 v29, 0
	v_dual_mov_b32 v11, 0 :: v_dual_lshlrev_b32 v28, 2, v26
	v_mov_b32_e32 v17, 0
	v_mov_b32_e32 v13, 0
	;; [unrolled: 1-line block ×7, first 2 shown]
	s_mov_b32 s2, 0
.LBB113_13:                             ; =>This Inner Loop Header: Depth=1
	v_ashrrev_i32_e32 v27, 31, v26
	v_mov_b32_e32 v49, v29
	s_delay_alu instid0(VALU_DEP_2) | instskip(SKIP_1) | instid1(VALU_DEP_2)
	v_lshlrev_b64_e32 v[32:33], 2, v[26:27]
	v_add_nc_u32_e32 v26, 16, v26
	v_add_co_u32 v32, vcc_lo, s6, v32
	s_wait_alu 0xfffd
	s_delay_alu instid0(VALU_DEP_3) | instskip(SKIP_3) | instid1(VALU_DEP_2)
	v_add_co_ci_u32_e64 v33, null, s7, v33, vcc_lo
	global_load_b32 v27, v[32:33], off
	v_lshlrev_b64_e32 v[32:33], 4, v[28:29]
	v_add_nc_u32_e32 v28, 64, v28
	v_add_co_u32 v44, vcc_lo, s8, v32
	s_wait_alu 0xfffd
	s_delay_alu instid0(VALU_DEP_3)
	v_add_co_ci_u32_e64 v45, null, s9, v33, vcc_lo
	s_clause 0x3
	global_load_b128 v[32:35], v[44:45], off offset:48
	global_load_b128 v[36:39], v[44:45], off offset:32
	global_load_b128 v[40:43], v[44:45], off offset:16
	global_load_b128 v[44:47], v[44:45], off
	s_wait_loadcnt 0x4
	v_subrev_nc_u32_e32 v48, s12, v27
	s_delay_alu instid0(VALU_DEP_1) | instskip(NEXT) | instid1(VALU_DEP_1)
	v_lshlrev_b64_e32 v[48:49], 4, v[48:49]
	v_add_co_u32 v48, vcc_lo, s10, v48
	s_wait_alu 0xfffd
	s_delay_alu instid0(VALU_DEP_2)
	v_add_co_ci_u32_e64 v49, null, s11, v49, vcc_lo
	v_cmp_ge_i32_e32 vcc_lo, v26, v31
	global_load_b128 v[48:51], v[48:49], off
	s_wait_alu 0xfffe
	s_or_b32 s2, vcc_lo, s2
	s_wait_loadcnt 0x0
	v_fma_f64 v[16:17], v[44:45], v[48:49], v[16:17]
	v_fma_f64 v[10:11], v[46:47], v[48:49], v[10:11]
	;; [unrolled: 1-line block ×8, first 2 shown]
	v_fma_f64 v[16:17], -v[46:47], v[50:51], v[16:17]
	v_fma_f64 v[10:11], v[44:45], v[50:51], v[10:11]
	v_fma_f64 v[22:23], -v[42:43], v[50:51], v[22:23]
	v_fma_f64 v[24:25], v[40:41], v[50:51], v[24:25]
	;; [unrolled: 2-line block ×4, first 2 shown]
	s_wait_alu 0xfffe
	s_and_not1_b32 exec_lo, exec_lo, s2
	s_cbranch_execnz .LBB113_13
; %bb.14:
	s_or_b32 exec_lo, exec_lo, s2
.LBB113_15:
	s_wait_alu 0xfffe
	s_or_b32 exec_lo, exec_lo, s3
.LBB113_16:
	v_mbcnt_lo_u32_b32 v44, -1, 0
	s_delay_alu instid0(VALU_DEP_1) | instskip(NEXT) | instid1(VALU_DEP_1)
	v_xor_b32_e32 v26, 8, v44
	v_cmp_gt_i32_e32 vcc_lo, 32, v26
	s_wait_alu 0xfffd
	v_cndmask_b32_e32 v26, v44, v26, vcc_lo
	s_delay_alu instid0(VALU_DEP_1)
	v_lshlrev_b32_e32 v41, 2, v26
	ds_bpermute_b32 v26, v41, v16
	ds_bpermute_b32 v27, v41, v17
	;; [unrolled: 1-line block ×16, first 2 shown]
	s_wait_dscnt 0xe
	v_add_f64_e32 v[16:17], v[16:17], v[26:27]
	v_xor_b32_e32 v26, 4, v44
	s_wait_dscnt 0xc
	v_add_f64_e32 v[10:11], v[10:11], v[28:29]
	s_wait_dscnt 0xa
	v_add_f64_e32 v[22:23], v[22:23], v[30:31]
	;; [unrolled: 2-line block ×3, first 2 shown]
	v_cmp_gt_i32_e32 vcc_lo, 32, v26
	s_wait_dscnt 0x6
	v_add_f64_e32 v[18:19], v[18:19], v[34:35]
	s_wait_dscnt 0x4
	v_add_f64_e32 v[20:21], v[20:21], v[36:37]
	;; [unrolled: 2-line block ×3, first 2 shown]
	s_wait_alu 0xfffd
	v_cndmask_b32_e32 v26, v44, v26, vcc_lo
	s_wait_dscnt 0x0
	v_add_f64_e32 v[14:15], v[14:15], v[40:41]
	s_delay_alu instid0(VALU_DEP_2)
	v_lshlrev_b32_e32 v41, 2, v26
	ds_bpermute_b32 v26, v41, v16
	ds_bpermute_b32 v27, v41, v17
	ds_bpermute_b32 v28, v41, v10
	ds_bpermute_b32 v29, v41, v11
	ds_bpermute_b32 v30, v41, v22
	ds_bpermute_b32 v31, v41, v23
	ds_bpermute_b32 v32, v41, v24
	ds_bpermute_b32 v33, v41, v25
	ds_bpermute_b32 v34, v41, v18
	ds_bpermute_b32 v35, v41, v19
	ds_bpermute_b32 v36, v41, v20
	ds_bpermute_b32 v37, v41, v21
	ds_bpermute_b32 v38, v41, v12
	ds_bpermute_b32 v39, v41, v13
	ds_bpermute_b32 v40, v41, v14
	ds_bpermute_b32 v41, v41, v15
	s_wait_dscnt 0xe
	v_add_f64_e32 v[16:17], v[16:17], v[26:27]
	s_wait_dscnt 0xc
	v_add_f64_e32 v[26:27], v[10:11], v[28:29]
	v_xor_b32_e32 v10, 2, v44
	s_wait_dscnt 0xa
	v_add_f64_e32 v[22:23], v[22:23], v[30:31]
	s_wait_dscnt 0x8
	v_add_f64_e32 v[28:29], v[24:25], v[32:33]
	;; [unrolled: 2-line block ×3, first 2 shown]
	v_cmp_gt_i32_e32 vcc_lo, 32, v10
	s_wait_dscnt 0x4
	v_add_f64_e32 v[20:21], v[20:21], v[36:37]
	s_wait_dscnt 0x2
	v_add_f64_e32 v[30:31], v[12:13], v[38:39]
	;; [unrolled: 2-line block ×3, first 2 shown]
	s_wait_alu 0xfffd
	v_cndmask_b32_e32 v10, v44, v10, vcc_lo
	s_delay_alu instid0(VALU_DEP_1)
	v_lshlrev_b32_e32 v24, 2, v10
	ds_bpermute_b32 v10, v24, v16
	ds_bpermute_b32 v11, v24, v17
	;; [unrolled: 1-line block ×16, first 2 shown]
	s_wait_dscnt 0xe
	v_add_f64_e32 v[10:11], v[16:17], v[10:11]
	s_wait_dscnt 0xc
	v_add_f64_e32 v[24:25], v[26:27], v[12:13]
	v_xor_b32_e32 v26, 1, v44
	s_wait_dscnt 0xa
	v_add_f64_e32 v[12:13], v[22:23], v[14:15]
	s_wait_dscnt 0x8
	v_add_f64_e32 v[22:23], v[28:29], v[34:35]
	;; [unrolled: 2-line block ×3, first 2 shown]
	v_cmp_gt_i32_e32 vcc_lo, 32, v26
	s_wait_dscnt 0x4
	v_add_f64_e32 v[20:21], v[20:21], v[38:39]
	s_wait_dscnt 0x2
	v_add_f64_e32 v[16:17], v[30:31], v[40:41]
	;; [unrolled: 2-line block ×3, first 2 shown]
	s_wait_alu 0xfffd
	v_cndmask_b32_e32 v26, v44, v26, vcc_lo
	v_cmp_eq_u32_e32 vcc_lo, 15, v0
	s_delay_alu instid0(VALU_DEP_2)
	v_lshlrev_b32_e32 v29, 2, v26
	ds_bpermute_b32 v40, v29, v10
	ds_bpermute_b32 v41, v29, v11
	;; [unrolled: 1-line block ×16, first 2 shown]
	s_and_b32 exec_lo, exec_lo, vcc_lo
	s_cbranch_execz .LBB113_21
; %bb.17:
	v_cmp_eq_f64_e32 vcc_lo, 0, v[5:6]
	v_cmp_eq_f64_e64 s2, 0, v[7:8]
	s_wait_dscnt 0xe
	v_add_f64_e32 v[10:11], v[10:11], v[40:41]
	s_wait_dscnt 0xc
	v_add_f64_e32 v[24:25], v[24:25], v[38:39]
	s_wait_dscnt 0xa
	v_add_f64_e32 v[12:13], v[12:13], v[36:37]
	s_wait_dscnt 0x8
	v_add_f64_e32 v[22:23], v[22:23], v[34:35]
	s_wait_dscnt 0x6
	v_add_f64_e32 v[14:15], v[14:15], v[32:33]
	s_wait_dscnt 0x4
	v_add_f64_e32 v[20:21], v[20:21], v[30:31]
	s_wait_dscnt 0x2
	v_add_f64_e32 v[16:17], v[16:17], v[26:27]
	s_wait_dscnt 0x0
	v_add_f64_e32 v[18:19], v[18:19], v[28:29]
	s_load_b64 s[0:1], s[0:1], 0x48
	s_and_b32 s2, vcc_lo, s2
	s_wait_alu 0xfffe
	s_and_saveexec_b32 s3, s2
	s_wait_alu 0xfffe
	s_xor_b32 s2, exec_lo, s3
	s_cbranch_execz .LBB113_19
; %bb.18:
	v_mul_f64_e64 v[5:6], v[24:25], -v[3:4]
	v_mul_f64_e32 v[7:8], v[1:2], v[24:25]
	v_mul_f64_e64 v[24:25], v[22:23], -v[3:4]
	v_mul_f64_e32 v[22:23], v[1:2], v[22:23]
	;; [unrolled: 2-line block ×4, first 2 shown]
	v_fma_f64 v[5:6], v[1:2], v[10:11], v[5:6]
	v_fma_f64 v[7:8], v[3:4], v[10:11], v[7:8]
	v_fma_f64 v[10:11], v[1:2], v[12:13], v[24:25]
	v_fma_f64 v[12:13], v[3:4], v[12:13], v[22:23]
	v_fma_f64 v[18:19], v[1:2], v[14:15], v[26:27]
	v_fma_f64 v[20:21], v[3:4], v[14:15], v[20:21]
	v_fma_f64 v[0:1], v[1:2], v[16:17], v[28:29]
	v_fma_f64 v[2:3], v[3:4], v[16:17], v[30:31]
	v_lshlrev_b32_e32 v14, 2, v9
                                        ; implicit-def: $vgpr9
                                        ; implicit-def: $vgpr24_vgpr25
                                        ; implicit-def: $vgpr22_vgpr23
                                        ; implicit-def: $vgpr16_vgpr17
	s_delay_alu instid0(VALU_DEP_1) | instskip(NEXT) | instid1(VALU_DEP_1)
	v_ashrrev_i32_e32 v15, 31, v14
	v_lshlrev_b64_e32 v[14:15], 4, v[14:15]
	s_wait_kmcnt 0x0
	s_delay_alu instid0(VALU_DEP_1) | instskip(SKIP_1) | instid1(VALU_DEP_2)
	v_add_co_u32 v14, vcc_lo, s0, v14
	s_wait_alu 0xfffd
	v_add_co_ci_u32_e64 v15, null, s1, v15, vcc_lo
	s_clause 0x3
	global_store_b128 v[14:15], v[5:8], off
	global_store_b128 v[14:15], v[10:13], off offset:16
	global_store_b128 v[14:15], v[18:21], off offset:32
	;; [unrolled: 1-line block ×3, first 2 shown]
                                        ; implicit-def: $vgpr10_vgpr11
                                        ; implicit-def: $vgpr12_vgpr13
                                        ; implicit-def: $vgpr14_vgpr15
                                        ; implicit-def: $vgpr20_vgpr21
                                        ; implicit-def: $vgpr18_vgpr19
                                        ; implicit-def: $vgpr7_vgpr8
                                        ; implicit-def: $vgpr3_vgpr4
.LBB113_19:
	s_wait_alu 0xfffe
	s_and_not1_saveexec_b32 s2, s2
	s_cbranch_execz .LBB113_21
; %bb.20:
	v_lshlrev_b32_e32 v26, 2, v9
	v_mul_f64_e64 v[44:45], v[24:25], -v[3:4]
	v_mul_f64_e32 v[24:25], v[1:2], v[24:25]
	v_mul_f64_e64 v[46:47], v[22:23], -v[3:4]
	v_mul_f64_e32 v[22:23], v[1:2], v[22:23]
	v_ashrrev_i32_e32 v27, 31, v26
	v_mul_f64_e64 v[48:49], v[20:21], -v[3:4]
	v_mul_f64_e32 v[20:21], v[1:2], v[20:21]
	v_mul_f64_e64 v[50:51], v[18:19], -v[3:4]
	v_mul_f64_e32 v[18:19], v[1:2], v[18:19]
	v_lshlrev_b64_e32 v[26:27], 4, v[26:27]
	s_wait_kmcnt 0x0
	s_delay_alu instid0(VALU_DEP_1) | instskip(SKIP_1) | instid1(VALU_DEP_2)
	v_add_co_u32 v42, vcc_lo, s0, v26
	s_wait_alu 0xfffd
	v_add_co_ci_u32_e64 v43, null, s1, v27, vcc_lo
	s_clause 0x3
	global_load_b128 v[26:29], v[42:43], off
	global_load_b128 v[30:33], v[42:43], off offset:16
	global_load_b128 v[34:37], v[42:43], off offset:32
	;; [unrolled: 1-line block ×3, first 2 shown]
	v_fma_f64 v[44:45], v[1:2], v[10:11], v[44:45]
	v_fma_f64 v[9:10], v[3:4], v[10:11], v[24:25]
	;; [unrolled: 1-line block ×8, first 2 shown]
	s_wait_loadcnt 0x3
	v_fma_f64 v[15:16], v[5:6], v[26:27], v[44:45]
	v_fma_f64 v[9:10], v[7:8], v[26:27], v[9:10]
	s_wait_loadcnt 0x2
	v_fma_f64 v[17:18], v[5:6], v[30:31], v[24:25]
	v_fma_f64 v[11:12], v[7:8], v[30:31], v[11:12]
	;; [unrolled: 3-line block ×4, first 2 shown]
	v_fma_f64 v[0:1], -v[7:8], v[28:29], v[15:16]
	v_fma_f64 v[2:3], v[5:6], v[28:29], v[9:10]
	v_fma_f64 v[9:10], -v[7:8], v[32:33], v[17:18]
	v_fma_f64 v[11:12], v[5:6], v[32:33], v[11:12]
	;; [unrolled: 2-line block ×4, first 2 shown]
	s_clause 0x3
	global_store_b128 v[42:43], v[0:3], off
	global_store_b128 v[42:43], v[9:12], off offset:16
	global_store_b128 v[42:43], v[13:16], off offset:32
	;; [unrolled: 1-line block ×3, first 2 shown]
.LBB113_21:
	s_endpgm
	.section	.rodata,"a",@progbits
	.p2align	6, 0x0
	.amdhsa_kernel _ZN9rocsparseL19gebsrmvn_4xn_kernelILj128ELj1ELj16E21rocsparse_complex_numIdEEEvi20rocsparse_direction_NS_24const_host_device_scalarIT2_EEPKiS8_PKS5_SA_S6_PS5_21rocsparse_index_base_b
		.amdhsa_group_segment_fixed_size 0
		.amdhsa_private_segment_fixed_size 0
		.amdhsa_kernarg_size 88
		.amdhsa_user_sgpr_count 2
		.amdhsa_user_sgpr_dispatch_ptr 0
		.amdhsa_user_sgpr_queue_ptr 0
		.amdhsa_user_sgpr_kernarg_segment_ptr 1
		.amdhsa_user_sgpr_dispatch_id 0
		.amdhsa_user_sgpr_private_segment_size 0
		.amdhsa_wavefront_size32 1
		.amdhsa_uses_dynamic_stack 0
		.amdhsa_enable_private_segment 0
		.amdhsa_system_sgpr_workgroup_id_x 1
		.amdhsa_system_sgpr_workgroup_id_y 0
		.amdhsa_system_sgpr_workgroup_id_z 0
		.amdhsa_system_sgpr_workgroup_info 0
		.amdhsa_system_vgpr_workitem_id 0
		.amdhsa_next_free_vgpr 52
		.amdhsa_next_free_sgpr 14
		.amdhsa_reserve_vcc 1
		.amdhsa_float_round_mode_32 0
		.amdhsa_float_round_mode_16_64 0
		.amdhsa_float_denorm_mode_32 3
		.amdhsa_float_denorm_mode_16_64 3
		.amdhsa_fp16_overflow 0
		.amdhsa_workgroup_processor_mode 1
		.amdhsa_memory_ordered 1
		.amdhsa_forward_progress 1
		.amdhsa_inst_pref_size 23
		.amdhsa_round_robin_scheduling 0
		.amdhsa_exception_fp_ieee_invalid_op 0
		.amdhsa_exception_fp_denorm_src 0
		.amdhsa_exception_fp_ieee_div_zero 0
		.amdhsa_exception_fp_ieee_overflow 0
		.amdhsa_exception_fp_ieee_underflow 0
		.amdhsa_exception_fp_ieee_inexact 0
		.amdhsa_exception_int_div_zero 0
	.end_amdhsa_kernel
	.section	.text._ZN9rocsparseL19gebsrmvn_4xn_kernelILj128ELj1ELj16E21rocsparse_complex_numIdEEEvi20rocsparse_direction_NS_24const_host_device_scalarIT2_EEPKiS8_PKS5_SA_S6_PS5_21rocsparse_index_base_b,"axG",@progbits,_ZN9rocsparseL19gebsrmvn_4xn_kernelILj128ELj1ELj16E21rocsparse_complex_numIdEEEvi20rocsparse_direction_NS_24const_host_device_scalarIT2_EEPKiS8_PKS5_SA_S6_PS5_21rocsparse_index_base_b,comdat
.Lfunc_end113:
	.size	_ZN9rocsparseL19gebsrmvn_4xn_kernelILj128ELj1ELj16E21rocsparse_complex_numIdEEEvi20rocsparse_direction_NS_24const_host_device_scalarIT2_EEPKiS8_PKS5_SA_S6_PS5_21rocsparse_index_base_b, .Lfunc_end113-_ZN9rocsparseL19gebsrmvn_4xn_kernelILj128ELj1ELj16E21rocsparse_complex_numIdEEEvi20rocsparse_direction_NS_24const_host_device_scalarIT2_EEPKiS8_PKS5_SA_S6_PS5_21rocsparse_index_base_b
                                        ; -- End function
	.set _ZN9rocsparseL19gebsrmvn_4xn_kernelILj128ELj1ELj16E21rocsparse_complex_numIdEEEvi20rocsparse_direction_NS_24const_host_device_scalarIT2_EEPKiS8_PKS5_SA_S6_PS5_21rocsparse_index_base_b.num_vgpr, 52
	.set _ZN9rocsparseL19gebsrmvn_4xn_kernelILj128ELj1ELj16E21rocsparse_complex_numIdEEEvi20rocsparse_direction_NS_24const_host_device_scalarIT2_EEPKiS8_PKS5_SA_S6_PS5_21rocsparse_index_base_b.num_agpr, 0
	.set _ZN9rocsparseL19gebsrmvn_4xn_kernelILj128ELj1ELj16E21rocsparse_complex_numIdEEEvi20rocsparse_direction_NS_24const_host_device_scalarIT2_EEPKiS8_PKS5_SA_S6_PS5_21rocsparse_index_base_b.numbered_sgpr, 14
	.set _ZN9rocsparseL19gebsrmvn_4xn_kernelILj128ELj1ELj16E21rocsparse_complex_numIdEEEvi20rocsparse_direction_NS_24const_host_device_scalarIT2_EEPKiS8_PKS5_SA_S6_PS5_21rocsparse_index_base_b.num_named_barrier, 0
	.set _ZN9rocsparseL19gebsrmvn_4xn_kernelILj128ELj1ELj16E21rocsparse_complex_numIdEEEvi20rocsparse_direction_NS_24const_host_device_scalarIT2_EEPKiS8_PKS5_SA_S6_PS5_21rocsparse_index_base_b.private_seg_size, 0
	.set _ZN9rocsparseL19gebsrmvn_4xn_kernelILj128ELj1ELj16E21rocsparse_complex_numIdEEEvi20rocsparse_direction_NS_24const_host_device_scalarIT2_EEPKiS8_PKS5_SA_S6_PS5_21rocsparse_index_base_b.uses_vcc, 1
	.set _ZN9rocsparseL19gebsrmvn_4xn_kernelILj128ELj1ELj16E21rocsparse_complex_numIdEEEvi20rocsparse_direction_NS_24const_host_device_scalarIT2_EEPKiS8_PKS5_SA_S6_PS5_21rocsparse_index_base_b.uses_flat_scratch, 0
	.set _ZN9rocsparseL19gebsrmvn_4xn_kernelILj128ELj1ELj16E21rocsparse_complex_numIdEEEvi20rocsparse_direction_NS_24const_host_device_scalarIT2_EEPKiS8_PKS5_SA_S6_PS5_21rocsparse_index_base_b.has_dyn_sized_stack, 0
	.set _ZN9rocsparseL19gebsrmvn_4xn_kernelILj128ELj1ELj16E21rocsparse_complex_numIdEEEvi20rocsparse_direction_NS_24const_host_device_scalarIT2_EEPKiS8_PKS5_SA_S6_PS5_21rocsparse_index_base_b.has_recursion, 0
	.set _ZN9rocsparseL19gebsrmvn_4xn_kernelILj128ELj1ELj16E21rocsparse_complex_numIdEEEvi20rocsparse_direction_NS_24const_host_device_scalarIT2_EEPKiS8_PKS5_SA_S6_PS5_21rocsparse_index_base_b.has_indirect_call, 0
	.section	.AMDGPU.csdata,"",@progbits
; Kernel info:
; codeLenInByte = 2912
; TotalNumSgprs: 16
; NumVgprs: 52
; ScratchSize: 0
; MemoryBound: 0
; FloatMode: 240
; IeeeMode: 1
; LDSByteSize: 0 bytes/workgroup (compile time only)
; SGPRBlocks: 0
; VGPRBlocks: 6
; NumSGPRsForWavesPerEU: 16
; NumVGPRsForWavesPerEU: 52
; Occupancy: 16
; WaveLimiterHint : 1
; COMPUTE_PGM_RSRC2:SCRATCH_EN: 0
; COMPUTE_PGM_RSRC2:USER_SGPR: 2
; COMPUTE_PGM_RSRC2:TRAP_HANDLER: 0
; COMPUTE_PGM_RSRC2:TGID_X_EN: 1
; COMPUTE_PGM_RSRC2:TGID_Y_EN: 0
; COMPUTE_PGM_RSRC2:TGID_Z_EN: 0
; COMPUTE_PGM_RSRC2:TIDIG_COMP_CNT: 0
	.section	.text._ZN9rocsparseL19gebsrmvn_4xn_kernelILj128ELj1ELj32E21rocsparse_complex_numIdEEEvi20rocsparse_direction_NS_24const_host_device_scalarIT2_EEPKiS8_PKS5_SA_S6_PS5_21rocsparse_index_base_b,"axG",@progbits,_ZN9rocsparseL19gebsrmvn_4xn_kernelILj128ELj1ELj32E21rocsparse_complex_numIdEEEvi20rocsparse_direction_NS_24const_host_device_scalarIT2_EEPKiS8_PKS5_SA_S6_PS5_21rocsparse_index_base_b,comdat
	.globl	_ZN9rocsparseL19gebsrmvn_4xn_kernelILj128ELj1ELj32E21rocsparse_complex_numIdEEEvi20rocsparse_direction_NS_24const_host_device_scalarIT2_EEPKiS8_PKS5_SA_S6_PS5_21rocsparse_index_base_b ; -- Begin function _ZN9rocsparseL19gebsrmvn_4xn_kernelILj128ELj1ELj32E21rocsparse_complex_numIdEEEvi20rocsparse_direction_NS_24const_host_device_scalarIT2_EEPKiS8_PKS5_SA_S6_PS5_21rocsparse_index_base_b
	.p2align	8
	.type	_ZN9rocsparseL19gebsrmvn_4xn_kernelILj128ELj1ELj32E21rocsparse_complex_numIdEEEvi20rocsparse_direction_NS_24const_host_device_scalarIT2_EEPKiS8_PKS5_SA_S6_PS5_21rocsparse_index_base_b,@function
_ZN9rocsparseL19gebsrmvn_4xn_kernelILj128ELj1ELj32E21rocsparse_complex_numIdEEEvi20rocsparse_direction_NS_24const_host_device_scalarIT2_EEPKiS8_PKS5_SA_S6_PS5_21rocsparse_index_base_b: ; @_ZN9rocsparseL19gebsrmvn_4xn_kernelILj128ELj1ELj32E21rocsparse_complex_numIdEEEvi20rocsparse_direction_NS_24const_host_device_scalarIT2_EEPKiS8_PKS5_SA_S6_PS5_21rocsparse_index_base_b
; %bb.0:
	s_clause 0x1
	s_load_b64 s[12:13], s[0:1], 0x50
	s_load_b64 s[2:3], s[0:1], 0x8
	s_add_nc_u64 s[4:5], s[0:1], 8
	s_load_b64 s[6:7], s[0:1], 0x38
	s_wait_kmcnt 0x0
	s_bitcmp1_b32 s13, 0
	s_cselect_b32 s2, s4, s2
	s_cselect_b32 s3, s5, s3
	s_delay_alu instid0(SALU_CYCLE_1)
	v_dual_mov_b32 v1, s2 :: v_dual_mov_b32 v2, s3
	s_add_nc_u64 s[2:3], s[0:1], 56
	s_wait_alu 0xfffe
	s_cselect_b32 s2, s2, s6
	s_cselect_b32 s3, s3, s7
	flat_load_b128 v[1:4], v[1:2]
	s_wait_alu 0xfffe
	v_dual_mov_b32 v5, s2 :: v_dual_mov_b32 v6, s3
	flat_load_b128 v[5:8], v[5:6]
	s_wait_loadcnt_dscnt 0x101
	v_cmp_eq_f64_e32 vcc_lo, 0, v[1:2]
	v_cmp_eq_f64_e64 s2, 0, v[3:4]
	s_and_b32 s4, vcc_lo, s2
	s_mov_b32 s2, -1
	s_and_saveexec_b32 s3, s4
	s_cbranch_execz .LBB114_2
; %bb.1:
	s_wait_loadcnt_dscnt 0x0
	v_cmp_neq_f64_e32 vcc_lo, 1.0, v[5:6]
	v_cmp_neq_f64_e64 s2, 0, v[7:8]
	s_wait_alu 0xfffe
	s_or_b32 s2, vcc_lo, s2
	s_wait_alu 0xfffe
	s_or_not1_b32 s2, s2, exec_lo
.LBB114_2:
	s_wait_alu 0xfffe
	s_or_b32 exec_lo, exec_lo, s3
	s_and_saveexec_b32 s3, s2
	s_cbranch_execz .LBB114_21
; %bb.3:
	s_load_b64 s[2:3], s[0:1], 0x0
	v_lshrrev_b32_e32 v9, 5, v0
	s_delay_alu instid0(VALU_DEP_1) | instskip(SKIP_1) | instid1(VALU_DEP_1)
	v_lshl_or_b32 v9, ttmp9, 2, v9
	s_wait_kmcnt 0x0
	v_cmp_gt_i32_e32 vcc_lo, s2, v9
	s_and_b32 exec_lo, exec_lo, vcc_lo
	s_cbranch_execz .LBB114_21
; %bb.4:
	s_load_b256 s[4:11], s[0:1], 0x18
	v_ashrrev_i32_e32 v10, 31, v9
	v_and_b32_e32 v0, 31, v0
	s_cmp_lg_u32 s3, 0
	s_delay_alu instid0(VALU_DEP_2) | instskip(SKIP_1) | instid1(VALU_DEP_1)
	v_lshlrev_b64_e32 v[10:11], 2, v[9:10]
	s_wait_kmcnt 0x0
	v_add_co_u32 v10, vcc_lo, s4, v10
	s_delay_alu instid0(VALU_DEP_1) | instskip(SKIP_4) | instid1(VALU_DEP_2)
	v_add_co_ci_u32_e64 v11, null, s5, v11, vcc_lo
	global_load_b64 v[10:11], v[10:11], off
	s_wait_loadcnt 0x0
	v_subrev_nc_u32_e32 v10, s12, v10
	v_subrev_nc_u32_e32 v31, s12, v11
	v_add_nc_u32_e32 v26, v10, v0
	s_delay_alu instid0(VALU_DEP_1)
	v_cmp_lt_i32_e64 s2, v26, v31
	s_cbranch_scc0 .LBB114_10
; %bb.5:
	v_mov_b32_e32 v10, 0
	v_mov_b32_e32 v12, 0
	;; [unrolled: 1-line block ×3, first 2 shown]
	v_dual_mov_b32 v22, 0 :: v_dual_mov_b32 v11, 0
	v_dual_mov_b32 v16, 0 :: v_dual_mov_b32 v13, 0
	;; [unrolled: 1-line block ×5, first 2 shown]
	v_mov_b32_e32 v15, 0
	v_mov_b32_e32 v21, 0
	;; [unrolled: 1-line block ×3, first 2 shown]
	s_and_saveexec_b32 s3, s2
	s_cbranch_execz .LBB114_9
; %bb.6:
	v_mov_b32_e32 v16, 0
	v_mov_b32_e32 v14, 0
	v_dual_mov_b32 v20, 0 :: v_dual_lshlrev_b32 v27, 2, v26
	v_dual_mov_b32 v10, 0 :: v_dual_mov_b32 v17, 0
	v_dual_mov_b32 v12, 0 :: v_dual_mov_b32 v15, 0
	;; [unrolled: 1-line block ×3, first 2 shown]
	v_mov_b32_e32 v22, 0
	v_dual_mov_b32 v24, 0 :: v_dual_mov_b32 v29, v26
	v_dual_mov_b32 v11, 0 :: v_dual_mov_b32 v28, 0
	v_mov_b32_e32 v13, 0
	v_mov_b32_e32 v19, 0
	;; [unrolled: 1-line block ×4, first 2 shown]
	s_mov_b32 s4, 0
.LBB114_7:                              ; =>This Inner Loop Header: Depth=1
	v_ashrrev_i32_e32 v30, 31, v29
	v_mov_b32_e32 v49, v28
	s_delay_alu instid0(VALU_DEP_2) | instskip(SKIP_1) | instid1(VALU_DEP_2)
	v_lshlrev_b64_e32 v[32:33], 2, v[29:30]
	v_add_nc_u32_e32 v29, 32, v29
	v_add_co_u32 v32, vcc_lo, s6, v32
	s_wait_alu 0xfffd
	s_delay_alu instid0(VALU_DEP_3) | instskip(SKIP_3) | instid1(VALU_DEP_2)
	v_add_co_ci_u32_e64 v33, null, s7, v33, vcc_lo
	global_load_b32 v30, v[32:33], off
	v_lshlrev_b64_e32 v[32:33], 4, v[27:28]
	v_add_nc_u32_e32 v27, 0x80, v27
	v_add_co_u32 v44, vcc_lo, s8, v32
	s_wait_alu 0xfffd
	s_delay_alu instid0(VALU_DEP_3)
	v_add_co_ci_u32_e64 v45, null, s9, v33, vcc_lo
	s_clause 0x3
	global_load_b128 v[32:35], v[44:45], off offset:48
	global_load_b128 v[36:39], v[44:45], off offset:32
	;; [unrolled: 1-line block ×3, first 2 shown]
	global_load_b128 v[44:47], v[44:45], off
	s_wait_loadcnt 0x4
	v_subrev_nc_u32_e32 v48, s12, v30
	s_delay_alu instid0(VALU_DEP_1) | instskip(NEXT) | instid1(VALU_DEP_1)
	v_lshlrev_b64_e32 v[48:49], 4, v[48:49]
	v_add_co_u32 v48, vcc_lo, s10, v48
	s_wait_alu 0xfffd
	s_delay_alu instid0(VALU_DEP_2)
	v_add_co_ci_u32_e64 v49, null, s11, v49, vcc_lo
	v_cmp_ge_i32_e32 vcc_lo, v29, v31
	global_load_b128 v[48:51], v[48:49], off
	s_wait_alu 0xfffe
	s_or_b32 s4, vcc_lo, s4
	s_wait_loadcnt 0x0
	v_fma_f64 v[16:17], v[44:45], v[48:49], v[16:17]
	v_fma_f64 v[10:11], v[46:47], v[48:49], v[10:11]
	;; [unrolled: 1-line block ×8, first 2 shown]
	v_fma_f64 v[16:17], -v[46:47], v[50:51], v[16:17]
	v_fma_f64 v[10:11], v[44:45], v[50:51], v[10:11]
	v_fma_f64 v[22:23], -v[42:43], v[50:51], v[22:23]
	v_fma_f64 v[24:25], v[40:41], v[50:51], v[24:25]
	;; [unrolled: 2-line block ×4, first 2 shown]
	s_wait_alu 0xfffe
	s_and_not1_b32 exec_lo, exec_lo, s4
	s_cbranch_execnz .LBB114_7
; %bb.8:
	s_or_b32 exec_lo, exec_lo, s4
.LBB114_9:
	s_wait_alu 0xfffe
	s_or_b32 exec_lo, exec_lo, s3
	s_cbranch_execz .LBB114_11
	s_branch .LBB114_16
.LBB114_10:
                                        ; implicit-def: $vgpr10_vgpr11
                                        ; implicit-def: $vgpr16_vgpr17
                                        ; implicit-def: $vgpr12_vgpr13
                                        ; implicit-def: $vgpr14_vgpr15
                                        ; implicit-def: $vgpr18_vgpr19
                                        ; implicit-def: $vgpr20_vgpr21
                                        ; implicit-def: $vgpr22_vgpr23
                                        ; implicit-def: $vgpr24_vgpr25
.LBB114_11:
	v_mov_b32_e32 v10, 0
	v_mov_b32_e32 v12, 0
	;; [unrolled: 1-line block ×3, first 2 shown]
	v_dual_mov_b32 v22, 0 :: v_dual_mov_b32 v11, 0
	v_dual_mov_b32 v16, 0 :: v_dual_mov_b32 v13, 0
	v_dual_mov_b32 v14, 0 :: v_dual_mov_b32 v19, 0
	v_dual_mov_b32 v20, 0 :: v_dual_mov_b32 v23, 0
	v_dual_mov_b32 v24, 0 :: v_dual_mov_b32 v17, 0
	v_mov_b32_e32 v15, 0
	v_mov_b32_e32 v21, 0
	;; [unrolled: 1-line block ×3, first 2 shown]
	s_and_saveexec_b32 s3, s2
	s_cbranch_execz .LBB114_15
; %bb.12:
	v_mov_b32_e32 v10, 0
	v_mov_b32_e32 v16, 0
	;; [unrolled: 1-line block ×7, first 2 shown]
	v_dual_mov_b32 v24, 0 :: v_dual_mov_b32 v29, 0
	v_dual_mov_b32 v11, 0 :: v_dual_lshlrev_b32 v28, 2, v26
	v_mov_b32_e32 v17, 0
	v_mov_b32_e32 v13, 0
	;; [unrolled: 1-line block ×7, first 2 shown]
	s_mov_b32 s2, 0
.LBB114_13:                             ; =>This Inner Loop Header: Depth=1
	v_ashrrev_i32_e32 v27, 31, v26
	v_mov_b32_e32 v49, v29
	s_delay_alu instid0(VALU_DEP_2) | instskip(SKIP_1) | instid1(VALU_DEP_2)
	v_lshlrev_b64_e32 v[32:33], 2, v[26:27]
	v_add_nc_u32_e32 v26, 32, v26
	v_add_co_u32 v32, vcc_lo, s6, v32
	s_wait_alu 0xfffd
	s_delay_alu instid0(VALU_DEP_3) | instskip(SKIP_3) | instid1(VALU_DEP_2)
	v_add_co_ci_u32_e64 v33, null, s7, v33, vcc_lo
	global_load_b32 v27, v[32:33], off
	v_lshlrev_b64_e32 v[32:33], 4, v[28:29]
	v_add_nc_u32_e32 v28, 0x80, v28
	v_add_co_u32 v44, vcc_lo, s8, v32
	s_wait_alu 0xfffd
	s_delay_alu instid0(VALU_DEP_3)
	v_add_co_ci_u32_e64 v45, null, s9, v33, vcc_lo
	s_clause 0x3
	global_load_b128 v[32:35], v[44:45], off offset:48
	global_load_b128 v[36:39], v[44:45], off offset:32
	;; [unrolled: 1-line block ×3, first 2 shown]
	global_load_b128 v[44:47], v[44:45], off
	s_wait_loadcnt 0x4
	v_subrev_nc_u32_e32 v48, s12, v27
	s_delay_alu instid0(VALU_DEP_1) | instskip(NEXT) | instid1(VALU_DEP_1)
	v_lshlrev_b64_e32 v[48:49], 4, v[48:49]
	v_add_co_u32 v48, vcc_lo, s10, v48
	s_wait_alu 0xfffd
	s_delay_alu instid0(VALU_DEP_2)
	v_add_co_ci_u32_e64 v49, null, s11, v49, vcc_lo
	v_cmp_ge_i32_e32 vcc_lo, v26, v31
	global_load_b128 v[48:51], v[48:49], off
	s_wait_alu 0xfffe
	s_or_b32 s2, vcc_lo, s2
	s_wait_loadcnt 0x0
	v_fma_f64 v[16:17], v[44:45], v[48:49], v[16:17]
	v_fma_f64 v[10:11], v[46:47], v[48:49], v[10:11]
	;; [unrolled: 1-line block ×8, first 2 shown]
	v_fma_f64 v[16:17], -v[46:47], v[50:51], v[16:17]
	v_fma_f64 v[10:11], v[44:45], v[50:51], v[10:11]
	v_fma_f64 v[22:23], -v[42:43], v[50:51], v[22:23]
	v_fma_f64 v[24:25], v[40:41], v[50:51], v[24:25]
	;; [unrolled: 2-line block ×4, first 2 shown]
	s_wait_alu 0xfffe
	s_and_not1_b32 exec_lo, exec_lo, s2
	s_cbranch_execnz .LBB114_13
; %bb.14:
	s_or_b32 exec_lo, exec_lo, s2
.LBB114_15:
	s_wait_alu 0xfffe
	s_or_b32 exec_lo, exec_lo, s3
.LBB114_16:
	v_mbcnt_lo_u32_b32 v44, -1, 0
	s_delay_alu instid0(VALU_DEP_1) | instskip(NEXT) | instid1(VALU_DEP_1)
	v_xor_b32_e32 v26, 16, v44
	v_cmp_gt_i32_e32 vcc_lo, 32, v26
	s_wait_alu 0xfffd
	v_cndmask_b32_e32 v26, v44, v26, vcc_lo
	s_delay_alu instid0(VALU_DEP_1)
	v_lshlrev_b32_e32 v41, 2, v26
	ds_bpermute_b32 v26, v41, v16
	ds_bpermute_b32 v27, v41, v17
	;; [unrolled: 1-line block ×16, first 2 shown]
	s_wait_dscnt 0xe
	v_add_f64_e32 v[16:17], v[16:17], v[26:27]
	v_xor_b32_e32 v26, 8, v44
	s_wait_dscnt 0xc
	v_add_f64_e32 v[10:11], v[10:11], v[28:29]
	s_wait_dscnt 0xa
	v_add_f64_e32 v[22:23], v[22:23], v[30:31]
	;; [unrolled: 2-line block ×3, first 2 shown]
	v_cmp_gt_i32_e32 vcc_lo, 32, v26
	s_wait_dscnt 0x6
	v_add_f64_e32 v[18:19], v[18:19], v[34:35]
	s_wait_dscnt 0x4
	v_add_f64_e32 v[20:21], v[20:21], v[36:37]
	;; [unrolled: 2-line block ×3, first 2 shown]
	s_wait_alu 0xfffd
	v_cndmask_b32_e32 v26, v44, v26, vcc_lo
	s_wait_dscnt 0x0
	v_add_f64_e32 v[14:15], v[14:15], v[40:41]
	s_delay_alu instid0(VALU_DEP_2)
	v_lshlrev_b32_e32 v41, 2, v26
	ds_bpermute_b32 v26, v41, v16
	ds_bpermute_b32 v27, v41, v17
	ds_bpermute_b32 v28, v41, v10
	ds_bpermute_b32 v29, v41, v11
	ds_bpermute_b32 v30, v41, v22
	ds_bpermute_b32 v31, v41, v23
	ds_bpermute_b32 v32, v41, v24
	ds_bpermute_b32 v33, v41, v25
	ds_bpermute_b32 v34, v41, v18
	ds_bpermute_b32 v35, v41, v19
	ds_bpermute_b32 v36, v41, v20
	ds_bpermute_b32 v37, v41, v21
	ds_bpermute_b32 v38, v41, v12
	ds_bpermute_b32 v39, v41, v13
	ds_bpermute_b32 v40, v41, v14
	ds_bpermute_b32 v41, v41, v15
	s_wait_dscnt 0xe
	v_add_f64_e32 v[16:17], v[16:17], v[26:27]
	v_xor_b32_e32 v26, 4, v44
	s_wait_dscnt 0xc
	v_add_f64_e32 v[10:11], v[10:11], v[28:29]
	s_wait_dscnt 0xa
	v_add_f64_e32 v[22:23], v[22:23], v[30:31]
	;; [unrolled: 2-line block ×3, first 2 shown]
	v_cmp_gt_i32_e32 vcc_lo, 32, v26
	s_wait_dscnt 0x6
	v_add_f64_e32 v[18:19], v[18:19], v[34:35]
	s_wait_dscnt 0x4
	v_add_f64_e32 v[20:21], v[20:21], v[36:37]
	;; [unrolled: 2-line block ×3, first 2 shown]
	s_wait_alu 0xfffd
	v_cndmask_b32_e32 v26, v44, v26, vcc_lo
	s_wait_dscnt 0x0
	v_add_f64_e32 v[14:15], v[14:15], v[40:41]
	s_delay_alu instid0(VALU_DEP_2)
	v_lshlrev_b32_e32 v41, 2, v26
	ds_bpermute_b32 v26, v41, v16
	ds_bpermute_b32 v27, v41, v17
	;; [unrolled: 1-line block ×16, first 2 shown]
	s_wait_dscnt 0xe
	v_add_f64_e32 v[16:17], v[16:17], v[26:27]
	s_wait_dscnt 0xc
	v_add_f64_e32 v[26:27], v[10:11], v[28:29]
	v_xor_b32_e32 v10, 2, v44
	s_wait_dscnt 0xa
	v_add_f64_e32 v[22:23], v[22:23], v[30:31]
	s_wait_dscnt 0x8
	v_add_f64_e32 v[28:29], v[24:25], v[32:33]
	;; [unrolled: 2-line block ×3, first 2 shown]
	v_cmp_gt_i32_e32 vcc_lo, 32, v10
	s_wait_dscnt 0x4
	v_add_f64_e32 v[20:21], v[20:21], v[36:37]
	s_wait_dscnt 0x2
	v_add_f64_e32 v[30:31], v[12:13], v[38:39]
	s_wait_dscnt 0x0
	v_add_f64_e32 v[32:33], v[14:15], v[40:41]
	s_wait_alu 0xfffd
	v_cndmask_b32_e32 v10, v44, v10, vcc_lo
	s_delay_alu instid0(VALU_DEP_1)
	v_lshlrev_b32_e32 v24, 2, v10
	ds_bpermute_b32 v10, v24, v16
	ds_bpermute_b32 v11, v24, v17
	;; [unrolled: 1-line block ×16, first 2 shown]
	s_wait_dscnt 0xe
	v_add_f64_e32 v[10:11], v[16:17], v[10:11]
	s_wait_dscnt 0xc
	v_add_f64_e32 v[24:25], v[26:27], v[12:13]
	v_xor_b32_e32 v26, 1, v44
	s_wait_dscnt 0xa
	v_add_f64_e32 v[12:13], v[22:23], v[14:15]
	s_wait_dscnt 0x8
	v_add_f64_e32 v[22:23], v[28:29], v[34:35]
	;; [unrolled: 2-line block ×3, first 2 shown]
	v_cmp_gt_i32_e32 vcc_lo, 32, v26
	s_wait_dscnt 0x4
	v_add_f64_e32 v[20:21], v[20:21], v[38:39]
	s_wait_dscnt 0x2
	v_add_f64_e32 v[16:17], v[30:31], v[40:41]
	;; [unrolled: 2-line block ×3, first 2 shown]
	s_wait_alu 0xfffd
	v_cndmask_b32_e32 v26, v44, v26, vcc_lo
	v_cmp_eq_u32_e32 vcc_lo, 31, v0
	s_delay_alu instid0(VALU_DEP_2)
	v_lshlrev_b32_e32 v29, 2, v26
	ds_bpermute_b32 v40, v29, v10
	ds_bpermute_b32 v41, v29, v11
	;; [unrolled: 1-line block ×16, first 2 shown]
	s_and_b32 exec_lo, exec_lo, vcc_lo
	s_cbranch_execz .LBB114_21
; %bb.17:
	v_cmp_eq_f64_e32 vcc_lo, 0, v[5:6]
	v_cmp_eq_f64_e64 s2, 0, v[7:8]
	s_wait_dscnt 0xe
	v_add_f64_e32 v[10:11], v[10:11], v[40:41]
	s_wait_dscnt 0xc
	v_add_f64_e32 v[24:25], v[24:25], v[38:39]
	;; [unrolled: 2-line block ×8, first 2 shown]
	s_load_b64 s[0:1], s[0:1], 0x48
	s_and_b32 s2, vcc_lo, s2
	s_wait_alu 0xfffe
	s_and_saveexec_b32 s3, s2
	s_wait_alu 0xfffe
	s_xor_b32 s2, exec_lo, s3
	s_cbranch_execz .LBB114_19
; %bb.18:
	v_mul_f64_e64 v[5:6], v[24:25], -v[3:4]
	v_mul_f64_e32 v[7:8], v[1:2], v[24:25]
	v_mul_f64_e64 v[24:25], v[22:23], -v[3:4]
	v_mul_f64_e32 v[22:23], v[1:2], v[22:23]
	;; [unrolled: 2-line block ×4, first 2 shown]
	v_fma_f64 v[5:6], v[1:2], v[10:11], v[5:6]
	v_fma_f64 v[7:8], v[3:4], v[10:11], v[7:8]
	;; [unrolled: 1-line block ×8, first 2 shown]
	v_lshlrev_b32_e32 v14, 2, v9
                                        ; implicit-def: $vgpr9
                                        ; implicit-def: $vgpr24_vgpr25
                                        ; implicit-def: $vgpr22_vgpr23
                                        ; implicit-def: $vgpr16_vgpr17
	s_delay_alu instid0(VALU_DEP_1) | instskip(NEXT) | instid1(VALU_DEP_1)
	v_ashrrev_i32_e32 v15, 31, v14
	v_lshlrev_b64_e32 v[14:15], 4, v[14:15]
	s_wait_kmcnt 0x0
	s_delay_alu instid0(VALU_DEP_1) | instskip(SKIP_1) | instid1(VALU_DEP_2)
	v_add_co_u32 v14, vcc_lo, s0, v14
	s_wait_alu 0xfffd
	v_add_co_ci_u32_e64 v15, null, s1, v15, vcc_lo
	s_clause 0x3
	global_store_b128 v[14:15], v[5:8], off
	global_store_b128 v[14:15], v[10:13], off offset:16
	global_store_b128 v[14:15], v[18:21], off offset:32
	;; [unrolled: 1-line block ×3, first 2 shown]
                                        ; implicit-def: $vgpr10_vgpr11
                                        ; implicit-def: $vgpr12_vgpr13
                                        ; implicit-def: $vgpr14_vgpr15
                                        ; implicit-def: $vgpr20_vgpr21
                                        ; implicit-def: $vgpr18_vgpr19
                                        ; implicit-def: $vgpr7_vgpr8
                                        ; implicit-def: $vgpr3_vgpr4
.LBB114_19:
	s_wait_alu 0xfffe
	s_and_not1_saveexec_b32 s2, s2
	s_cbranch_execz .LBB114_21
; %bb.20:
	v_lshlrev_b32_e32 v26, 2, v9
	v_mul_f64_e64 v[44:45], v[24:25], -v[3:4]
	v_mul_f64_e32 v[24:25], v[1:2], v[24:25]
	v_mul_f64_e64 v[46:47], v[22:23], -v[3:4]
	v_mul_f64_e32 v[22:23], v[1:2], v[22:23]
	v_ashrrev_i32_e32 v27, 31, v26
	v_mul_f64_e64 v[48:49], v[20:21], -v[3:4]
	v_mul_f64_e32 v[20:21], v[1:2], v[20:21]
	v_mul_f64_e64 v[50:51], v[18:19], -v[3:4]
	v_mul_f64_e32 v[18:19], v[1:2], v[18:19]
	v_lshlrev_b64_e32 v[26:27], 4, v[26:27]
	s_wait_kmcnt 0x0
	s_delay_alu instid0(VALU_DEP_1) | instskip(SKIP_1) | instid1(VALU_DEP_2)
	v_add_co_u32 v42, vcc_lo, s0, v26
	s_wait_alu 0xfffd
	v_add_co_ci_u32_e64 v43, null, s1, v27, vcc_lo
	s_clause 0x3
	global_load_b128 v[26:29], v[42:43], off
	global_load_b128 v[30:33], v[42:43], off offset:16
	global_load_b128 v[34:37], v[42:43], off offset:32
	;; [unrolled: 1-line block ×3, first 2 shown]
	v_fma_f64 v[44:45], v[1:2], v[10:11], v[44:45]
	v_fma_f64 v[9:10], v[3:4], v[10:11], v[24:25]
	;; [unrolled: 1-line block ×8, first 2 shown]
	s_wait_loadcnt 0x3
	v_fma_f64 v[15:16], v[5:6], v[26:27], v[44:45]
	v_fma_f64 v[9:10], v[7:8], v[26:27], v[9:10]
	s_wait_loadcnt 0x2
	v_fma_f64 v[17:18], v[5:6], v[30:31], v[24:25]
	v_fma_f64 v[11:12], v[7:8], v[30:31], v[11:12]
	;; [unrolled: 3-line block ×4, first 2 shown]
	v_fma_f64 v[0:1], -v[7:8], v[28:29], v[15:16]
	v_fma_f64 v[2:3], v[5:6], v[28:29], v[9:10]
	v_fma_f64 v[9:10], -v[7:8], v[32:33], v[17:18]
	v_fma_f64 v[11:12], v[5:6], v[32:33], v[11:12]
	;; [unrolled: 2-line block ×4, first 2 shown]
	s_clause 0x3
	global_store_b128 v[42:43], v[0:3], off
	global_store_b128 v[42:43], v[9:12], off offset:16
	global_store_b128 v[42:43], v[13:16], off offset:32
	;; [unrolled: 1-line block ×3, first 2 shown]
.LBB114_21:
	s_endpgm
	.section	.rodata,"a",@progbits
	.p2align	6, 0x0
	.amdhsa_kernel _ZN9rocsparseL19gebsrmvn_4xn_kernelILj128ELj1ELj32E21rocsparse_complex_numIdEEEvi20rocsparse_direction_NS_24const_host_device_scalarIT2_EEPKiS8_PKS5_SA_S6_PS5_21rocsparse_index_base_b
		.amdhsa_group_segment_fixed_size 0
		.amdhsa_private_segment_fixed_size 0
		.amdhsa_kernarg_size 88
		.amdhsa_user_sgpr_count 2
		.amdhsa_user_sgpr_dispatch_ptr 0
		.amdhsa_user_sgpr_queue_ptr 0
		.amdhsa_user_sgpr_kernarg_segment_ptr 1
		.amdhsa_user_sgpr_dispatch_id 0
		.amdhsa_user_sgpr_private_segment_size 0
		.amdhsa_wavefront_size32 1
		.amdhsa_uses_dynamic_stack 0
		.amdhsa_enable_private_segment 0
		.amdhsa_system_sgpr_workgroup_id_x 1
		.amdhsa_system_sgpr_workgroup_id_y 0
		.amdhsa_system_sgpr_workgroup_id_z 0
		.amdhsa_system_sgpr_workgroup_info 0
		.amdhsa_system_vgpr_workitem_id 0
		.amdhsa_next_free_vgpr 52
		.amdhsa_next_free_sgpr 14
		.amdhsa_reserve_vcc 1
		.amdhsa_float_round_mode_32 0
		.amdhsa_float_round_mode_16_64 0
		.amdhsa_float_denorm_mode_32 3
		.amdhsa_float_denorm_mode_16_64 3
		.amdhsa_fp16_overflow 0
		.amdhsa_workgroup_processor_mode 1
		.amdhsa_memory_ordered 1
		.amdhsa_forward_progress 1
		.amdhsa_inst_pref_size 25
		.amdhsa_round_robin_scheduling 0
		.amdhsa_exception_fp_ieee_invalid_op 0
		.amdhsa_exception_fp_denorm_src 0
		.amdhsa_exception_fp_ieee_div_zero 0
		.amdhsa_exception_fp_ieee_overflow 0
		.amdhsa_exception_fp_ieee_underflow 0
		.amdhsa_exception_fp_ieee_inexact 0
		.amdhsa_exception_int_div_zero 0
	.end_amdhsa_kernel
	.section	.text._ZN9rocsparseL19gebsrmvn_4xn_kernelILj128ELj1ELj32E21rocsparse_complex_numIdEEEvi20rocsparse_direction_NS_24const_host_device_scalarIT2_EEPKiS8_PKS5_SA_S6_PS5_21rocsparse_index_base_b,"axG",@progbits,_ZN9rocsparseL19gebsrmvn_4xn_kernelILj128ELj1ELj32E21rocsparse_complex_numIdEEEvi20rocsparse_direction_NS_24const_host_device_scalarIT2_EEPKiS8_PKS5_SA_S6_PS5_21rocsparse_index_base_b,comdat
.Lfunc_end114:
	.size	_ZN9rocsparseL19gebsrmvn_4xn_kernelILj128ELj1ELj32E21rocsparse_complex_numIdEEEvi20rocsparse_direction_NS_24const_host_device_scalarIT2_EEPKiS8_PKS5_SA_S6_PS5_21rocsparse_index_base_b, .Lfunc_end114-_ZN9rocsparseL19gebsrmvn_4xn_kernelILj128ELj1ELj32E21rocsparse_complex_numIdEEEvi20rocsparse_direction_NS_24const_host_device_scalarIT2_EEPKiS8_PKS5_SA_S6_PS5_21rocsparse_index_base_b
                                        ; -- End function
	.set _ZN9rocsparseL19gebsrmvn_4xn_kernelILj128ELj1ELj32E21rocsparse_complex_numIdEEEvi20rocsparse_direction_NS_24const_host_device_scalarIT2_EEPKiS8_PKS5_SA_S6_PS5_21rocsparse_index_base_b.num_vgpr, 52
	.set _ZN9rocsparseL19gebsrmvn_4xn_kernelILj128ELj1ELj32E21rocsparse_complex_numIdEEEvi20rocsparse_direction_NS_24const_host_device_scalarIT2_EEPKiS8_PKS5_SA_S6_PS5_21rocsparse_index_base_b.num_agpr, 0
	.set _ZN9rocsparseL19gebsrmvn_4xn_kernelILj128ELj1ELj32E21rocsparse_complex_numIdEEEvi20rocsparse_direction_NS_24const_host_device_scalarIT2_EEPKiS8_PKS5_SA_S6_PS5_21rocsparse_index_base_b.numbered_sgpr, 14
	.set _ZN9rocsparseL19gebsrmvn_4xn_kernelILj128ELj1ELj32E21rocsparse_complex_numIdEEEvi20rocsparse_direction_NS_24const_host_device_scalarIT2_EEPKiS8_PKS5_SA_S6_PS5_21rocsparse_index_base_b.num_named_barrier, 0
	.set _ZN9rocsparseL19gebsrmvn_4xn_kernelILj128ELj1ELj32E21rocsparse_complex_numIdEEEvi20rocsparse_direction_NS_24const_host_device_scalarIT2_EEPKiS8_PKS5_SA_S6_PS5_21rocsparse_index_base_b.private_seg_size, 0
	.set _ZN9rocsparseL19gebsrmvn_4xn_kernelILj128ELj1ELj32E21rocsparse_complex_numIdEEEvi20rocsparse_direction_NS_24const_host_device_scalarIT2_EEPKiS8_PKS5_SA_S6_PS5_21rocsparse_index_base_b.uses_vcc, 1
	.set _ZN9rocsparseL19gebsrmvn_4xn_kernelILj128ELj1ELj32E21rocsparse_complex_numIdEEEvi20rocsparse_direction_NS_24const_host_device_scalarIT2_EEPKiS8_PKS5_SA_S6_PS5_21rocsparse_index_base_b.uses_flat_scratch, 0
	.set _ZN9rocsparseL19gebsrmvn_4xn_kernelILj128ELj1ELj32E21rocsparse_complex_numIdEEEvi20rocsparse_direction_NS_24const_host_device_scalarIT2_EEPKiS8_PKS5_SA_S6_PS5_21rocsparse_index_base_b.has_dyn_sized_stack, 0
	.set _ZN9rocsparseL19gebsrmvn_4xn_kernelILj128ELj1ELj32E21rocsparse_complex_numIdEEEvi20rocsparse_direction_NS_24const_host_device_scalarIT2_EEPKiS8_PKS5_SA_S6_PS5_21rocsparse_index_base_b.has_recursion, 0
	.set _ZN9rocsparseL19gebsrmvn_4xn_kernelILj128ELj1ELj32E21rocsparse_complex_numIdEEEvi20rocsparse_direction_NS_24const_host_device_scalarIT2_EEPKiS8_PKS5_SA_S6_PS5_21rocsparse_index_base_b.has_indirect_call, 0
	.section	.AMDGPU.csdata,"",@progbits
; Kernel info:
; codeLenInByte = 3136
; TotalNumSgprs: 16
; NumVgprs: 52
; ScratchSize: 0
; MemoryBound: 0
; FloatMode: 240
; IeeeMode: 1
; LDSByteSize: 0 bytes/workgroup (compile time only)
; SGPRBlocks: 0
; VGPRBlocks: 6
; NumSGPRsForWavesPerEU: 16
; NumVGPRsForWavesPerEU: 52
; Occupancy: 16
; WaveLimiterHint : 1
; COMPUTE_PGM_RSRC2:SCRATCH_EN: 0
; COMPUTE_PGM_RSRC2:USER_SGPR: 2
; COMPUTE_PGM_RSRC2:TRAP_HANDLER: 0
; COMPUTE_PGM_RSRC2:TGID_X_EN: 1
; COMPUTE_PGM_RSRC2:TGID_Y_EN: 0
; COMPUTE_PGM_RSRC2:TGID_Z_EN: 0
; COMPUTE_PGM_RSRC2:TIDIG_COMP_CNT: 0
	.section	.text._ZN9rocsparseL19gebsrmvn_4xn_kernelILj128ELj1ELj64E21rocsparse_complex_numIdEEEvi20rocsparse_direction_NS_24const_host_device_scalarIT2_EEPKiS8_PKS5_SA_S6_PS5_21rocsparse_index_base_b,"axG",@progbits,_ZN9rocsparseL19gebsrmvn_4xn_kernelILj128ELj1ELj64E21rocsparse_complex_numIdEEEvi20rocsparse_direction_NS_24const_host_device_scalarIT2_EEPKiS8_PKS5_SA_S6_PS5_21rocsparse_index_base_b,comdat
	.globl	_ZN9rocsparseL19gebsrmvn_4xn_kernelILj128ELj1ELj64E21rocsparse_complex_numIdEEEvi20rocsparse_direction_NS_24const_host_device_scalarIT2_EEPKiS8_PKS5_SA_S6_PS5_21rocsparse_index_base_b ; -- Begin function _ZN9rocsparseL19gebsrmvn_4xn_kernelILj128ELj1ELj64E21rocsparse_complex_numIdEEEvi20rocsparse_direction_NS_24const_host_device_scalarIT2_EEPKiS8_PKS5_SA_S6_PS5_21rocsparse_index_base_b
	.p2align	8
	.type	_ZN9rocsparseL19gebsrmvn_4xn_kernelILj128ELj1ELj64E21rocsparse_complex_numIdEEEvi20rocsparse_direction_NS_24const_host_device_scalarIT2_EEPKiS8_PKS5_SA_S6_PS5_21rocsparse_index_base_b,@function
_ZN9rocsparseL19gebsrmvn_4xn_kernelILj128ELj1ELj64E21rocsparse_complex_numIdEEEvi20rocsparse_direction_NS_24const_host_device_scalarIT2_EEPKiS8_PKS5_SA_S6_PS5_21rocsparse_index_base_b: ; @_ZN9rocsparseL19gebsrmvn_4xn_kernelILj128ELj1ELj64E21rocsparse_complex_numIdEEEvi20rocsparse_direction_NS_24const_host_device_scalarIT2_EEPKiS8_PKS5_SA_S6_PS5_21rocsparse_index_base_b
; %bb.0:
	s_clause 0x1
	s_load_b64 s[12:13], s[0:1], 0x50
	s_load_b64 s[2:3], s[0:1], 0x8
	s_add_nc_u64 s[4:5], s[0:1], 8
	s_load_b64 s[6:7], s[0:1], 0x38
	s_wait_kmcnt 0x0
	s_bitcmp1_b32 s13, 0
	s_cselect_b32 s2, s4, s2
	s_cselect_b32 s3, s5, s3
	s_delay_alu instid0(SALU_CYCLE_1)
	v_dual_mov_b32 v1, s2 :: v_dual_mov_b32 v2, s3
	s_add_nc_u64 s[2:3], s[0:1], 56
	s_wait_alu 0xfffe
	s_cselect_b32 s2, s2, s6
	s_cselect_b32 s3, s3, s7
	flat_load_b128 v[1:4], v[1:2]
	s_wait_alu 0xfffe
	v_dual_mov_b32 v5, s2 :: v_dual_mov_b32 v6, s3
	flat_load_b128 v[5:8], v[5:6]
	s_wait_loadcnt_dscnt 0x101
	v_cmp_eq_f64_e32 vcc_lo, 0, v[1:2]
	v_cmp_eq_f64_e64 s2, 0, v[3:4]
	s_and_b32 s4, vcc_lo, s2
	s_mov_b32 s2, -1
	s_and_saveexec_b32 s3, s4
	s_cbranch_execz .LBB115_2
; %bb.1:
	s_wait_loadcnt_dscnt 0x0
	v_cmp_neq_f64_e32 vcc_lo, 1.0, v[5:6]
	v_cmp_neq_f64_e64 s2, 0, v[7:8]
	s_wait_alu 0xfffe
	s_or_b32 s2, vcc_lo, s2
	s_wait_alu 0xfffe
	s_or_not1_b32 s2, s2, exec_lo
.LBB115_2:
	s_wait_alu 0xfffe
	s_or_b32 exec_lo, exec_lo, s3
	s_and_saveexec_b32 s3, s2
	s_cbranch_execz .LBB115_21
; %bb.3:
	s_load_b64 s[2:3], s[0:1], 0x0
	v_lshrrev_b32_e32 v9, 6, v0
	s_delay_alu instid0(VALU_DEP_1) | instskip(SKIP_1) | instid1(VALU_DEP_1)
	v_lshl_or_b32 v9, ttmp9, 1, v9
	s_wait_kmcnt 0x0
	v_cmp_gt_i32_e32 vcc_lo, s2, v9
	s_and_b32 exec_lo, exec_lo, vcc_lo
	s_cbranch_execz .LBB115_21
; %bb.4:
	s_load_b256 s[4:11], s[0:1], 0x18
	v_ashrrev_i32_e32 v10, 31, v9
	v_and_b32_e32 v0, 63, v0
	s_cmp_lg_u32 s3, 0
	s_delay_alu instid0(VALU_DEP_2) | instskip(SKIP_1) | instid1(VALU_DEP_1)
	v_lshlrev_b64_e32 v[10:11], 2, v[9:10]
	s_wait_kmcnt 0x0
	v_add_co_u32 v10, vcc_lo, s4, v10
	s_delay_alu instid0(VALU_DEP_1) | instskip(SKIP_4) | instid1(VALU_DEP_2)
	v_add_co_ci_u32_e64 v11, null, s5, v11, vcc_lo
	global_load_b64 v[10:11], v[10:11], off
	s_wait_loadcnt 0x0
	v_subrev_nc_u32_e32 v10, s12, v10
	v_subrev_nc_u32_e32 v31, s12, v11
	v_add_nc_u32_e32 v26, v10, v0
	s_delay_alu instid0(VALU_DEP_1)
	v_cmp_lt_i32_e64 s2, v26, v31
	s_cbranch_scc0 .LBB115_10
; %bb.5:
	v_mov_b32_e32 v10, 0
	v_mov_b32_e32 v12, 0
	;; [unrolled: 1-line block ×3, first 2 shown]
	v_dual_mov_b32 v22, 0 :: v_dual_mov_b32 v11, 0
	v_dual_mov_b32 v16, 0 :: v_dual_mov_b32 v13, 0
	;; [unrolled: 1-line block ×5, first 2 shown]
	v_mov_b32_e32 v15, 0
	v_mov_b32_e32 v21, 0
	;; [unrolled: 1-line block ×3, first 2 shown]
	s_and_saveexec_b32 s3, s2
	s_cbranch_execz .LBB115_9
; %bb.6:
	v_mov_b32_e32 v16, 0
	v_mov_b32_e32 v14, 0
	v_dual_mov_b32 v20, 0 :: v_dual_lshlrev_b32 v27, 2, v26
	v_dual_mov_b32 v10, 0 :: v_dual_mov_b32 v17, 0
	v_dual_mov_b32 v12, 0 :: v_dual_mov_b32 v15, 0
	;; [unrolled: 1-line block ×3, first 2 shown]
	v_mov_b32_e32 v22, 0
	v_dual_mov_b32 v24, 0 :: v_dual_mov_b32 v29, v26
	v_dual_mov_b32 v11, 0 :: v_dual_mov_b32 v28, 0
	v_mov_b32_e32 v13, 0
	v_mov_b32_e32 v19, 0
	;; [unrolled: 1-line block ×4, first 2 shown]
	s_mov_b32 s4, 0
.LBB115_7:                              ; =>This Inner Loop Header: Depth=1
	v_ashrrev_i32_e32 v30, 31, v29
	v_mov_b32_e32 v49, v28
	s_delay_alu instid0(VALU_DEP_2) | instskip(SKIP_1) | instid1(VALU_DEP_2)
	v_lshlrev_b64_e32 v[32:33], 2, v[29:30]
	v_add_nc_u32_e32 v29, 64, v29
	v_add_co_u32 v32, vcc_lo, s6, v32
	s_wait_alu 0xfffd
	s_delay_alu instid0(VALU_DEP_3) | instskip(SKIP_3) | instid1(VALU_DEP_2)
	v_add_co_ci_u32_e64 v33, null, s7, v33, vcc_lo
	global_load_b32 v30, v[32:33], off
	v_lshlrev_b64_e32 v[32:33], 4, v[27:28]
	v_add_nc_u32_e32 v27, 0x100, v27
	v_add_co_u32 v44, vcc_lo, s8, v32
	s_wait_alu 0xfffd
	s_delay_alu instid0(VALU_DEP_3)
	v_add_co_ci_u32_e64 v45, null, s9, v33, vcc_lo
	s_clause 0x3
	global_load_b128 v[32:35], v[44:45], off offset:48
	global_load_b128 v[36:39], v[44:45], off offset:32
	;; [unrolled: 1-line block ×3, first 2 shown]
	global_load_b128 v[44:47], v[44:45], off
	s_wait_loadcnt 0x4
	v_subrev_nc_u32_e32 v48, s12, v30
	s_delay_alu instid0(VALU_DEP_1) | instskip(NEXT) | instid1(VALU_DEP_1)
	v_lshlrev_b64_e32 v[48:49], 4, v[48:49]
	v_add_co_u32 v48, vcc_lo, s10, v48
	s_wait_alu 0xfffd
	s_delay_alu instid0(VALU_DEP_2)
	v_add_co_ci_u32_e64 v49, null, s11, v49, vcc_lo
	v_cmp_ge_i32_e32 vcc_lo, v29, v31
	global_load_b128 v[48:51], v[48:49], off
	s_wait_alu 0xfffe
	s_or_b32 s4, vcc_lo, s4
	s_wait_loadcnt 0x0
	v_fma_f64 v[16:17], v[44:45], v[48:49], v[16:17]
	v_fma_f64 v[10:11], v[46:47], v[48:49], v[10:11]
	;; [unrolled: 1-line block ×8, first 2 shown]
	v_fma_f64 v[16:17], -v[46:47], v[50:51], v[16:17]
	v_fma_f64 v[10:11], v[44:45], v[50:51], v[10:11]
	v_fma_f64 v[22:23], -v[42:43], v[50:51], v[22:23]
	v_fma_f64 v[24:25], v[40:41], v[50:51], v[24:25]
	;; [unrolled: 2-line block ×4, first 2 shown]
	s_wait_alu 0xfffe
	s_and_not1_b32 exec_lo, exec_lo, s4
	s_cbranch_execnz .LBB115_7
; %bb.8:
	s_or_b32 exec_lo, exec_lo, s4
.LBB115_9:
	s_wait_alu 0xfffe
	s_or_b32 exec_lo, exec_lo, s3
	s_cbranch_execz .LBB115_11
	s_branch .LBB115_16
.LBB115_10:
                                        ; implicit-def: $vgpr10_vgpr11
                                        ; implicit-def: $vgpr16_vgpr17
                                        ; implicit-def: $vgpr12_vgpr13
                                        ; implicit-def: $vgpr14_vgpr15
                                        ; implicit-def: $vgpr18_vgpr19
                                        ; implicit-def: $vgpr20_vgpr21
                                        ; implicit-def: $vgpr22_vgpr23
                                        ; implicit-def: $vgpr24_vgpr25
.LBB115_11:
	v_mov_b32_e32 v10, 0
	v_mov_b32_e32 v12, 0
	;; [unrolled: 1-line block ×3, first 2 shown]
	v_dual_mov_b32 v22, 0 :: v_dual_mov_b32 v11, 0
	v_dual_mov_b32 v16, 0 :: v_dual_mov_b32 v13, 0
	;; [unrolled: 1-line block ×5, first 2 shown]
	v_mov_b32_e32 v15, 0
	v_mov_b32_e32 v21, 0
	;; [unrolled: 1-line block ×3, first 2 shown]
	s_and_saveexec_b32 s3, s2
	s_cbranch_execz .LBB115_15
; %bb.12:
	v_mov_b32_e32 v10, 0
	v_mov_b32_e32 v16, 0
	;; [unrolled: 1-line block ×7, first 2 shown]
	v_dual_mov_b32 v24, 0 :: v_dual_mov_b32 v29, 0
	v_dual_mov_b32 v11, 0 :: v_dual_lshlrev_b32 v28, 2, v26
	v_mov_b32_e32 v17, 0
	v_mov_b32_e32 v13, 0
	;; [unrolled: 1-line block ×7, first 2 shown]
	s_mov_b32 s2, 0
.LBB115_13:                             ; =>This Inner Loop Header: Depth=1
	v_ashrrev_i32_e32 v27, 31, v26
	v_mov_b32_e32 v49, v29
	s_delay_alu instid0(VALU_DEP_2) | instskip(SKIP_1) | instid1(VALU_DEP_2)
	v_lshlrev_b64_e32 v[32:33], 2, v[26:27]
	v_add_nc_u32_e32 v26, 64, v26
	v_add_co_u32 v32, vcc_lo, s6, v32
	s_wait_alu 0xfffd
	s_delay_alu instid0(VALU_DEP_3) | instskip(SKIP_3) | instid1(VALU_DEP_2)
	v_add_co_ci_u32_e64 v33, null, s7, v33, vcc_lo
	global_load_b32 v27, v[32:33], off
	v_lshlrev_b64_e32 v[32:33], 4, v[28:29]
	v_add_nc_u32_e32 v28, 0x100, v28
	v_add_co_u32 v44, vcc_lo, s8, v32
	s_wait_alu 0xfffd
	s_delay_alu instid0(VALU_DEP_3)
	v_add_co_ci_u32_e64 v45, null, s9, v33, vcc_lo
	s_clause 0x3
	global_load_b128 v[32:35], v[44:45], off offset:48
	global_load_b128 v[36:39], v[44:45], off offset:32
	global_load_b128 v[40:43], v[44:45], off offset:16
	global_load_b128 v[44:47], v[44:45], off
	s_wait_loadcnt 0x4
	v_subrev_nc_u32_e32 v48, s12, v27
	s_delay_alu instid0(VALU_DEP_1) | instskip(NEXT) | instid1(VALU_DEP_1)
	v_lshlrev_b64_e32 v[48:49], 4, v[48:49]
	v_add_co_u32 v48, vcc_lo, s10, v48
	s_wait_alu 0xfffd
	s_delay_alu instid0(VALU_DEP_2)
	v_add_co_ci_u32_e64 v49, null, s11, v49, vcc_lo
	v_cmp_ge_i32_e32 vcc_lo, v26, v31
	global_load_b128 v[48:51], v[48:49], off
	s_wait_alu 0xfffe
	s_or_b32 s2, vcc_lo, s2
	s_wait_loadcnt 0x0
	v_fma_f64 v[16:17], v[44:45], v[48:49], v[16:17]
	v_fma_f64 v[10:11], v[46:47], v[48:49], v[10:11]
	;; [unrolled: 1-line block ×8, first 2 shown]
	v_fma_f64 v[16:17], -v[46:47], v[50:51], v[16:17]
	v_fma_f64 v[10:11], v[44:45], v[50:51], v[10:11]
	v_fma_f64 v[22:23], -v[42:43], v[50:51], v[22:23]
	v_fma_f64 v[24:25], v[40:41], v[50:51], v[24:25]
	;; [unrolled: 2-line block ×4, first 2 shown]
	s_wait_alu 0xfffe
	s_and_not1_b32 exec_lo, exec_lo, s2
	s_cbranch_execnz .LBB115_13
; %bb.14:
	s_or_b32 exec_lo, exec_lo, s2
.LBB115_15:
	s_wait_alu 0xfffe
	s_or_b32 exec_lo, exec_lo, s3
.LBB115_16:
	v_mbcnt_lo_u32_b32 v44, -1, 0
	s_delay_alu instid0(VALU_DEP_1) | instskip(NEXT) | instid1(VALU_DEP_1)
	v_or_b32_e32 v26, 32, v44
	v_cmp_gt_i32_e32 vcc_lo, 32, v26
	s_wait_alu 0xfffd
	v_cndmask_b32_e32 v26, v44, v26, vcc_lo
	s_delay_alu instid0(VALU_DEP_1)
	v_lshlrev_b32_e32 v41, 2, v26
	ds_bpermute_b32 v26, v41, v16
	ds_bpermute_b32 v27, v41, v17
	ds_bpermute_b32 v28, v41, v10
	ds_bpermute_b32 v29, v41, v11
	ds_bpermute_b32 v30, v41, v22
	ds_bpermute_b32 v31, v41, v23
	ds_bpermute_b32 v32, v41, v24
	ds_bpermute_b32 v33, v41, v25
	ds_bpermute_b32 v34, v41, v18
	ds_bpermute_b32 v35, v41, v19
	ds_bpermute_b32 v36, v41, v20
	ds_bpermute_b32 v37, v41, v21
	ds_bpermute_b32 v38, v41, v12
	ds_bpermute_b32 v39, v41, v13
	ds_bpermute_b32 v40, v41, v14
	ds_bpermute_b32 v41, v41, v15
	s_wait_dscnt 0xe
	v_add_f64_e32 v[16:17], v[16:17], v[26:27]
	v_xor_b32_e32 v26, 16, v44
	s_wait_dscnt 0xc
	v_add_f64_e32 v[10:11], v[10:11], v[28:29]
	s_wait_dscnt 0xa
	v_add_f64_e32 v[22:23], v[22:23], v[30:31]
	s_wait_dscnt 0x8
	v_add_f64_e32 v[24:25], v[24:25], v[32:33]
	v_cmp_gt_i32_e32 vcc_lo, 32, v26
	s_wait_dscnt 0x6
	v_add_f64_e32 v[18:19], v[18:19], v[34:35]
	s_wait_dscnt 0x4
	v_add_f64_e32 v[20:21], v[20:21], v[36:37]
	s_wait_dscnt 0x2
	v_add_f64_e32 v[12:13], v[12:13], v[38:39]
	s_wait_alu 0xfffd
	v_cndmask_b32_e32 v26, v44, v26, vcc_lo
	s_wait_dscnt 0x0
	v_add_f64_e32 v[14:15], v[14:15], v[40:41]
	s_delay_alu instid0(VALU_DEP_2)
	v_lshlrev_b32_e32 v41, 2, v26
	ds_bpermute_b32 v26, v41, v16
	ds_bpermute_b32 v27, v41, v17
	ds_bpermute_b32 v28, v41, v10
	ds_bpermute_b32 v29, v41, v11
	ds_bpermute_b32 v30, v41, v22
	ds_bpermute_b32 v31, v41, v23
	ds_bpermute_b32 v32, v41, v24
	ds_bpermute_b32 v33, v41, v25
	ds_bpermute_b32 v34, v41, v18
	ds_bpermute_b32 v35, v41, v19
	ds_bpermute_b32 v36, v41, v20
	ds_bpermute_b32 v37, v41, v21
	ds_bpermute_b32 v38, v41, v12
	ds_bpermute_b32 v39, v41, v13
	ds_bpermute_b32 v40, v41, v14
	ds_bpermute_b32 v41, v41, v15
	s_wait_dscnt 0xe
	v_add_f64_e32 v[16:17], v[16:17], v[26:27]
	v_xor_b32_e32 v26, 8, v44
	s_wait_dscnt 0xc
	v_add_f64_e32 v[10:11], v[10:11], v[28:29]
	s_wait_dscnt 0xa
	v_add_f64_e32 v[22:23], v[22:23], v[30:31]
	s_wait_dscnt 0x8
	v_add_f64_e32 v[24:25], v[24:25], v[32:33]
	v_cmp_gt_i32_e32 vcc_lo, 32, v26
	s_wait_dscnt 0x6
	v_add_f64_e32 v[18:19], v[18:19], v[34:35]
	s_wait_dscnt 0x4
	v_add_f64_e32 v[20:21], v[20:21], v[36:37]
	s_wait_dscnt 0x2
	v_add_f64_e32 v[12:13], v[12:13], v[38:39]
	s_wait_alu 0xfffd
	v_cndmask_b32_e32 v26, v44, v26, vcc_lo
	s_wait_dscnt 0x0
	v_add_f64_e32 v[14:15], v[14:15], v[40:41]
	s_delay_alu instid0(VALU_DEP_2)
	;; [unrolled: 38-line block ×3, first 2 shown]
	v_lshlrev_b32_e32 v41, 2, v26
	ds_bpermute_b32 v26, v41, v16
	ds_bpermute_b32 v27, v41, v17
	;; [unrolled: 1-line block ×16, first 2 shown]
	s_wait_dscnt 0xe
	v_add_f64_e32 v[16:17], v[16:17], v[26:27]
	s_wait_dscnt 0xc
	v_add_f64_e32 v[26:27], v[10:11], v[28:29]
	v_xor_b32_e32 v10, 2, v44
	s_wait_dscnt 0xa
	v_add_f64_e32 v[22:23], v[22:23], v[30:31]
	s_wait_dscnt 0x8
	v_add_f64_e32 v[28:29], v[24:25], v[32:33]
	;; [unrolled: 2-line block ×3, first 2 shown]
	v_cmp_gt_i32_e32 vcc_lo, 32, v10
	s_wait_dscnt 0x4
	v_add_f64_e32 v[20:21], v[20:21], v[36:37]
	s_wait_dscnt 0x2
	v_add_f64_e32 v[30:31], v[12:13], v[38:39]
	;; [unrolled: 2-line block ×3, first 2 shown]
	s_wait_alu 0xfffd
	v_cndmask_b32_e32 v10, v44, v10, vcc_lo
	s_delay_alu instid0(VALU_DEP_1)
	v_lshlrev_b32_e32 v24, 2, v10
	ds_bpermute_b32 v10, v24, v16
	ds_bpermute_b32 v11, v24, v17
	;; [unrolled: 1-line block ×16, first 2 shown]
	s_wait_dscnt 0xe
	v_add_f64_e32 v[10:11], v[16:17], v[10:11]
	s_wait_dscnt 0xc
	v_add_f64_e32 v[24:25], v[26:27], v[12:13]
	v_xor_b32_e32 v26, 1, v44
	s_wait_dscnt 0xa
	v_add_f64_e32 v[12:13], v[22:23], v[14:15]
	s_wait_dscnt 0x8
	v_add_f64_e32 v[22:23], v[28:29], v[34:35]
	;; [unrolled: 2-line block ×3, first 2 shown]
	v_cmp_gt_i32_e32 vcc_lo, 32, v26
	s_wait_dscnt 0x4
	v_add_f64_e32 v[20:21], v[20:21], v[38:39]
	s_wait_dscnt 0x2
	v_add_f64_e32 v[16:17], v[30:31], v[40:41]
	;; [unrolled: 2-line block ×3, first 2 shown]
	s_wait_alu 0xfffd
	v_cndmask_b32_e32 v26, v44, v26, vcc_lo
	v_cmp_eq_u32_e32 vcc_lo, 63, v0
	s_delay_alu instid0(VALU_DEP_2)
	v_lshlrev_b32_e32 v29, 2, v26
	ds_bpermute_b32 v40, v29, v10
	ds_bpermute_b32 v41, v29, v11
	;; [unrolled: 1-line block ×16, first 2 shown]
	s_and_b32 exec_lo, exec_lo, vcc_lo
	s_cbranch_execz .LBB115_21
; %bb.17:
	v_cmp_eq_f64_e32 vcc_lo, 0, v[5:6]
	v_cmp_eq_f64_e64 s2, 0, v[7:8]
	s_wait_dscnt 0xe
	v_add_f64_e32 v[10:11], v[10:11], v[40:41]
	s_wait_dscnt 0xc
	v_add_f64_e32 v[24:25], v[24:25], v[38:39]
	;; [unrolled: 2-line block ×8, first 2 shown]
	s_load_b64 s[0:1], s[0:1], 0x48
	s_and_b32 s2, vcc_lo, s2
	s_wait_alu 0xfffe
	s_and_saveexec_b32 s3, s2
	s_wait_alu 0xfffe
	s_xor_b32 s2, exec_lo, s3
	s_cbranch_execz .LBB115_19
; %bb.18:
	v_mul_f64_e64 v[5:6], v[24:25], -v[3:4]
	v_mul_f64_e32 v[7:8], v[1:2], v[24:25]
	v_mul_f64_e64 v[24:25], v[22:23], -v[3:4]
	v_mul_f64_e32 v[22:23], v[1:2], v[22:23]
	;; [unrolled: 2-line block ×4, first 2 shown]
	v_fma_f64 v[5:6], v[1:2], v[10:11], v[5:6]
	v_fma_f64 v[7:8], v[3:4], v[10:11], v[7:8]
	;; [unrolled: 1-line block ×8, first 2 shown]
	v_lshlrev_b32_e32 v14, 2, v9
                                        ; implicit-def: $vgpr9
                                        ; implicit-def: $vgpr24_vgpr25
                                        ; implicit-def: $vgpr22_vgpr23
                                        ; implicit-def: $vgpr16_vgpr17
	s_delay_alu instid0(VALU_DEP_1) | instskip(NEXT) | instid1(VALU_DEP_1)
	v_ashrrev_i32_e32 v15, 31, v14
	v_lshlrev_b64_e32 v[14:15], 4, v[14:15]
	s_wait_kmcnt 0x0
	s_delay_alu instid0(VALU_DEP_1) | instskip(SKIP_1) | instid1(VALU_DEP_2)
	v_add_co_u32 v14, vcc_lo, s0, v14
	s_wait_alu 0xfffd
	v_add_co_ci_u32_e64 v15, null, s1, v15, vcc_lo
	s_clause 0x3
	global_store_b128 v[14:15], v[5:8], off
	global_store_b128 v[14:15], v[10:13], off offset:16
	global_store_b128 v[14:15], v[18:21], off offset:32
	;; [unrolled: 1-line block ×3, first 2 shown]
                                        ; implicit-def: $vgpr10_vgpr11
                                        ; implicit-def: $vgpr12_vgpr13
                                        ; implicit-def: $vgpr14_vgpr15
                                        ; implicit-def: $vgpr20_vgpr21
                                        ; implicit-def: $vgpr18_vgpr19
                                        ; implicit-def: $vgpr7_vgpr8
                                        ; implicit-def: $vgpr3_vgpr4
.LBB115_19:
	s_wait_alu 0xfffe
	s_and_not1_saveexec_b32 s2, s2
	s_cbranch_execz .LBB115_21
; %bb.20:
	v_lshlrev_b32_e32 v26, 2, v9
	v_mul_f64_e64 v[44:45], v[24:25], -v[3:4]
	v_mul_f64_e32 v[24:25], v[1:2], v[24:25]
	v_mul_f64_e64 v[46:47], v[22:23], -v[3:4]
	v_mul_f64_e32 v[22:23], v[1:2], v[22:23]
	v_ashrrev_i32_e32 v27, 31, v26
	v_mul_f64_e64 v[48:49], v[20:21], -v[3:4]
	v_mul_f64_e32 v[20:21], v[1:2], v[20:21]
	v_mul_f64_e64 v[50:51], v[18:19], -v[3:4]
	v_mul_f64_e32 v[18:19], v[1:2], v[18:19]
	v_lshlrev_b64_e32 v[26:27], 4, v[26:27]
	s_wait_kmcnt 0x0
	s_delay_alu instid0(VALU_DEP_1) | instskip(SKIP_1) | instid1(VALU_DEP_2)
	v_add_co_u32 v42, vcc_lo, s0, v26
	s_wait_alu 0xfffd
	v_add_co_ci_u32_e64 v43, null, s1, v27, vcc_lo
	s_clause 0x3
	global_load_b128 v[26:29], v[42:43], off
	global_load_b128 v[30:33], v[42:43], off offset:16
	global_load_b128 v[34:37], v[42:43], off offset:32
	;; [unrolled: 1-line block ×3, first 2 shown]
	v_fma_f64 v[44:45], v[1:2], v[10:11], v[44:45]
	v_fma_f64 v[9:10], v[3:4], v[10:11], v[24:25]
	;; [unrolled: 1-line block ×8, first 2 shown]
	s_wait_loadcnt 0x3
	v_fma_f64 v[15:16], v[5:6], v[26:27], v[44:45]
	v_fma_f64 v[9:10], v[7:8], v[26:27], v[9:10]
	s_wait_loadcnt 0x2
	v_fma_f64 v[17:18], v[5:6], v[30:31], v[24:25]
	v_fma_f64 v[11:12], v[7:8], v[30:31], v[11:12]
	;; [unrolled: 3-line block ×4, first 2 shown]
	v_fma_f64 v[0:1], -v[7:8], v[28:29], v[15:16]
	v_fma_f64 v[2:3], v[5:6], v[28:29], v[9:10]
	v_fma_f64 v[9:10], -v[7:8], v[32:33], v[17:18]
	v_fma_f64 v[11:12], v[5:6], v[32:33], v[11:12]
	;; [unrolled: 2-line block ×4, first 2 shown]
	s_clause 0x3
	global_store_b128 v[42:43], v[0:3], off
	global_store_b128 v[42:43], v[9:12], off offset:16
	global_store_b128 v[42:43], v[13:16], off offset:32
	global_store_b128 v[42:43], v[17:20], off offset:48
.LBB115_21:
	s_endpgm
	.section	.rodata,"a",@progbits
	.p2align	6, 0x0
	.amdhsa_kernel _ZN9rocsparseL19gebsrmvn_4xn_kernelILj128ELj1ELj64E21rocsparse_complex_numIdEEEvi20rocsparse_direction_NS_24const_host_device_scalarIT2_EEPKiS8_PKS5_SA_S6_PS5_21rocsparse_index_base_b
		.amdhsa_group_segment_fixed_size 0
		.amdhsa_private_segment_fixed_size 0
		.amdhsa_kernarg_size 88
		.amdhsa_user_sgpr_count 2
		.amdhsa_user_sgpr_dispatch_ptr 0
		.amdhsa_user_sgpr_queue_ptr 0
		.amdhsa_user_sgpr_kernarg_segment_ptr 1
		.amdhsa_user_sgpr_dispatch_id 0
		.amdhsa_user_sgpr_private_segment_size 0
		.amdhsa_wavefront_size32 1
		.amdhsa_uses_dynamic_stack 0
		.amdhsa_enable_private_segment 0
		.amdhsa_system_sgpr_workgroup_id_x 1
		.amdhsa_system_sgpr_workgroup_id_y 0
		.amdhsa_system_sgpr_workgroup_id_z 0
		.amdhsa_system_sgpr_workgroup_info 0
		.amdhsa_system_vgpr_workitem_id 0
		.amdhsa_next_free_vgpr 52
		.amdhsa_next_free_sgpr 14
		.amdhsa_reserve_vcc 1
		.amdhsa_float_round_mode_32 0
		.amdhsa_float_round_mode_16_64 0
		.amdhsa_float_denorm_mode_32 3
		.amdhsa_float_denorm_mode_16_64 3
		.amdhsa_fp16_overflow 0
		.amdhsa_workgroup_processor_mode 1
		.amdhsa_memory_ordered 1
		.amdhsa_forward_progress 1
		.amdhsa_inst_pref_size 27
		.amdhsa_round_robin_scheduling 0
		.amdhsa_exception_fp_ieee_invalid_op 0
		.amdhsa_exception_fp_denorm_src 0
		.amdhsa_exception_fp_ieee_div_zero 0
		.amdhsa_exception_fp_ieee_overflow 0
		.amdhsa_exception_fp_ieee_underflow 0
		.amdhsa_exception_fp_ieee_inexact 0
		.amdhsa_exception_int_div_zero 0
	.end_amdhsa_kernel
	.section	.text._ZN9rocsparseL19gebsrmvn_4xn_kernelILj128ELj1ELj64E21rocsparse_complex_numIdEEEvi20rocsparse_direction_NS_24const_host_device_scalarIT2_EEPKiS8_PKS5_SA_S6_PS5_21rocsparse_index_base_b,"axG",@progbits,_ZN9rocsparseL19gebsrmvn_4xn_kernelILj128ELj1ELj64E21rocsparse_complex_numIdEEEvi20rocsparse_direction_NS_24const_host_device_scalarIT2_EEPKiS8_PKS5_SA_S6_PS5_21rocsparse_index_base_b,comdat
.Lfunc_end115:
	.size	_ZN9rocsparseL19gebsrmvn_4xn_kernelILj128ELj1ELj64E21rocsparse_complex_numIdEEEvi20rocsparse_direction_NS_24const_host_device_scalarIT2_EEPKiS8_PKS5_SA_S6_PS5_21rocsparse_index_base_b, .Lfunc_end115-_ZN9rocsparseL19gebsrmvn_4xn_kernelILj128ELj1ELj64E21rocsparse_complex_numIdEEEvi20rocsparse_direction_NS_24const_host_device_scalarIT2_EEPKiS8_PKS5_SA_S6_PS5_21rocsparse_index_base_b
                                        ; -- End function
	.set _ZN9rocsparseL19gebsrmvn_4xn_kernelILj128ELj1ELj64E21rocsparse_complex_numIdEEEvi20rocsparse_direction_NS_24const_host_device_scalarIT2_EEPKiS8_PKS5_SA_S6_PS5_21rocsparse_index_base_b.num_vgpr, 52
	.set _ZN9rocsparseL19gebsrmvn_4xn_kernelILj128ELj1ELj64E21rocsparse_complex_numIdEEEvi20rocsparse_direction_NS_24const_host_device_scalarIT2_EEPKiS8_PKS5_SA_S6_PS5_21rocsparse_index_base_b.num_agpr, 0
	.set _ZN9rocsparseL19gebsrmvn_4xn_kernelILj128ELj1ELj64E21rocsparse_complex_numIdEEEvi20rocsparse_direction_NS_24const_host_device_scalarIT2_EEPKiS8_PKS5_SA_S6_PS5_21rocsparse_index_base_b.numbered_sgpr, 14
	.set _ZN9rocsparseL19gebsrmvn_4xn_kernelILj128ELj1ELj64E21rocsparse_complex_numIdEEEvi20rocsparse_direction_NS_24const_host_device_scalarIT2_EEPKiS8_PKS5_SA_S6_PS5_21rocsparse_index_base_b.num_named_barrier, 0
	.set _ZN9rocsparseL19gebsrmvn_4xn_kernelILj128ELj1ELj64E21rocsparse_complex_numIdEEEvi20rocsparse_direction_NS_24const_host_device_scalarIT2_EEPKiS8_PKS5_SA_S6_PS5_21rocsparse_index_base_b.private_seg_size, 0
	.set _ZN9rocsparseL19gebsrmvn_4xn_kernelILj128ELj1ELj64E21rocsparse_complex_numIdEEEvi20rocsparse_direction_NS_24const_host_device_scalarIT2_EEPKiS8_PKS5_SA_S6_PS5_21rocsparse_index_base_b.uses_vcc, 1
	.set _ZN9rocsparseL19gebsrmvn_4xn_kernelILj128ELj1ELj64E21rocsparse_complex_numIdEEEvi20rocsparse_direction_NS_24const_host_device_scalarIT2_EEPKiS8_PKS5_SA_S6_PS5_21rocsparse_index_base_b.uses_flat_scratch, 0
	.set _ZN9rocsparseL19gebsrmvn_4xn_kernelILj128ELj1ELj64E21rocsparse_complex_numIdEEEvi20rocsparse_direction_NS_24const_host_device_scalarIT2_EEPKiS8_PKS5_SA_S6_PS5_21rocsparse_index_base_b.has_dyn_sized_stack, 0
	.set _ZN9rocsparseL19gebsrmvn_4xn_kernelILj128ELj1ELj64E21rocsparse_complex_numIdEEEvi20rocsparse_direction_NS_24const_host_device_scalarIT2_EEPKiS8_PKS5_SA_S6_PS5_21rocsparse_index_base_b.has_recursion, 0
	.set _ZN9rocsparseL19gebsrmvn_4xn_kernelILj128ELj1ELj64E21rocsparse_complex_numIdEEEvi20rocsparse_direction_NS_24const_host_device_scalarIT2_EEPKiS8_PKS5_SA_S6_PS5_21rocsparse_index_base_b.has_indirect_call, 0
	.section	.AMDGPU.csdata,"",@progbits
; Kernel info:
; codeLenInByte = 3352
; TotalNumSgprs: 16
; NumVgprs: 52
; ScratchSize: 0
; MemoryBound: 0
; FloatMode: 240
; IeeeMode: 1
; LDSByteSize: 0 bytes/workgroup (compile time only)
; SGPRBlocks: 0
; VGPRBlocks: 6
; NumSGPRsForWavesPerEU: 16
; NumVGPRsForWavesPerEU: 52
; Occupancy: 16
; WaveLimiterHint : 1
; COMPUTE_PGM_RSRC2:SCRATCH_EN: 0
; COMPUTE_PGM_RSRC2:USER_SGPR: 2
; COMPUTE_PGM_RSRC2:TRAP_HANDLER: 0
; COMPUTE_PGM_RSRC2:TGID_X_EN: 1
; COMPUTE_PGM_RSRC2:TGID_Y_EN: 0
; COMPUTE_PGM_RSRC2:TGID_Z_EN: 0
; COMPUTE_PGM_RSRC2:TIDIG_COMP_CNT: 0
	.section	.text._ZN9rocsparseL19gebsrmvn_4xn_kernelILj128ELj2ELj4E21rocsparse_complex_numIdEEEvi20rocsparse_direction_NS_24const_host_device_scalarIT2_EEPKiS8_PKS5_SA_S6_PS5_21rocsparse_index_base_b,"axG",@progbits,_ZN9rocsparseL19gebsrmvn_4xn_kernelILj128ELj2ELj4E21rocsparse_complex_numIdEEEvi20rocsparse_direction_NS_24const_host_device_scalarIT2_EEPKiS8_PKS5_SA_S6_PS5_21rocsparse_index_base_b,comdat
	.globl	_ZN9rocsparseL19gebsrmvn_4xn_kernelILj128ELj2ELj4E21rocsparse_complex_numIdEEEvi20rocsparse_direction_NS_24const_host_device_scalarIT2_EEPKiS8_PKS5_SA_S6_PS5_21rocsparse_index_base_b ; -- Begin function _ZN9rocsparseL19gebsrmvn_4xn_kernelILj128ELj2ELj4E21rocsparse_complex_numIdEEEvi20rocsparse_direction_NS_24const_host_device_scalarIT2_EEPKiS8_PKS5_SA_S6_PS5_21rocsparse_index_base_b
	.p2align	8
	.type	_ZN9rocsparseL19gebsrmvn_4xn_kernelILj128ELj2ELj4E21rocsparse_complex_numIdEEEvi20rocsparse_direction_NS_24const_host_device_scalarIT2_EEPKiS8_PKS5_SA_S6_PS5_21rocsparse_index_base_b,@function
_ZN9rocsparseL19gebsrmvn_4xn_kernelILj128ELj2ELj4E21rocsparse_complex_numIdEEEvi20rocsparse_direction_NS_24const_host_device_scalarIT2_EEPKiS8_PKS5_SA_S6_PS5_21rocsparse_index_base_b: ; @_ZN9rocsparseL19gebsrmvn_4xn_kernelILj128ELj2ELj4E21rocsparse_complex_numIdEEEvi20rocsparse_direction_NS_24const_host_device_scalarIT2_EEPKiS8_PKS5_SA_S6_PS5_21rocsparse_index_base_b
; %bb.0:
	s_clause 0x1
	s_load_b64 s[12:13], s[0:1], 0x50
	s_load_b64 s[2:3], s[0:1], 0x8
	s_add_nc_u64 s[4:5], s[0:1], 8
	s_load_b64 s[6:7], s[0:1], 0x38
	s_wait_kmcnt 0x0
	s_bitcmp1_b32 s13, 0
	s_cselect_b32 s2, s4, s2
	s_cselect_b32 s3, s5, s3
	s_delay_alu instid0(SALU_CYCLE_1)
	v_dual_mov_b32 v1, s2 :: v_dual_mov_b32 v2, s3
	s_add_nc_u64 s[2:3], s[0:1], 56
	s_wait_alu 0xfffe
	s_cselect_b32 s2, s2, s6
	s_cselect_b32 s3, s3, s7
	flat_load_b128 v[1:4], v[1:2]
	s_wait_alu 0xfffe
	v_dual_mov_b32 v5, s2 :: v_dual_mov_b32 v6, s3
	flat_load_b128 v[5:8], v[5:6]
	s_wait_loadcnt_dscnt 0x101
	v_cmp_eq_f64_e32 vcc_lo, 0, v[1:2]
	v_cmp_eq_f64_e64 s2, 0, v[3:4]
	s_and_b32 s4, vcc_lo, s2
	s_mov_b32 s2, -1
	s_and_saveexec_b32 s3, s4
	s_cbranch_execz .LBB116_2
; %bb.1:
	s_wait_loadcnt_dscnt 0x0
	v_cmp_neq_f64_e32 vcc_lo, 1.0, v[5:6]
	v_cmp_neq_f64_e64 s2, 0, v[7:8]
	s_wait_alu 0xfffe
	s_or_b32 s2, vcc_lo, s2
	s_wait_alu 0xfffe
	s_or_not1_b32 s2, s2, exec_lo
.LBB116_2:
	s_wait_alu 0xfffe
	s_or_b32 exec_lo, exec_lo, s3
	s_and_saveexec_b32 s3, s2
	s_cbranch_execz .LBB116_21
; %bb.3:
	s_load_b64 s[2:3], s[0:1], 0x0
	v_lshrrev_b32_e32 v9, 2, v0
	s_delay_alu instid0(VALU_DEP_1) | instskip(SKIP_1) | instid1(VALU_DEP_1)
	v_lshl_or_b32 v9, ttmp9, 5, v9
	s_wait_kmcnt 0x0
	v_cmp_gt_i32_e32 vcc_lo, s2, v9
	s_and_b32 exec_lo, exec_lo, vcc_lo
	s_cbranch_execz .LBB116_21
; %bb.4:
	s_load_b256 s[4:11], s[0:1], 0x18
	v_ashrrev_i32_e32 v10, 31, v9
	v_and_b32_e32 v0, 3, v0
	s_cmp_lg_u32 s3, 0
	s_delay_alu instid0(VALU_DEP_2) | instskip(SKIP_1) | instid1(VALU_DEP_1)
	v_lshlrev_b64_e32 v[10:11], 2, v[9:10]
	s_wait_kmcnt 0x0
	v_add_co_u32 v10, vcc_lo, s4, v10
	s_delay_alu instid0(VALU_DEP_1) | instskip(SKIP_4) | instid1(VALU_DEP_2)
	v_add_co_ci_u32_e64 v11, null, s5, v11, vcc_lo
	global_load_b64 v[10:11], v[10:11], off
	s_wait_loadcnt 0x0
	v_subrev_nc_u32_e32 v10, s12, v10
	v_subrev_nc_u32_e32 v32, s12, v11
	v_add_nc_u32_e32 v10, v10, v0
	s_delay_alu instid0(VALU_DEP_1)
	v_cmp_lt_i32_e64 s2, v10, v32
	s_cbranch_scc0 .LBB116_10
; %bb.5:
	v_mov_b32_e32 v12, 0
	v_mov_b32_e32 v14, 0
	;; [unrolled: 1-line block ×3, first 2 shown]
	v_dual_mov_b32 v24, 0 :: v_dual_mov_b32 v13, 0
	v_dual_mov_b32 v22, 0 :: v_dual_mov_b32 v15, 0
	;; [unrolled: 1-line block ×5, first 2 shown]
	v_mov_b32_e32 v17, 0
	v_mov_b32_e32 v21, 0
	;; [unrolled: 1-line block ×3, first 2 shown]
	s_and_saveexec_b32 s3, s2
	s_cbranch_execz .LBB116_9
; %bb.6:
	v_mov_b32_e32 v22, 0
	v_mov_b32_e32 v16, 0
	v_mov_b32_e32 v20, 0
	v_dual_mov_b32 v12, 0 :: v_dual_mov_b32 v29, 0
	v_dual_mov_b32 v23, 0 :: v_dual_mov_b32 v14, 0
	;; [unrolled: 1-line block ×4, first 2 shown]
	v_mov_b32_e32 v26, 0
	v_dual_mov_b32 v13, 0 :: v_dual_lshlrev_b32 v28, 3, v10
	v_mov_b32_e32 v15, 0
	v_mov_b32_e32 v19, 0
	;; [unrolled: 1-line block ×3, first 2 shown]
	v_dual_mov_b32 v27, 0 :: v_dual_mov_b32 v30, v10
	s_mov_b32 s4, 0
.LBB116_7:                              ; =>This Inner Loop Header: Depth=1
	s_delay_alu instid0(VALU_DEP_1) | instskip(NEXT) | instid1(VALU_DEP_1)
	v_ashrrev_i32_e32 v31, 31, v30
	v_lshlrev_b64_e32 v[33:34], 2, v[30:31]
	v_add_nc_u32_e32 v30, 4, v30
	s_delay_alu instid0(VALU_DEP_2) | instskip(SKIP_1) | instid1(VALU_DEP_3)
	v_add_co_u32 v33, vcc_lo, s6, v33
	s_wait_alu 0xfffd
	v_add_co_ci_u32_e64 v34, null, s7, v34, vcc_lo
	global_load_b32 v11, v[33:34], off
	v_lshlrev_b64_e32 v[33:34], 4, v[28:29]
	v_add_nc_u32_e32 v28, 32, v28
	s_delay_alu instid0(VALU_DEP_2) | instskip(SKIP_1) | instid1(VALU_DEP_3)
	v_add_co_u32 v69, vcc_lo, s8, v33
	s_wait_alu 0xfffd
	v_add_co_ci_u32_e64 v70, null, s9, v34, vcc_lo
	s_clause 0x3
	global_load_b128 v[33:36], v[69:70], off offset:48
	global_load_b128 v[37:40], v[69:70], off offset:32
	;; [unrolled: 1-line block ×3, first 2 shown]
	global_load_b128 v[45:48], v[69:70], off
	s_wait_loadcnt 0x4
	v_subrev_nc_u32_e32 v11, s12, v11
	s_delay_alu instid0(VALU_DEP_1) | instskip(NEXT) | instid1(VALU_DEP_1)
	v_dual_mov_b32 v50, v29 :: v_dual_lshlrev_b32 v49, 1, v11
	v_lshlrev_b64_e32 v[49:50], 4, v[49:50]
	s_delay_alu instid0(VALU_DEP_1) | instskip(SKIP_1) | instid1(VALU_DEP_2)
	v_add_co_u32 v53, vcc_lo, s10, v49
	s_wait_alu 0xfffd
	v_add_co_ci_u32_e64 v54, null, s11, v50, vcc_lo
	v_cmp_ge_i32_e32 vcc_lo, v30, v32
	s_clause 0x1
	global_load_b128 v[49:52], v[53:54], off
	global_load_b128 v[53:56], v[53:54], off offset:16
	s_clause 0x3
	global_load_b128 v[57:60], v[69:70], off offset:64
	global_load_b128 v[61:64], v[69:70], off offset:80
	;; [unrolled: 1-line block ×4, first 2 shown]
	s_wait_alu 0xfffe
	s_or_b32 s4, vcc_lo, s4
	s_wait_loadcnt 0x5
	v_fma_f64 v[22:23], v[45:46], v[49:50], v[22:23]
	v_fma_f64 v[11:12], v[47:48], v[49:50], v[12:13]
	;; [unrolled: 1-line block ×8, first 2 shown]
	v_fma_f64 v[22:23], -v[47:48], v[51:52], v[22:23]
	v_fma_f64 v[11:12], v[45:46], v[51:52], v[11:12]
	v_fma_f64 v[24:25], -v[43:44], v[51:52], v[24:25]
	v_fma_f64 v[26:27], v[41:42], v[51:52], v[26:27]
	;; [unrolled: 2-line block ×4, first 2 shown]
	s_wait_loadcnt 0x3
	v_fma_f64 v[21:22], v[57:58], v[53:54], v[22:23]
	v_fma_f64 v[11:12], v[59:60], v[53:54], v[11:12]
	s_wait_loadcnt 0x2
	v_fma_f64 v[24:25], v[61:62], v[53:54], v[24:25]
	v_fma_f64 v[26:27], v[63:64], v[53:54], v[26:27]
	;; [unrolled: 3-line block ×4, first 2 shown]
	v_fma_f64 v[22:23], -v[59:60], v[55:56], v[21:22]
	v_fma_f64 v[12:13], v[57:58], v[55:56], v[11:12]
	v_fma_f64 v[24:25], -v[63:64], v[55:56], v[24:25]
	v_fma_f64 v[26:27], v[61:62], v[55:56], v[26:27]
	;; [unrolled: 2-line block ×4, first 2 shown]
	s_wait_alu 0xfffe
	s_and_not1_b32 exec_lo, exec_lo, s4
	s_cbranch_execnz .LBB116_7
; %bb.8:
	s_or_b32 exec_lo, exec_lo, s4
.LBB116_9:
	s_wait_alu 0xfffe
	s_or_b32 exec_lo, exec_lo, s3
	s_cbranch_execz .LBB116_11
	s_branch .LBB116_16
.LBB116_10:
                                        ; implicit-def: $vgpr12_vgpr13
                                        ; implicit-def: $vgpr22_vgpr23
                                        ; implicit-def: $vgpr14_vgpr15
                                        ; implicit-def: $vgpr16_vgpr17
                                        ; implicit-def: $vgpr18_vgpr19
                                        ; implicit-def: $vgpr20_vgpr21
                                        ; implicit-def: $vgpr24_vgpr25
                                        ; implicit-def: $vgpr26_vgpr27
.LBB116_11:
	v_mov_b32_e32 v12, 0
	v_mov_b32_e32 v14, 0
	;; [unrolled: 1-line block ×3, first 2 shown]
	v_dual_mov_b32 v24, 0 :: v_dual_mov_b32 v13, 0
	v_dual_mov_b32 v22, 0 :: v_dual_mov_b32 v15, 0
	;; [unrolled: 1-line block ×5, first 2 shown]
	v_mov_b32_e32 v17, 0
	v_mov_b32_e32 v21, 0
	;; [unrolled: 1-line block ×3, first 2 shown]
	s_and_saveexec_b32 s3, s2
	s_cbranch_execz .LBB116_15
; %bb.12:
	v_mov_b32_e32 v12, 0
	v_mov_b32_e32 v22, 0
	;; [unrolled: 1-line block ×7, first 2 shown]
	v_dual_mov_b32 v26, 0 :: v_dual_mov_b32 v29, 0
	v_dual_mov_b32 v13, 0 :: v_dual_lshlrev_b32 v28, 3, v10
	v_mov_b32_e32 v23, 0
	v_mov_b32_e32 v15, 0
	;; [unrolled: 1-line block ×7, first 2 shown]
	s_mov_b32 s2, 0
.LBB116_13:                             ; =>This Inner Loop Header: Depth=1
	v_ashrrev_i32_e32 v11, 31, v10
	s_delay_alu instid0(VALU_DEP_1) | instskip(SKIP_1) | instid1(VALU_DEP_2)
	v_lshlrev_b64_e32 v[30:31], 2, v[10:11]
	v_add_nc_u32_e32 v10, 4, v10
	v_add_co_u32 v30, vcc_lo, s6, v30
	s_wait_alu 0xfffd
	s_delay_alu instid0(VALU_DEP_3) | instskip(SKIP_3) | instid1(VALU_DEP_2)
	v_add_co_ci_u32_e64 v31, null, s7, v31, vcc_lo
	global_load_b32 v11, v[30:31], off
	v_lshlrev_b64_e32 v[30:31], 4, v[28:29]
	v_add_nc_u32_e32 v28, 32, v28
	v_add_co_u32 v30, vcc_lo, s8, v30
	s_wait_alu 0xfffd
	s_delay_alu instid0(VALU_DEP_3)
	v_add_co_ci_u32_e64 v31, null, s9, v31, vcc_lo
	s_clause 0x7
	global_load_b128 v[33:36], v[30:31], off offset:48
	global_load_b128 v[37:40], v[30:31], off offset:32
	;; [unrolled: 1-line block ×3, first 2 shown]
	global_load_b128 v[45:48], v[30:31], off
	global_load_b128 v[49:52], v[30:31], off offset:112
	global_load_b128 v[53:56], v[30:31], off offset:96
	;; [unrolled: 1-line block ×4, first 2 shown]
	s_wait_loadcnt 0x8
	v_subrev_nc_u32_e32 v11, s12, v11
	s_delay_alu instid0(VALU_DEP_1) | instskip(NEXT) | instid1(VALU_DEP_1)
	v_dual_mov_b32 v66, v29 :: v_dual_lshlrev_b32 v65, 1, v11
	v_lshlrev_b64_e32 v[30:31], 4, v[65:66]
	s_delay_alu instid0(VALU_DEP_1) | instskip(SKIP_1) | instid1(VALU_DEP_2)
	v_add_co_u32 v30, vcc_lo, s10, v30
	s_wait_alu 0xfffd
	v_add_co_ci_u32_e64 v31, null, s11, v31, vcc_lo
	v_cmp_ge_i32_e32 vcc_lo, v10, v32
	s_clause 0x1
	global_load_b128 v[65:68], v[30:31], off
	global_load_b128 v[69:72], v[30:31], off offset:16
	s_wait_alu 0xfffe
	s_or_b32 s2, vcc_lo, s2
	s_wait_loadcnt 0x1
	v_fma_f64 v[22:23], v[45:46], v[65:66], v[22:23]
	v_fma_f64 v[11:12], v[47:48], v[65:66], v[12:13]
	;; [unrolled: 1-line block ×8, first 2 shown]
	v_fma_f64 v[22:23], -v[47:48], v[67:68], v[22:23]
	v_fma_f64 v[11:12], v[45:46], v[67:68], v[11:12]
	v_fma_f64 v[24:25], -v[39:40], v[67:68], v[24:25]
	v_fma_f64 v[26:27], v[37:38], v[67:68], v[26:27]
	v_fma_f64 v[17:18], -v[63:64], v[67:68], v[18:19]
	v_fma_f64 v[19:20], v[61:62], v[67:68], v[20:21]
	v_fma_f64 v[13:14], -v[55:56], v[67:68], v[13:14]
	v_fma_f64 v[15:16], v[53:54], v[67:68], v[15:16]
	s_wait_loadcnt 0x0
	v_fma_f64 v[21:22], v[41:42], v[69:70], v[22:23]
	v_fma_f64 v[11:12], v[43:44], v[69:70], v[11:12]
	;; [unrolled: 1-line block ×8, first 2 shown]
	v_fma_f64 v[22:23], -v[43:44], v[71:72], v[21:22]
	v_fma_f64 v[12:13], v[41:42], v[71:72], v[11:12]
	v_fma_f64 v[24:25], -v[35:36], v[71:72], v[24:25]
	v_fma_f64 v[26:27], v[33:34], v[71:72], v[26:27]
	;; [unrolled: 2-line block ×4, first 2 shown]
	s_wait_alu 0xfffe
	s_and_not1_b32 exec_lo, exec_lo, s2
	s_cbranch_execnz .LBB116_13
; %bb.14:
	s_or_b32 exec_lo, exec_lo, s2
.LBB116_15:
	s_wait_alu 0xfffe
	s_or_b32 exec_lo, exec_lo, s3
.LBB116_16:
	v_mbcnt_lo_u32_b32 v44, -1, 0
	s_delay_alu instid0(VALU_DEP_1) | instskip(NEXT) | instid1(VALU_DEP_1)
	v_xor_b32_e32 v10, 2, v44
	v_cmp_gt_i32_e32 vcc_lo, 32, v10
	s_wait_alu 0xfffd
	v_cndmask_b32_e32 v10, v44, v10, vcc_lo
	s_delay_alu instid0(VALU_DEP_1)
	v_lshlrev_b32_e32 v30, 2, v10
	ds_bpermute_b32 v10, v30, v22
	ds_bpermute_b32 v11, v30, v23
	;; [unrolled: 1-line block ×16, first 2 shown]
	s_wait_dscnt 0xe
	v_add_f64_e32 v[10:11], v[22:23], v[10:11]
	s_wait_dscnt 0xc
	v_add_f64_e32 v[30:31], v[12:13], v[28:29]
	;; [unrolled: 2-line block ×7, first 2 shown]
	v_xor_b32_e32 v14, 1, v44
	s_wait_dscnt 0x0
	v_add_f64_e32 v[26:27], v[16:17], v[42:43]
	s_delay_alu instid0(VALU_DEP_2) | instskip(SKIP_3) | instid1(VALU_DEP_2)
	v_cmp_gt_i32_e32 vcc_lo, 32, v14
	s_wait_alu 0xfffd
	v_cndmask_b32_e32 v14, v44, v14, vcc_lo
	v_cmp_eq_u32_e32 vcc_lo, 3, v0
	v_lshlrev_b32_e32 v33, 2, v14
	ds_bpermute_b32 v40, v33, v10
	ds_bpermute_b32 v41, v33, v11
	;; [unrolled: 1-line block ×16, first 2 shown]
	s_and_b32 exec_lo, exec_lo, vcc_lo
	s_cbranch_execz .LBB116_21
; %bb.17:
	v_cmp_eq_f64_e32 vcc_lo, 0, v[5:6]
	v_cmp_eq_f64_e64 s2, 0, v[7:8]
	s_wait_dscnt 0xe
	v_add_f64_e32 v[10:11], v[10:11], v[40:41]
	s_wait_dscnt 0xc
	v_add_f64_e32 v[24:25], v[30:31], v[24:25]
	;; [unrolled: 2-line block ×8, first 2 shown]
	s_load_b64 s[0:1], s[0:1], 0x48
	s_and_b32 s2, vcc_lo, s2
	s_wait_alu 0xfffe
	s_and_saveexec_b32 s3, s2
	s_wait_alu 0xfffe
	s_xor_b32 s2, exec_lo, s3
	s_cbranch_execz .LBB116_19
; %bb.18:
	v_mul_f64_e64 v[5:6], v[24:25], -v[3:4]
	v_mul_f64_e32 v[7:8], v[1:2], v[24:25]
	v_mul_f64_e64 v[24:25], v[22:23], -v[3:4]
	v_mul_f64_e32 v[22:23], v[1:2], v[22:23]
	;; [unrolled: 2-line block ×4, first 2 shown]
	v_fma_f64 v[5:6], v[1:2], v[10:11], v[5:6]
	v_fma_f64 v[7:8], v[3:4], v[10:11], v[7:8]
	;; [unrolled: 1-line block ×8, first 2 shown]
	v_lshlrev_b32_e32 v14, 2, v9
                                        ; implicit-def: $vgpr9
                                        ; implicit-def: $vgpr24_vgpr25
                                        ; implicit-def: $vgpr22_vgpr23
                                        ; implicit-def: $vgpr16_vgpr17
	s_delay_alu instid0(VALU_DEP_1) | instskip(NEXT) | instid1(VALU_DEP_1)
	v_ashrrev_i32_e32 v15, 31, v14
	v_lshlrev_b64_e32 v[14:15], 4, v[14:15]
	s_wait_kmcnt 0x0
	s_delay_alu instid0(VALU_DEP_1) | instskip(SKIP_1) | instid1(VALU_DEP_2)
	v_add_co_u32 v14, vcc_lo, s0, v14
	s_wait_alu 0xfffd
	v_add_co_ci_u32_e64 v15, null, s1, v15, vcc_lo
	s_clause 0x3
	global_store_b128 v[14:15], v[5:8], off
	global_store_b128 v[14:15], v[10:13], off offset:16
	global_store_b128 v[14:15], v[18:21], off offset:32
	;; [unrolled: 1-line block ×3, first 2 shown]
                                        ; implicit-def: $vgpr10_vgpr11
                                        ; implicit-def: $vgpr12_vgpr13
                                        ; implicit-def: $vgpr14_vgpr15
                                        ; implicit-def: $vgpr20_vgpr21
                                        ; implicit-def: $vgpr18_vgpr19
                                        ; implicit-def: $vgpr7_vgpr8
                                        ; implicit-def: $vgpr3_vgpr4
.LBB116_19:
	s_wait_alu 0xfffe
	s_and_not1_saveexec_b32 s2, s2
	s_cbranch_execz .LBB116_21
; %bb.20:
	v_lshlrev_b32_e32 v26, 2, v9
	v_mul_f64_e64 v[44:45], v[24:25], -v[3:4]
	v_mul_f64_e32 v[24:25], v[1:2], v[24:25]
	v_mul_f64_e64 v[46:47], v[22:23], -v[3:4]
	v_mul_f64_e32 v[22:23], v[1:2], v[22:23]
	v_ashrrev_i32_e32 v27, 31, v26
	v_mul_f64_e64 v[48:49], v[20:21], -v[3:4]
	v_mul_f64_e32 v[20:21], v[1:2], v[20:21]
	v_mul_f64_e64 v[50:51], v[18:19], -v[3:4]
	v_mul_f64_e32 v[18:19], v[1:2], v[18:19]
	v_lshlrev_b64_e32 v[26:27], 4, v[26:27]
	s_wait_kmcnt 0x0
	s_delay_alu instid0(VALU_DEP_1) | instskip(SKIP_1) | instid1(VALU_DEP_2)
	v_add_co_u32 v42, vcc_lo, s0, v26
	s_wait_alu 0xfffd
	v_add_co_ci_u32_e64 v43, null, s1, v27, vcc_lo
	s_clause 0x3
	global_load_b128 v[26:29], v[42:43], off
	global_load_b128 v[30:33], v[42:43], off offset:16
	global_load_b128 v[34:37], v[42:43], off offset:32
	;; [unrolled: 1-line block ×3, first 2 shown]
	v_fma_f64 v[44:45], v[1:2], v[10:11], v[44:45]
	v_fma_f64 v[9:10], v[3:4], v[10:11], v[24:25]
	;; [unrolled: 1-line block ×8, first 2 shown]
	s_wait_loadcnt 0x3
	v_fma_f64 v[15:16], v[5:6], v[26:27], v[44:45]
	v_fma_f64 v[9:10], v[7:8], v[26:27], v[9:10]
	s_wait_loadcnt 0x2
	v_fma_f64 v[17:18], v[5:6], v[30:31], v[24:25]
	v_fma_f64 v[11:12], v[7:8], v[30:31], v[11:12]
	;; [unrolled: 3-line block ×4, first 2 shown]
	v_fma_f64 v[0:1], -v[7:8], v[28:29], v[15:16]
	v_fma_f64 v[2:3], v[5:6], v[28:29], v[9:10]
	v_fma_f64 v[9:10], -v[7:8], v[32:33], v[17:18]
	v_fma_f64 v[11:12], v[5:6], v[32:33], v[11:12]
	;; [unrolled: 2-line block ×4, first 2 shown]
	s_clause 0x3
	global_store_b128 v[42:43], v[0:3], off
	global_store_b128 v[42:43], v[9:12], off offset:16
	global_store_b128 v[42:43], v[13:16], off offset:32
	;; [unrolled: 1-line block ×3, first 2 shown]
.LBB116_21:
	s_endpgm
	.section	.rodata,"a",@progbits
	.p2align	6, 0x0
	.amdhsa_kernel _ZN9rocsparseL19gebsrmvn_4xn_kernelILj128ELj2ELj4E21rocsparse_complex_numIdEEEvi20rocsparse_direction_NS_24const_host_device_scalarIT2_EEPKiS8_PKS5_SA_S6_PS5_21rocsparse_index_base_b
		.amdhsa_group_segment_fixed_size 0
		.amdhsa_private_segment_fixed_size 0
		.amdhsa_kernarg_size 88
		.amdhsa_user_sgpr_count 2
		.amdhsa_user_sgpr_dispatch_ptr 0
		.amdhsa_user_sgpr_queue_ptr 0
		.amdhsa_user_sgpr_kernarg_segment_ptr 1
		.amdhsa_user_sgpr_dispatch_id 0
		.amdhsa_user_sgpr_private_segment_size 0
		.amdhsa_wavefront_size32 1
		.amdhsa_uses_dynamic_stack 0
		.amdhsa_enable_private_segment 0
		.amdhsa_system_sgpr_workgroup_id_x 1
		.amdhsa_system_sgpr_workgroup_id_y 0
		.amdhsa_system_sgpr_workgroup_id_z 0
		.amdhsa_system_sgpr_workgroup_info 0
		.amdhsa_system_vgpr_workitem_id 0
		.amdhsa_next_free_vgpr 73
		.amdhsa_next_free_sgpr 14
		.amdhsa_reserve_vcc 1
		.amdhsa_float_round_mode_32 0
		.amdhsa_float_round_mode_16_64 0
		.amdhsa_float_denorm_mode_32 3
		.amdhsa_float_denorm_mode_16_64 3
		.amdhsa_fp16_overflow 0
		.amdhsa_workgroup_processor_mode 1
		.amdhsa_memory_ordered 1
		.amdhsa_forward_progress 1
		.amdhsa_inst_pref_size 23
		.amdhsa_round_robin_scheduling 0
		.amdhsa_exception_fp_ieee_invalid_op 0
		.amdhsa_exception_fp_denorm_src 0
		.amdhsa_exception_fp_ieee_div_zero 0
		.amdhsa_exception_fp_ieee_overflow 0
		.amdhsa_exception_fp_ieee_underflow 0
		.amdhsa_exception_fp_ieee_inexact 0
		.amdhsa_exception_int_div_zero 0
	.end_amdhsa_kernel
	.section	.text._ZN9rocsparseL19gebsrmvn_4xn_kernelILj128ELj2ELj4E21rocsparse_complex_numIdEEEvi20rocsparse_direction_NS_24const_host_device_scalarIT2_EEPKiS8_PKS5_SA_S6_PS5_21rocsparse_index_base_b,"axG",@progbits,_ZN9rocsparseL19gebsrmvn_4xn_kernelILj128ELj2ELj4E21rocsparse_complex_numIdEEEvi20rocsparse_direction_NS_24const_host_device_scalarIT2_EEPKiS8_PKS5_SA_S6_PS5_21rocsparse_index_base_b,comdat
.Lfunc_end116:
	.size	_ZN9rocsparseL19gebsrmvn_4xn_kernelILj128ELj2ELj4E21rocsparse_complex_numIdEEEvi20rocsparse_direction_NS_24const_host_device_scalarIT2_EEPKiS8_PKS5_SA_S6_PS5_21rocsparse_index_base_b, .Lfunc_end116-_ZN9rocsparseL19gebsrmvn_4xn_kernelILj128ELj2ELj4E21rocsparse_complex_numIdEEEvi20rocsparse_direction_NS_24const_host_device_scalarIT2_EEPKiS8_PKS5_SA_S6_PS5_21rocsparse_index_base_b
                                        ; -- End function
	.set _ZN9rocsparseL19gebsrmvn_4xn_kernelILj128ELj2ELj4E21rocsparse_complex_numIdEEEvi20rocsparse_direction_NS_24const_host_device_scalarIT2_EEPKiS8_PKS5_SA_S6_PS5_21rocsparse_index_base_b.num_vgpr, 73
	.set _ZN9rocsparseL19gebsrmvn_4xn_kernelILj128ELj2ELj4E21rocsparse_complex_numIdEEEvi20rocsparse_direction_NS_24const_host_device_scalarIT2_EEPKiS8_PKS5_SA_S6_PS5_21rocsparse_index_base_b.num_agpr, 0
	.set _ZN9rocsparseL19gebsrmvn_4xn_kernelILj128ELj2ELj4E21rocsparse_complex_numIdEEEvi20rocsparse_direction_NS_24const_host_device_scalarIT2_EEPKiS8_PKS5_SA_S6_PS5_21rocsparse_index_base_b.numbered_sgpr, 14
	.set _ZN9rocsparseL19gebsrmvn_4xn_kernelILj128ELj2ELj4E21rocsparse_complex_numIdEEEvi20rocsparse_direction_NS_24const_host_device_scalarIT2_EEPKiS8_PKS5_SA_S6_PS5_21rocsparse_index_base_b.num_named_barrier, 0
	.set _ZN9rocsparseL19gebsrmvn_4xn_kernelILj128ELj2ELj4E21rocsparse_complex_numIdEEEvi20rocsparse_direction_NS_24const_host_device_scalarIT2_EEPKiS8_PKS5_SA_S6_PS5_21rocsparse_index_base_b.private_seg_size, 0
	.set _ZN9rocsparseL19gebsrmvn_4xn_kernelILj128ELj2ELj4E21rocsparse_complex_numIdEEEvi20rocsparse_direction_NS_24const_host_device_scalarIT2_EEPKiS8_PKS5_SA_S6_PS5_21rocsparse_index_base_b.uses_vcc, 1
	.set _ZN9rocsparseL19gebsrmvn_4xn_kernelILj128ELj2ELj4E21rocsparse_complex_numIdEEEvi20rocsparse_direction_NS_24const_host_device_scalarIT2_EEPKiS8_PKS5_SA_S6_PS5_21rocsparse_index_base_b.uses_flat_scratch, 0
	.set _ZN9rocsparseL19gebsrmvn_4xn_kernelILj128ELj2ELj4E21rocsparse_complex_numIdEEEvi20rocsparse_direction_NS_24const_host_device_scalarIT2_EEPKiS8_PKS5_SA_S6_PS5_21rocsparse_index_base_b.has_dyn_sized_stack, 0
	.set _ZN9rocsparseL19gebsrmvn_4xn_kernelILj128ELj2ELj4E21rocsparse_complex_numIdEEEvi20rocsparse_direction_NS_24const_host_device_scalarIT2_EEPKiS8_PKS5_SA_S6_PS5_21rocsparse_index_base_b.has_recursion, 0
	.set _ZN9rocsparseL19gebsrmvn_4xn_kernelILj128ELj2ELj4E21rocsparse_complex_numIdEEEvi20rocsparse_direction_NS_24const_host_device_scalarIT2_EEPKiS8_PKS5_SA_S6_PS5_21rocsparse_index_base_b.has_indirect_call, 0
	.section	.AMDGPU.csdata,"",@progbits
; Kernel info:
; codeLenInByte = 2896
; TotalNumSgprs: 16
; NumVgprs: 73
; ScratchSize: 0
; MemoryBound: 0
; FloatMode: 240
; IeeeMode: 1
; LDSByteSize: 0 bytes/workgroup (compile time only)
; SGPRBlocks: 0
; VGPRBlocks: 9
; NumSGPRsForWavesPerEU: 16
; NumVGPRsForWavesPerEU: 73
; Occupancy: 16
; WaveLimiterHint : 1
; COMPUTE_PGM_RSRC2:SCRATCH_EN: 0
; COMPUTE_PGM_RSRC2:USER_SGPR: 2
; COMPUTE_PGM_RSRC2:TRAP_HANDLER: 0
; COMPUTE_PGM_RSRC2:TGID_X_EN: 1
; COMPUTE_PGM_RSRC2:TGID_Y_EN: 0
; COMPUTE_PGM_RSRC2:TGID_Z_EN: 0
; COMPUTE_PGM_RSRC2:TIDIG_COMP_CNT: 0
	.section	.text._ZN9rocsparseL19gebsrmvn_4xn_kernelILj128ELj2ELj8E21rocsparse_complex_numIdEEEvi20rocsparse_direction_NS_24const_host_device_scalarIT2_EEPKiS8_PKS5_SA_S6_PS5_21rocsparse_index_base_b,"axG",@progbits,_ZN9rocsparseL19gebsrmvn_4xn_kernelILj128ELj2ELj8E21rocsparse_complex_numIdEEEvi20rocsparse_direction_NS_24const_host_device_scalarIT2_EEPKiS8_PKS5_SA_S6_PS5_21rocsparse_index_base_b,comdat
	.globl	_ZN9rocsparseL19gebsrmvn_4xn_kernelILj128ELj2ELj8E21rocsparse_complex_numIdEEEvi20rocsparse_direction_NS_24const_host_device_scalarIT2_EEPKiS8_PKS5_SA_S6_PS5_21rocsparse_index_base_b ; -- Begin function _ZN9rocsparseL19gebsrmvn_4xn_kernelILj128ELj2ELj8E21rocsparse_complex_numIdEEEvi20rocsparse_direction_NS_24const_host_device_scalarIT2_EEPKiS8_PKS5_SA_S6_PS5_21rocsparse_index_base_b
	.p2align	8
	.type	_ZN9rocsparseL19gebsrmvn_4xn_kernelILj128ELj2ELj8E21rocsparse_complex_numIdEEEvi20rocsparse_direction_NS_24const_host_device_scalarIT2_EEPKiS8_PKS5_SA_S6_PS5_21rocsparse_index_base_b,@function
_ZN9rocsparseL19gebsrmvn_4xn_kernelILj128ELj2ELj8E21rocsparse_complex_numIdEEEvi20rocsparse_direction_NS_24const_host_device_scalarIT2_EEPKiS8_PKS5_SA_S6_PS5_21rocsparse_index_base_b: ; @_ZN9rocsparseL19gebsrmvn_4xn_kernelILj128ELj2ELj8E21rocsparse_complex_numIdEEEvi20rocsparse_direction_NS_24const_host_device_scalarIT2_EEPKiS8_PKS5_SA_S6_PS5_21rocsparse_index_base_b
; %bb.0:
	s_clause 0x1
	s_load_b64 s[12:13], s[0:1], 0x50
	s_load_b64 s[2:3], s[0:1], 0x8
	s_add_nc_u64 s[4:5], s[0:1], 8
	s_load_b64 s[6:7], s[0:1], 0x38
	s_wait_kmcnt 0x0
	s_bitcmp1_b32 s13, 0
	s_cselect_b32 s2, s4, s2
	s_cselect_b32 s3, s5, s3
	s_delay_alu instid0(SALU_CYCLE_1)
	v_dual_mov_b32 v1, s2 :: v_dual_mov_b32 v2, s3
	s_add_nc_u64 s[2:3], s[0:1], 56
	s_wait_alu 0xfffe
	s_cselect_b32 s2, s2, s6
	s_cselect_b32 s3, s3, s7
	flat_load_b128 v[1:4], v[1:2]
	s_wait_alu 0xfffe
	v_dual_mov_b32 v5, s2 :: v_dual_mov_b32 v6, s3
	flat_load_b128 v[5:8], v[5:6]
	s_wait_loadcnt_dscnt 0x101
	v_cmp_eq_f64_e32 vcc_lo, 0, v[1:2]
	v_cmp_eq_f64_e64 s2, 0, v[3:4]
	s_and_b32 s4, vcc_lo, s2
	s_mov_b32 s2, -1
	s_and_saveexec_b32 s3, s4
	s_cbranch_execz .LBB117_2
; %bb.1:
	s_wait_loadcnt_dscnt 0x0
	v_cmp_neq_f64_e32 vcc_lo, 1.0, v[5:6]
	v_cmp_neq_f64_e64 s2, 0, v[7:8]
	s_wait_alu 0xfffe
	s_or_b32 s2, vcc_lo, s2
	s_wait_alu 0xfffe
	s_or_not1_b32 s2, s2, exec_lo
.LBB117_2:
	s_wait_alu 0xfffe
	s_or_b32 exec_lo, exec_lo, s3
	s_and_saveexec_b32 s3, s2
	s_cbranch_execz .LBB117_21
; %bb.3:
	s_load_b64 s[2:3], s[0:1], 0x0
	v_lshrrev_b32_e32 v9, 3, v0
	s_delay_alu instid0(VALU_DEP_1) | instskip(SKIP_1) | instid1(VALU_DEP_1)
	v_lshl_or_b32 v9, ttmp9, 4, v9
	s_wait_kmcnt 0x0
	v_cmp_gt_i32_e32 vcc_lo, s2, v9
	s_and_b32 exec_lo, exec_lo, vcc_lo
	s_cbranch_execz .LBB117_21
; %bb.4:
	s_load_b256 s[4:11], s[0:1], 0x18
	v_ashrrev_i32_e32 v10, 31, v9
	v_and_b32_e32 v0, 7, v0
	s_cmp_lg_u32 s3, 0
	s_delay_alu instid0(VALU_DEP_2) | instskip(SKIP_1) | instid1(VALU_DEP_1)
	v_lshlrev_b64_e32 v[10:11], 2, v[9:10]
	s_wait_kmcnt 0x0
	v_add_co_u32 v10, vcc_lo, s4, v10
	s_delay_alu instid0(VALU_DEP_1) | instskip(SKIP_4) | instid1(VALU_DEP_2)
	v_add_co_ci_u32_e64 v11, null, s5, v11, vcc_lo
	global_load_b64 v[10:11], v[10:11], off
	s_wait_loadcnt 0x0
	v_subrev_nc_u32_e32 v10, s12, v10
	v_subrev_nc_u32_e32 v32, s12, v11
	v_add_nc_u32_e32 v22, v10, v0
	s_delay_alu instid0(VALU_DEP_1)
	v_cmp_lt_i32_e64 s2, v22, v32
	s_cbranch_scc0 .LBB117_10
; %bb.5:
	v_mov_b32_e32 v10, 0
	v_mov_b32_e32 v12, 0
	;; [unrolled: 1-line block ×3, first 2 shown]
	v_dual_mov_b32 v24, 0 :: v_dual_mov_b32 v11, 0
	v_dual_mov_b32 v20, 0 :: v_dual_mov_b32 v13, 0
	;; [unrolled: 1-line block ×5, first 2 shown]
	v_mov_b32_e32 v15, 0
	v_mov_b32_e32 v19, 0
	;; [unrolled: 1-line block ×3, first 2 shown]
	s_and_saveexec_b32 s3, s2
	s_cbranch_execz .LBB117_9
; %bb.6:
	v_mov_b32_e32 v20, 0
	v_mov_b32_e32 v14, 0
	;; [unrolled: 1-line block ×3, first 2 shown]
	v_dual_mov_b32 v10, 0 :: v_dual_mov_b32 v29, 0
	v_dual_mov_b32 v21, 0 :: v_dual_mov_b32 v12, 0
	;; [unrolled: 1-line block ×4, first 2 shown]
	v_mov_b32_e32 v26, 0
	v_dual_mov_b32 v11, 0 :: v_dual_lshlrev_b32 v28, 3, v22
	v_mov_b32_e32 v13, 0
	v_mov_b32_e32 v17, 0
	;; [unrolled: 1-line block ×3, first 2 shown]
	v_dual_mov_b32 v27, 0 :: v_dual_mov_b32 v30, v22
	s_mov_b32 s4, 0
.LBB117_7:                              ; =>This Inner Loop Header: Depth=1
	s_delay_alu instid0(VALU_DEP_1) | instskip(NEXT) | instid1(VALU_DEP_1)
	v_ashrrev_i32_e32 v31, 31, v30
	v_lshlrev_b64_e32 v[33:34], 2, v[30:31]
	v_add_nc_u32_e32 v30, 8, v30
	s_delay_alu instid0(VALU_DEP_2) | instskip(SKIP_1) | instid1(VALU_DEP_3)
	v_add_co_u32 v33, vcc_lo, s6, v33
	s_wait_alu 0xfffd
	v_add_co_ci_u32_e64 v34, null, s7, v34, vcc_lo
	global_load_b32 v23, v[33:34], off
	v_lshlrev_b64_e32 v[33:34], 4, v[28:29]
	v_add_nc_u32_e32 v28, 64, v28
	s_delay_alu instid0(VALU_DEP_2) | instskip(SKIP_1) | instid1(VALU_DEP_3)
	v_add_co_u32 v69, vcc_lo, s8, v33
	s_wait_alu 0xfffd
	v_add_co_ci_u32_e64 v70, null, s9, v34, vcc_lo
	s_clause 0x3
	global_load_b128 v[33:36], v[69:70], off offset:48
	global_load_b128 v[37:40], v[69:70], off offset:32
	;; [unrolled: 1-line block ×3, first 2 shown]
	global_load_b128 v[45:48], v[69:70], off
	s_wait_loadcnt 0x4
	v_subrev_nc_u32_e32 v23, s12, v23
	s_delay_alu instid0(VALU_DEP_1) | instskip(NEXT) | instid1(VALU_DEP_1)
	v_dual_mov_b32 v50, v29 :: v_dual_lshlrev_b32 v49, 1, v23
	v_lshlrev_b64_e32 v[49:50], 4, v[49:50]
	s_delay_alu instid0(VALU_DEP_1) | instskip(SKIP_1) | instid1(VALU_DEP_2)
	v_add_co_u32 v53, vcc_lo, s10, v49
	s_wait_alu 0xfffd
	v_add_co_ci_u32_e64 v54, null, s11, v50, vcc_lo
	v_cmp_ge_i32_e32 vcc_lo, v30, v32
	s_clause 0x1
	global_load_b128 v[49:52], v[53:54], off
	global_load_b128 v[53:56], v[53:54], off offset:16
	s_clause 0x3
	global_load_b128 v[57:60], v[69:70], off offset:64
	global_load_b128 v[61:64], v[69:70], off offset:80
	global_load_b128 v[65:68], v[69:70], off offset:96
	global_load_b128 v[69:72], v[69:70], off offset:112
	s_wait_alu 0xfffe
	s_or_b32 s4, vcc_lo, s4
	s_wait_loadcnt 0x5
	v_fma_f64 v[20:21], v[45:46], v[49:50], v[20:21]
	v_fma_f64 v[10:11], v[47:48], v[49:50], v[10:11]
	;; [unrolled: 1-line block ×8, first 2 shown]
	v_fma_f64 v[20:21], -v[47:48], v[51:52], v[20:21]
	v_fma_f64 v[10:11], v[45:46], v[51:52], v[10:11]
	v_fma_f64 v[23:24], -v[43:44], v[51:52], v[23:24]
	v_fma_f64 v[25:26], v[41:42], v[51:52], v[25:26]
	;; [unrolled: 2-line block ×4, first 2 shown]
	s_wait_loadcnt 0x3
	v_fma_f64 v[20:21], v[57:58], v[53:54], v[20:21]
	v_fma_f64 v[10:11], v[59:60], v[53:54], v[10:11]
	s_wait_loadcnt 0x2
	v_fma_f64 v[23:24], v[61:62], v[53:54], v[23:24]
	v_fma_f64 v[26:27], v[63:64], v[53:54], v[25:26]
	;; [unrolled: 3-line block ×4, first 2 shown]
	v_fma_f64 v[20:21], -v[59:60], v[55:56], v[20:21]
	v_fma_f64 v[10:11], v[57:58], v[55:56], v[10:11]
	v_fma_f64 v[24:25], -v[63:64], v[55:56], v[23:24]
	v_fma_f64 v[26:27], v[61:62], v[55:56], v[26:27]
	;; [unrolled: 2-line block ×4, first 2 shown]
	s_wait_alu 0xfffe
	s_and_not1_b32 exec_lo, exec_lo, s4
	s_cbranch_execnz .LBB117_7
; %bb.8:
	s_or_b32 exec_lo, exec_lo, s4
.LBB117_9:
	s_wait_alu 0xfffe
	s_or_b32 exec_lo, exec_lo, s3
	s_cbranch_execz .LBB117_11
	s_branch .LBB117_16
.LBB117_10:
                                        ; implicit-def: $vgpr10_vgpr11
                                        ; implicit-def: $vgpr20_vgpr21
                                        ; implicit-def: $vgpr12_vgpr13
                                        ; implicit-def: $vgpr14_vgpr15
                                        ; implicit-def: $vgpr16_vgpr17
                                        ; implicit-def: $vgpr18_vgpr19
                                        ; implicit-def: $vgpr24_vgpr25
                                        ; implicit-def: $vgpr26_vgpr27
.LBB117_11:
	v_mov_b32_e32 v10, 0
	v_mov_b32_e32 v12, 0
	;; [unrolled: 1-line block ×3, first 2 shown]
	v_dual_mov_b32 v24, 0 :: v_dual_mov_b32 v11, 0
	v_dual_mov_b32 v20, 0 :: v_dual_mov_b32 v13, 0
	;; [unrolled: 1-line block ×5, first 2 shown]
	v_mov_b32_e32 v15, 0
	v_mov_b32_e32 v19, 0
	;; [unrolled: 1-line block ×3, first 2 shown]
	s_and_saveexec_b32 s3, s2
	s_cbranch_execz .LBB117_15
; %bb.12:
	v_mov_b32_e32 v10, 0
	v_mov_b32_e32 v20, 0
	;; [unrolled: 1-line block ×7, first 2 shown]
	v_dual_mov_b32 v26, 0 :: v_dual_mov_b32 v29, 0
	v_dual_mov_b32 v11, 0 :: v_dual_lshlrev_b32 v28, 3, v22
	v_mov_b32_e32 v21, 0
	v_mov_b32_e32 v13, 0
	;; [unrolled: 1-line block ×7, first 2 shown]
	s_mov_b32 s2, 0
.LBB117_13:                             ; =>This Inner Loop Header: Depth=1
	v_ashrrev_i32_e32 v23, 31, v22
	s_delay_alu instid0(VALU_DEP_1) | instskip(SKIP_1) | instid1(VALU_DEP_2)
	v_lshlrev_b64_e32 v[30:31], 2, v[22:23]
	v_add_nc_u32_e32 v22, 8, v22
	v_add_co_u32 v30, vcc_lo, s6, v30
	s_wait_alu 0xfffd
	s_delay_alu instid0(VALU_DEP_3) | instskip(SKIP_3) | instid1(VALU_DEP_2)
	v_add_co_ci_u32_e64 v31, null, s7, v31, vcc_lo
	global_load_b32 v23, v[30:31], off
	v_lshlrev_b64_e32 v[30:31], 4, v[28:29]
	v_add_nc_u32_e32 v28, 64, v28
	v_add_co_u32 v30, vcc_lo, s8, v30
	s_wait_alu 0xfffd
	s_delay_alu instid0(VALU_DEP_3)
	v_add_co_ci_u32_e64 v31, null, s9, v31, vcc_lo
	s_clause 0x7
	global_load_b128 v[33:36], v[30:31], off offset:48
	global_load_b128 v[37:40], v[30:31], off offset:32
	global_load_b128 v[41:44], v[30:31], off offset:16
	global_load_b128 v[45:48], v[30:31], off
	global_load_b128 v[49:52], v[30:31], off offset:112
	global_load_b128 v[53:56], v[30:31], off offset:96
	;; [unrolled: 1-line block ×4, first 2 shown]
	s_wait_loadcnt 0x8
	v_subrev_nc_u32_e32 v23, s12, v23
	s_delay_alu instid0(VALU_DEP_1) | instskip(NEXT) | instid1(VALU_DEP_1)
	v_dual_mov_b32 v66, v29 :: v_dual_lshlrev_b32 v65, 1, v23
	v_lshlrev_b64_e32 v[30:31], 4, v[65:66]
	s_delay_alu instid0(VALU_DEP_1) | instskip(SKIP_1) | instid1(VALU_DEP_2)
	v_add_co_u32 v30, vcc_lo, s10, v30
	s_wait_alu 0xfffd
	v_add_co_ci_u32_e64 v31, null, s11, v31, vcc_lo
	v_cmp_ge_i32_e32 vcc_lo, v22, v32
	s_clause 0x1
	global_load_b128 v[65:68], v[30:31], off
	global_load_b128 v[69:72], v[30:31], off offset:16
	s_wait_alu 0xfffe
	s_or_b32 s2, vcc_lo, s2
	s_wait_loadcnt 0x1
	v_fma_f64 v[20:21], v[45:46], v[65:66], v[20:21]
	v_fma_f64 v[10:11], v[47:48], v[65:66], v[10:11]
	;; [unrolled: 1-line block ×8, first 2 shown]
	v_fma_f64 v[20:21], -v[47:48], v[67:68], v[20:21]
	v_fma_f64 v[10:11], v[45:46], v[67:68], v[10:11]
	v_fma_f64 v[23:24], -v[39:40], v[67:68], v[23:24]
	v_fma_f64 v[25:26], v[37:38], v[67:68], v[25:26]
	v_fma_f64 v[16:17], -v[63:64], v[67:68], v[16:17]
	v_fma_f64 v[18:19], v[61:62], v[67:68], v[18:19]
	v_fma_f64 v[12:13], -v[55:56], v[67:68], v[12:13]
	v_fma_f64 v[14:15], v[53:54], v[67:68], v[14:15]
	s_wait_loadcnt 0x0
	v_fma_f64 v[20:21], v[41:42], v[69:70], v[20:21]
	v_fma_f64 v[10:11], v[43:44], v[69:70], v[10:11]
	;; [unrolled: 1-line block ×8, first 2 shown]
	v_fma_f64 v[20:21], -v[43:44], v[71:72], v[20:21]
	v_fma_f64 v[10:11], v[41:42], v[71:72], v[10:11]
	v_fma_f64 v[24:25], -v[35:36], v[71:72], v[23:24]
	v_fma_f64 v[26:27], v[33:34], v[71:72], v[26:27]
	;; [unrolled: 2-line block ×4, first 2 shown]
	s_wait_alu 0xfffe
	s_and_not1_b32 exec_lo, exec_lo, s2
	s_cbranch_execnz .LBB117_13
; %bb.14:
	s_or_b32 exec_lo, exec_lo, s2
.LBB117_15:
	s_wait_alu 0xfffe
	s_or_b32 exec_lo, exec_lo, s3
.LBB117_16:
	v_mbcnt_lo_u32_b32 v44, -1, 0
	s_delay_alu instid0(VALU_DEP_1) | instskip(NEXT) | instid1(VALU_DEP_1)
	v_xor_b32_e32 v22, 4, v44
	v_cmp_gt_i32_e32 vcc_lo, 32, v22
	s_wait_alu 0xfffd
	v_cndmask_b32_e32 v22, v44, v22, vcc_lo
	s_delay_alu instid0(VALU_DEP_1)
	v_lshlrev_b32_e32 v41, 2, v22
	ds_bpermute_b32 v22, v41, v20
	ds_bpermute_b32 v23, v41, v21
	ds_bpermute_b32 v28, v41, v10
	ds_bpermute_b32 v29, v41, v11
	ds_bpermute_b32 v30, v41, v24
	ds_bpermute_b32 v31, v41, v25
	ds_bpermute_b32 v32, v41, v26
	ds_bpermute_b32 v33, v41, v27
	ds_bpermute_b32 v34, v41, v16
	ds_bpermute_b32 v35, v41, v17
	ds_bpermute_b32 v36, v41, v18
	ds_bpermute_b32 v37, v41, v19
	ds_bpermute_b32 v38, v41, v12
	ds_bpermute_b32 v39, v41, v13
	ds_bpermute_b32 v40, v41, v14
	ds_bpermute_b32 v41, v41, v15
	s_wait_dscnt 0xe
	v_add_f64_e32 v[20:21], v[20:21], v[22:23]
	s_wait_dscnt 0xc
	v_add_f64_e32 v[22:23], v[10:11], v[28:29]
	v_xor_b32_e32 v10, 2, v44
	s_wait_dscnt 0xa
	v_add_f64_e32 v[28:29], v[24:25], v[30:31]
	s_wait_dscnt 0x8
	v_add_f64_e32 v[26:27], v[26:27], v[32:33]
	;; [unrolled: 2-line block ×3, first 2 shown]
	v_cmp_gt_i32_e32 vcc_lo, 32, v10
	s_wait_dscnt 0x4
	v_add_f64_e32 v[18:19], v[18:19], v[36:37]
	s_wait_dscnt 0x2
	v_add_f64_e32 v[30:31], v[12:13], v[38:39]
	s_wait_dscnt 0x0
	v_add_f64_e32 v[32:33], v[14:15], v[40:41]
	s_wait_alu 0xfffd
	v_cndmask_b32_e32 v10, v44, v10, vcc_lo
	s_delay_alu instid0(VALU_DEP_1)
	v_lshlrev_b32_e32 v24, 2, v10
	ds_bpermute_b32 v10, v24, v20
	ds_bpermute_b32 v11, v24, v21
	;; [unrolled: 1-line block ×16, first 2 shown]
	s_wait_dscnt 0xe
	v_add_f64_e32 v[10:11], v[20:21], v[10:11]
	s_wait_dscnt 0xc
	v_add_f64_e32 v[24:25], v[22:23], v[12:13]
	;; [unrolled: 2-line block ×4, first 2 shown]
	v_xor_b32_e32 v26, 1, v44
	s_wait_dscnt 0x6
	v_add_f64_e32 v[14:15], v[16:17], v[36:37]
	s_wait_dscnt 0x4
	v_add_f64_e32 v[20:21], v[18:19], v[38:39]
	;; [unrolled: 2-line block ×3, first 2 shown]
	v_cmp_gt_i32_e32 vcc_lo, 32, v26
	s_wait_dscnt 0x0
	v_add_f64_e32 v[18:19], v[32:33], v[42:43]
	s_wait_alu 0xfffd
	v_cndmask_b32_e32 v26, v44, v26, vcc_lo
	v_cmp_eq_u32_e32 vcc_lo, 7, v0
	s_delay_alu instid0(VALU_DEP_2)
	v_lshlrev_b32_e32 v29, 2, v26
	ds_bpermute_b32 v40, v29, v10
	ds_bpermute_b32 v41, v29, v11
	;; [unrolled: 1-line block ×16, first 2 shown]
	s_and_b32 exec_lo, exec_lo, vcc_lo
	s_cbranch_execz .LBB117_21
; %bb.17:
	v_cmp_eq_f64_e32 vcc_lo, 0, v[5:6]
	v_cmp_eq_f64_e64 s2, 0, v[7:8]
	s_wait_dscnt 0xe
	v_add_f64_e32 v[10:11], v[10:11], v[40:41]
	s_wait_dscnt 0xc
	v_add_f64_e32 v[24:25], v[24:25], v[38:39]
	s_wait_dscnt 0xa
	v_add_f64_e32 v[12:13], v[12:13], v[36:37]
	s_wait_dscnt 0x8
	v_add_f64_e32 v[22:23], v[22:23], v[34:35]
	s_wait_dscnt 0x6
	v_add_f64_e32 v[14:15], v[14:15], v[32:33]
	s_wait_dscnt 0x4
	v_add_f64_e32 v[20:21], v[20:21], v[30:31]
	s_wait_dscnt 0x2
	v_add_f64_e32 v[16:17], v[16:17], v[26:27]
	s_wait_dscnt 0x0
	v_add_f64_e32 v[18:19], v[18:19], v[28:29]
	s_load_b64 s[0:1], s[0:1], 0x48
	s_and_b32 s2, vcc_lo, s2
	s_wait_alu 0xfffe
	s_and_saveexec_b32 s3, s2
	s_wait_alu 0xfffe
	s_xor_b32 s2, exec_lo, s3
	s_cbranch_execz .LBB117_19
; %bb.18:
	v_mul_f64_e64 v[5:6], v[24:25], -v[3:4]
	v_mul_f64_e32 v[7:8], v[1:2], v[24:25]
	v_mul_f64_e64 v[24:25], v[22:23], -v[3:4]
	v_mul_f64_e32 v[22:23], v[1:2], v[22:23]
	;; [unrolled: 2-line block ×4, first 2 shown]
	v_fma_f64 v[5:6], v[1:2], v[10:11], v[5:6]
	v_fma_f64 v[7:8], v[3:4], v[10:11], v[7:8]
	;; [unrolled: 1-line block ×8, first 2 shown]
	v_lshlrev_b32_e32 v14, 2, v9
                                        ; implicit-def: $vgpr9
                                        ; implicit-def: $vgpr24_vgpr25
                                        ; implicit-def: $vgpr22_vgpr23
                                        ; implicit-def: $vgpr16_vgpr17
	s_delay_alu instid0(VALU_DEP_1) | instskip(NEXT) | instid1(VALU_DEP_1)
	v_ashrrev_i32_e32 v15, 31, v14
	v_lshlrev_b64_e32 v[14:15], 4, v[14:15]
	s_wait_kmcnt 0x0
	s_delay_alu instid0(VALU_DEP_1) | instskip(SKIP_1) | instid1(VALU_DEP_2)
	v_add_co_u32 v14, vcc_lo, s0, v14
	s_wait_alu 0xfffd
	v_add_co_ci_u32_e64 v15, null, s1, v15, vcc_lo
	s_clause 0x3
	global_store_b128 v[14:15], v[5:8], off
	global_store_b128 v[14:15], v[10:13], off offset:16
	global_store_b128 v[14:15], v[18:21], off offset:32
	;; [unrolled: 1-line block ×3, first 2 shown]
                                        ; implicit-def: $vgpr10_vgpr11
                                        ; implicit-def: $vgpr12_vgpr13
                                        ; implicit-def: $vgpr14_vgpr15
                                        ; implicit-def: $vgpr20_vgpr21
                                        ; implicit-def: $vgpr18_vgpr19
                                        ; implicit-def: $vgpr7_vgpr8
                                        ; implicit-def: $vgpr3_vgpr4
.LBB117_19:
	s_wait_alu 0xfffe
	s_and_not1_saveexec_b32 s2, s2
	s_cbranch_execz .LBB117_21
; %bb.20:
	v_lshlrev_b32_e32 v26, 2, v9
	v_mul_f64_e64 v[44:45], v[24:25], -v[3:4]
	v_mul_f64_e32 v[24:25], v[1:2], v[24:25]
	v_mul_f64_e64 v[46:47], v[22:23], -v[3:4]
	v_mul_f64_e32 v[22:23], v[1:2], v[22:23]
	v_ashrrev_i32_e32 v27, 31, v26
	v_mul_f64_e64 v[48:49], v[20:21], -v[3:4]
	v_mul_f64_e32 v[20:21], v[1:2], v[20:21]
	v_mul_f64_e64 v[50:51], v[18:19], -v[3:4]
	v_mul_f64_e32 v[18:19], v[1:2], v[18:19]
	v_lshlrev_b64_e32 v[26:27], 4, v[26:27]
	s_wait_kmcnt 0x0
	s_delay_alu instid0(VALU_DEP_1) | instskip(SKIP_1) | instid1(VALU_DEP_2)
	v_add_co_u32 v42, vcc_lo, s0, v26
	s_wait_alu 0xfffd
	v_add_co_ci_u32_e64 v43, null, s1, v27, vcc_lo
	s_clause 0x3
	global_load_b128 v[26:29], v[42:43], off
	global_load_b128 v[30:33], v[42:43], off offset:16
	global_load_b128 v[34:37], v[42:43], off offset:32
	global_load_b128 v[38:41], v[42:43], off offset:48
	v_fma_f64 v[44:45], v[1:2], v[10:11], v[44:45]
	v_fma_f64 v[9:10], v[3:4], v[10:11], v[24:25]
	;; [unrolled: 1-line block ×8, first 2 shown]
	s_wait_loadcnt 0x3
	v_fma_f64 v[15:16], v[5:6], v[26:27], v[44:45]
	v_fma_f64 v[9:10], v[7:8], v[26:27], v[9:10]
	s_wait_loadcnt 0x2
	v_fma_f64 v[17:18], v[5:6], v[30:31], v[24:25]
	v_fma_f64 v[11:12], v[7:8], v[30:31], v[11:12]
	;; [unrolled: 3-line block ×4, first 2 shown]
	v_fma_f64 v[0:1], -v[7:8], v[28:29], v[15:16]
	v_fma_f64 v[2:3], v[5:6], v[28:29], v[9:10]
	v_fma_f64 v[9:10], -v[7:8], v[32:33], v[17:18]
	v_fma_f64 v[11:12], v[5:6], v[32:33], v[11:12]
	;; [unrolled: 2-line block ×4, first 2 shown]
	s_clause 0x3
	global_store_b128 v[42:43], v[0:3], off
	global_store_b128 v[42:43], v[9:12], off offset:16
	global_store_b128 v[42:43], v[13:16], off offset:32
	global_store_b128 v[42:43], v[17:20], off offset:48
.LBB117_21:
	s_endpgm
	.section	.rodata,"a",@progbits
	.p2align	6, 0x0
	.amdhsa_kernel _ZN9rocsparseL19gebsrmvn_4xn_kernelILj128ELj2ELj8E21rocsparse_complex_numIdEEEvi20rocsparse_direction_NS_24const_host_device_scalarIT2_EEPKiS8_PKS5_SA_S6_PS5_21rocsparse_index_base_b
		.amdhsa_group_segment_fixed_size 0
		.amdhsa_private_segment_fixed_size 0
		.amdhsa_kernarg_size 88
		.amdhsa_user_sgpr_count 2
		.amdhsa_user_sgpr_dispatch_ptr 0
		.amdhsa_user_sgpr_queue_ptr 0
		.amdhsa_user_sgpr_kernarg_segment_ptr 1
		.amdhsa_user_sgpr_dispatch_id 0
		.amdhsa_user_sgpr_private_segment_size 0
		.amdhsa_wavefront_size32 1
		.amdhsa_uses_dynamic_stack 0
		.amdhsa_enable_private_segment 0
		.amdhsa_system_sgpr_workgroup_id_x 1
		.amdhsa_system_sgpr_workgroup_id_y 0
		.amdhsa_system_sgpr_workgroup_id_z 0
		.amdhsa_system_sgpr_workgroup_info 0
		.amdhsa_system_vgpr_workitem_id 0
		.amdhsa_next_free_vgpr 73
		.amdhsa_next_free_sgpr 14
		.amdhsa_reserve_vcc 1
		.amdhsa_float_round_mode_32 0
		.amdhsa_float_round_mode_16_64 0
		.amdhsa_float_denorm_mode_32 3
		.amdhsa_float_denorm_mode_16_64 3
		.amdhsa_fp16_overflow 0
		.amdhsa_workgroup_processor_mode 1
		.amdhsa_memory_ordered 1
		.amdhsa_forward_progress 1
		.amdhsa_inst_pref_size 25
		.amdhsa_round_robin_scheduling 0
		.amdhsa_exception_fp_ieee_invalid_op 0
		.amdhsa_exception_fp_denorm_src 0
		.amdhsa_exception_fp_ieee_div_zero 0
		.amdhsa_exception_fp_ieee_overflow 0
		.amdhsa_exception_fp_ieee_underflow 0
		.amdhsa_exception_fp_ieee_inexact 0
		.amdhsa_exception_int_div_zero 0
	.end_amdhsa_kernel
	.section	.text._ZN9rocsparseL19gebsrmvn_4xn_kernelILj128ELj2ELj8E21rocsparse_complex_numIdEEEvi20rocsparse_direction_NS_24const_host_device_scalarIT2_EEPKiS8_PKS5_SA_S6_PS5_21rocsparse_index_base_b,"axG",@progbits,_ZN9rocsparseL19gebsrmvn_4xn_kernelILj128ELj2ELj8E21rocsparse_complex_numIdEEEvi20rocsparse_direction_NS_24const_host_device_scalarIT2_EEPKiS8_PKS5_SA_S6_PS5_21rocsparse_index_base_b,comdat
.Lfunc_end117:
	.size	_ZN9rocsparseL19gebsrmvn_4xn_kernelILj128ELj2ELj8E21rocsparse_complex_numIdEEEvi20rocsparse_direction_NS_24const_host_device_scalarIT2_EEPKiS8_PKS5_SA_S6_PS5_21rocsparse_index_base_b, .Lfunc_end117-_ZN9rocsparseL19gebsrmvn_4xn_kernelILj128ELj2ELj8E21rocsparse_complex_numIdEEEvi20rocsparse_direction_NS_24const_host_device_scalarIT2_EEPKiS8_PKS5_SA_S6_PS5_21rocsparse_index_base_b
                                        ; -- End function
	.set _ZN9rocsparseL19gebsrmvn_4xn_kernelILj128ELj2ELj8E21rocsparse_complex_numIdEEEvi20rocsparse_direction_NS_24const_host_device_scalarIT2_EEPKiS8_PKS5_SA_S6_PS5_21rocsparse_index_base_b.num_vgpr, 73
	.set _ZN9rocsparseL19gebsrmvn_4xn_kernelILj128ELj2ELj8E21rocsparse_complex_numIdEEEvi20rocsparse_direction_NS_24const_host_device_scalarIT2_EEPKiS8_PKS5_SA_S6_PS5_21rocsparse_index_base_b.num_agpr, 0
	.set _ZN9rocsparseL19gebsrmvn_4xn_kernelILj128ELj2ELj8E21rocsparse_complex_numIdEEEvi20rocsparse_direction_NS_24const_host_device_scalarIT2_EEPKiS8_PKS5_SA_S6_PS5_21rocsparse_index_base_b.numbered_sgpr, 14
	.set _ZN9rocsparseL19gebsrmvn_4xn_kernelILj128ELj2ELj8E21rocsparse_complex_numIdEEEvi20rocsparse_direction_NS_24const_host_device_scalarIT2_EEPKiS8_PKS5_SA_S6_PS5_21rocsparse_index_base_b.num_named_barrier, 0
	.set _ZN9rocsparseL19gebsrmvn_4xn_kernelILj128ELj2ELj8E21rocsparse_complex_numIdEEEvi20rocsparse_direction_NS_24const_host_device_scalarIT2_EEPKiS8_PKS5_SA_S6_PS5_21rocsparse_index_base_b.private_seg_size, 0
	.set _ZN9rocsparseL19gebsrmvn_4xn_kernelILj128ELj2ELj8E21rocsparse_complex_numIdEEEvi20rocsparse_direction_NS_24const_host_device_scalarIT2_EEPKiS8_PKS5_SA_S6_PS5_21rocsparse_index_base_b.uses_vcc, 1
	.set _ZN9rocsparseL19gebsrmvn_4xn_kernelILj128ELj2ELj8E21rocsparse_complex_numIdEEEvi20rocsparse_direction_NS_24const_host_device_scalarIT2_EEPKiS8_PKS5_SA_S6_PS5_21rocsparse_index_base_b.uses_flat_scratch, 0
	.set _ZN9rocsparseL19gebsrmvn_4xn_kernelILj128ELj2ELj8E21rocsparse_complex_numIdEEEvi20rocsparse_direction_NS_24const_host_device_scalarIT2_EEPKiS8_PKS5_SA_S6_PS5_21rocsparse_index_base_b.has_dyn_sized_stack, 0
	.set _ZN9rocsparseL19gebsrmvn_4xn_kernelILj128ELj2ELj8E21rocsparse_complex_numIdEEEvi20rocsparse_direction_NS_24const_host_device_scalarIT2_EEPKiS8_PKS5_SA_S6_PS5_21rocsparse_index_base_b.has_recursion, 0
	.set _ZN9rocsparseL19gebsrmvn_4xn_kernelILj128ELj2ELj8E21rocsparse_complex_numIdEEEvi20rocsparse_direction_NS_24const_host_device_scalarIT2_EEPKiS8_PKS5_SA_S6_PS5_21rocsparse_index_base_b.has_indirect_call, 0
	.section	.AMDGPU.csdata,"",@progbits
; Kernel info:
; codeLenInByte = 3112
; TotalNumSgprs: 16
; NumVgprs: 73
; ScratchSize: 0
; MemoryBound: 0
; FloatMode: 240
; IeeeMode: 1
; LDSByteSize: 0 bytes/workgroup (compile time only)
; SGPRBlocks: 0
; VGPRBlocks: 9
; NumSGPRsForWavesPerEU: 16
; NumVGPRsForWavesPerEU: 73
; Occupancy: 16
; WaveLimiterHint : 1
; COMPUTE_PGM_RSRC2:SCRATCH_EN: 0
; COMPUTE_PGM_RSRC2:USER_SGPR: 2
; COMPUTE_PGM_RSRC2:TRAP_HANDLER: 0
; COMPUTE_PGM_RSRC2:TGID_X_EN: 1
; COMPUTE_PGM_RSRC2:TGID_Y_EN: 0
; COMPUTE_PGM_RSRC2:TGID_Z_EN: 0
; COMPUTE_PGM_RSRC2:TIDIG_COMP_CNT: 0
	.section	.text._ZN9rocsparseL19gebsrmvn_4xn_kernelILj128ELj2ELj16E21rocsparse_complex_numIdEEEvi20rocsparse_direction_NS_24const_host_device_scalarIT2_EEPKiS8_PKS5_SA_S6_PS5_21rocsparse_index_base_b,"axG",@progbits,_ZN9rocsparseL19gebsrmvn_4xn_kernelILj128ELj2ELj16E21rocsparse_complex_numIdEEEvi20rocsparse_direction_NS_24const_host_device_scalarIT2_EEPKiS8_PKS5_SA_S6_PS5_21rocsparse_index_base_b,comdat
	.globl	_ZN9rocsparseL19gebsrmvn_4xn_kernelILj128ELj2ELj16E21rocsparse_complex_numIdEEEvi20rocsparse_direction_NS_24const_host_device_scalarIT2_EEPKiS8_PKS5_SA_S6_PS5_21rocsparse_index_base_b ; -- Begin function _ZN9rocsparseL19gebsrmvn_4xn_kernelILj128ELj2ELj16E21rocsparse_complex_numIdEEEvi20rocsparse_direction_NS_24const_host_device_scalarIT2_EEPKiS8_PKS5_SA_S6_PS5_21rocsparse_index_base_b
	.p2align	8
	.type	_ZN9rocsparseL19gebsrmvn_4xn_kernelILj128ELj2ELj16E21rocsparse_complex_numIdEEEvi20rocsparse_direction_NS_24const_host_device_scalarIT2_EEPKiS8_PKS5_SA_S6_PS5_21rocsparse_index_base_b,@function
_ZN9rocsparseL19gebsrmvn_4xn_kernelILj128ELj2ELj16E21rocsparse_complex_numIdEEEvi20rocsparse_direction_NS_24const_host_device_scalarIT2_EEPKiS8_PKS5_SA_S6_PS5_21rocsparse_index_base_b: ; @_ZN9rocsparseL19gebsrmvn_4xn_kernelILj128ELj2ELj16E21rocsparse_complex_numIdEEEvi20rocsparse_direction_NS_24const_host_device_scalarIT2_EEPKiS8_PKS5_SA_S6_PS5_21rocsparse_index_base_b
; %bb.0:
	s_clause 0x1
	s_load_b64 s[12:13], s[0:1], 0x50
	s_load_b64 s[2:3], s[0:1], 0x8
	s_add_nc_u64 s[4:5], s[0:1], 8
	s_load_b64 s[6:7], s[0:1], 0x38
	s_wait_kmcnt 0x0
	s_bitcmp1_b32 s13, 0
	s_cselect_b32 s2, s4, s2
	s_cselect_b32 s3, s5, s3
	s_delay_alu instid0(SALU_CYCLE_1)
	v_dual_mov_b32 v1, s2 :: v_dual_mov_b32 v2, s3
	s_add_nc_u64 s[2:3], s[0:1], 56
	s_wait_alu 0xfffe
	s_cselect_b32 s2, s2, s6
	s_cselect_b32 s3, s3, s7
	flat_load_b128 v[1:4], v[1:2]
	s_wait_alu 0xfffe
	v_dual_mov_b32 v5, s2 :: v_dual_mov_b32 v6, s3
	flat_load_b128 v[5:8], v[5:6]
	s_wait_loadcnt_dscnt 0x101
	v_cmp_eq_f64_e32 vcc_lo, 0, v[1:2]
	v_cmp_eq_f64_e64 s2, 0, v[3:4]
	s_and_b32 s4, vcc_lo, s2
	s_mov_b32 s2, -1
	s_and_saveexec_b32 s3, s4
	s_cbranch_execz .LBB118_2
; %bb.1:
	s_wait_loadcnt_dscnt 0x0
	v_cmp_neq_f64_e32 vcc_lo, 1.0, v[5:6]
	v_cmp_neq_f64_e64 s2, 0, v[7:8]
	s_wait_alu 0xfffe
	s_or_b32 s2, vcc_lo, s2
	s_wait_alu 0xfffe
	s_or_not1_b32 s2, s2, exec_lo
.LBB118_2:
	s_wait_alu 0xfffe
	s_or_b32 exec_lo, exec_lo, s3
	s_and_saveexec_b32 s3, s2
	s_cbranch_execz .LBB118_21
; %bb.3:
	s_load_b64 s[2:3], s[0:1], 0x0
	v_lshrrev_b32_e32 v9, 4, v0
	s_delay_alu instid0(VALU_DEP_1) | instskip(SKIP_1) | instid1(VALU_DEP_1)
	v_lshl_or_b32 v9, ttmp9, 3, v9
	s_wait_kmcnt 0x0
	v_cmp_gt_i32_e32 vcc_lo, s2, v9
	s_and_b32 exec_lo, exec_lo, vcc_lo
	s_cbranch_execz .LBB118_21
; %bb.4:
	s_load_b256 s[4:11], s[0:1], 0x18
	v_ashrrev_i32_e32 v10, 31, v9
	v_and_b32_e32 v0, 15, v0
	s_cmp_lg_u32 s3, 0
	s_delay_alu instid0(VALU_DEP_2) | instskip(SKIP_1) | instid1(VALU_DEP_1)
	v_lshlrev_b64_e32 v[10:11], 2, v[9:10]
	s_wait_kmcnt 0x0
	v_add_co_u32 v10, vcc_lo, s4, v10
	s_delay_alu instid0(VALU_DEP_1) | instskip(SKIP_4) | instid1(VALU_DEP_2)
	v_add_co_ci_u32_e64 v11, null, s5, v11, vcc_lo
	global_load_b64 v[10:11], v[10:11], off
	s_wait_loadcnt 0x0
	v_subrev_nc_u32_e32 v10, s12, v10
	v_subrev_nc_u32_e32 v31, s12, v11
	v_add_nc_u32_e32 v26, v10, v0
	s_delay_alu instid0(VALU_DEP_1)
	v_cmp_lt_i32_e64 s2, v26, v31
	s_cbranch_scc0 .LBB118_10
; %bb.5:
	v_mov_b32_e32 v10, 0
	v_mov_b32_e32 v12, 0
	;; [unrolled: 1-line block ×3, first 2 shown]
	v_dual_mov_b32 v22, 0 :: v_dual_mov_b32 v11, 0
	v_dual_mov_b32 v20, 0 :: v_dual_mov_b32 v13, 0
	;; [unrolled: 1-line block ×5, first 2 shown]
	v_mov_b32_e32 v15, 0
	v_mov_b32_e32 v19, 0
	;; [unrolled: 1-line block ×3, first 2 shown]
	s_and_saveexec_b32 s3, s2
	s_cbranch_execz .LBB118_9
; %bb.6:
	v_mov_b32_e32 v20, 0
	v_mov_b32_e32 v14, 0
	v_dual_mov_b32 v18, 0 :: v_dual_lshlrev_b32 v27, 3, v26
	v_dual_mov_b32 v10, 0 :: v_dual_mov_b32 v21, 0
	v_dual_mov_b32 v12, 0 :: v_dual_mov_b32 v15, 0
	;; [unrolled: 1-line block ×3, first 2 shown]
	v_mov_b32_e32 v22, 0
	v_dual_mov_b32 v24, 0 :: v_dual_mov_b32 v29, v26
	v_dual_mov_b32 v11, 0 :: v_dual_mov_b32 v28, 0
	v_mov_b32_e32 v13, 0
	v_mov_b32_e32 v17, 0
	;; [unrolled: 1-line block ×4, first 2 shown]
	s_mov_b32 s4, 0
.LBB118_7:                              ; =>This Inner Loop Header: Depth=1
	v_ashrrev_i32_e32 v30, 31, v29
	s_delay_alu instid0(VALU_DEP_1) | instskip(SKIP_1) | instid1(VALU_DEP_2)
	v_lshlrev_b64_e32 v[32:33], 2, v[29:30]
	v_add_nc_u32_e32 v29, 16, v29
	v_add_co_u32 v32, vcc_lo, s6, v32
	s_wait_alu 0xfffd
	s_delay_alu instid0(VALU_DEP_3) | instskip(SKIP_3) | instid1(VALU_DEP_2)
	v_add_co_ci_u32_e64 v33, null, s7, v33, vcc_lo
	global_load_b32 v30, v[32:33], off
	v_lshlrev_b64_e32 v[32:33], 4, v[27:28]
	v_add_nc_u32_e32 v27, 0x80, v27
	v_add_co_u32 v68, vcc_lo, s8, v32
	s_wait_alu 0xfffd
	s_delay_alu instid0(VALU_DEP_3)
	v_add_co_ci_u32_e64 v69, null, s9, v33, vcc_lo
	s_clause 0x3
	global_load_b128 v[32:35], v[68:69], off offset:48
	global_load_b128 v[36:39], v[68:69], off offset:32
	;; [unrolled: 1-line block ×3, first 2 shown]
	global_load_b128 v[44:47], v[68:69], off
	s_wait_loadcnt 0x4
	v_subrev_nc_u32_e32 v30, s12, v30
	s_delay_alu instid0(VALU_DEP_1) | instskip(NEXT) | instid1(VALU_DEP_1)
	v_dual_mov_b32 v49, v28 :: v_dual_lshlrev_b32 v48, 1, v30
	v_lshlrev_b64_e32 v[48:49], 4, v[48:49]
	s_delay_alu instid0(VALU_DEP_1) | instskip(SKIP_1) | instid1(VALU_DEP_2)
	v_add_co_u32 v52, vcc_lo, s10, v48
	s_wait_alu 0xfffd
	v_add_co_ci_u32_e64 v53, null, s11, v49, vcc_lo
	v_cmp_ge_i32_e32 vcc_lo, v29, v31
	s_clause 0x1
	global_load_b128 v[48:51], v[52:53], off
	global_load_b128 v[52:55], v[52:53], off offset:16
	s_clause 0x3
	global_load_b128 v[56:59], v[68:69], off offset:64
	global_load_b128 v[60:63], v[68:69], off offset:80
	;; [unrolled: 1-line block ×4, first 2 shown]
	s_wait_alu 0xfffe
	s_or_b32 s4, vcc_lo, s4
	s_wait_loadcnt 0x5
	v_fma_f64 v[20:21], v[44:45], v[48:49], v[20:21]
	v_fma_f64 v[10:11], v[46:47], v[48:49], v[10:11]
	;; [unrolled: 1-line block ×8, first 2 shown]
	v_fma_f64 v[20:21], -v[46:47], v[50:51], v[20:21]
	v_fma_f64 v[10:11], v[44:45], v[50:51], v[10:11]
	v_fma_f64 v[22:23], -v[42:43], v[50:51], v[22:23]
	v_fma_f64 v[24:25], v[40:41], v[50:51], v[24:25]
	;; [unrolled: 2-line block ×4, first 2 shown]
	s_wait_loadcnt 0x3
	v_fma_f64 v[20:21], v[56:57], v[52:53], v[20:21]
	v_fma_f64 v[10:11], v[58:59], v[52:53], v[10:11]
	s_wait_loadcnt 0x2
	v_fma_f64 v[22:23], v[60:61], v[52:53], v[22:23]
	v_fma_f64 v[24:25], v[62:63], v[52:53], v[24:25]
	;; [unrolled: 3-line block ×4, first 2 shown]
	v_fma_f64 v[20:21], -v[58:59], v[54:55], v[20:21]
	v_fma_f64 v[10:11], v[56:57], v[54:55], v[10:11]
	v_fma_f64 v[22:23], -v[62:63], v[54:55], v[22:23]
	v_fma_f64 v[24:25], v[60:61], v[54:55], v[24:25]
	v_fma_f64 v[16:17], -v[66:67], v[54:55], v[16:17]
	v_fma_f64 v[18:19], v[64:65], v[54:55], v[18:19]
	v_fma_f64 v[12:13], -v[70:71], v[54:55], v[12:13]
	v_fma_f64 v[14:15], v[68:69], v[54:55], v[14:15]
	s_wait_alu 0xfffe
	s_and_not1_b32 exec_lo, exec_lo, s4
	s_cbranch_execnz .LBB118_7
; %bb.8:
	s_or_b32 exec_lo, exec_lo, s4
.LBB118_9:
	s_wait_alu 0xfffe
	s_or_b32 exec_lo, exec_lo, s3
	s_cbranch_execz .LBB118_11
	s_branch .LBB118_16
.LBB118_10:
                                        ; implicit-def: $vgpr10_vgpr11
                                        ; implicit-def: $vgpr20_vgpr21
                                        ; implicit-def: $vgpr12_vgpr13
                                        ; implicit-def: $vgpr14_vgpr15
                                        ; implicit-def: $vgpr16_vgpr17
                                        ; implicit-def: $vgpr18_vgpr19
                                        ; implicit-def: $vgpr22_vgpr23
                                        ; implicit-def: $vgpr24_vgpr25
.LBB118_11:
	v_mov_b32_e32 v10, 0
	v_mov_b32_e32 v12, 0
	;; [unrolled: 1-line block ×3, first 2 shown]
	v_dual_mov_b32 v22, 0 :: v_dual_mov_b32 v11, 0
	v_dual_mov_b32 v20, 0 :: v_dual_mov_b32 v13, 0
	;; [unrolled: 1-line block ×5, first 2 shown]
	v_mov_b32_e32 v15, 0
	v_mov_b32_e32 v19, 0
	;; [unrolled: 1-line block ×3, first 2 shown]
	s_and_saveexec_b32 s3, s2
	s_cbranch_execz .LBB118_15
; %bb.12:
	v_mov_b32_e32 v10, 0
	v_mov_b32_e32 v20, 0
	;; [unrolled: 1-line block ×7, first 2 shown]
	v_dual_mov_b32 v24, 0 :: v_dual_mov_b32 v29, 0
	v_dual_mov_b32 v11, 0 :: v_dual_lshlrev_b32 v28, 3, v26
	v_mov_b32_e32 v21, 0
	v_mov_b32_e32 v13, 0
	;; [unrolled: 1-line block ×7, first 2 shown]
	s_mov_b32 s2, 0
.LBB118_13:                             ; =>This Inner Loop Header: Depth=1
	v_ashrrev_i32_e32 v27, 31, v26
	s_delay_alu instid0(VALU_DEP_1) | instskip(SKIP_1) | instid1(VALU_DEP_2)
	v_lshlrev_b64_e32 v[32:33], 2, v[26:27]
	v_add_nc_u32_e32 v26, 16, v26
	v_add_co_u32 v32, vcc_lo, s6, v32
	s_wait_alu 0xfffd
	s_delay_alu instid0(VALU_DEP_3) | instskip(SKIP_3) | instid1(VALU_DEP_2)
	v_add_co_ci_u32_e64 v33, null, s7, v33, vcc_lo
	global_load_b32 v27, v[32:33], off
	v_lshlrev_b64_e32 v[32:33], 4, v[28:29]
	v_add_nc_u32_e32 v28, 0x80, v28
	v_add_co_u32 v60, vcc_lo, s8, v32
	s_wait_alu 0xfffd
	s_delay_alu instid0(VALU_DEP_3)
	v_add_co_ci_u32_e64 v61, null, s9, v33, vcc_lo
	s_clause 0x7
	global_load_b128 v[32:35], v[60:61], off offset:48
	global_load_b128 v[36:39], v[60:61], off offset:32
	;; [unrolled: 1-line block ×3, first 2 shown]
	global_load_b128 v[44:47], v[60:61], off
	global_load_b128 v[48:51], v[60:61], off offset:112
	global_load_b128 v[52:55], v[60:61], off offset:96
	;; [unrolled: 1-line block ×4, first 2 shown]
	s_wait_loadcnt 0x8
	v_subrev_nc_u32_e32 v27, s12, v27
	s_delay_alu instid0(VALU_DEP_1) | instskip(NEXT) | instid1(VALU_DEP_1)
	v_dual_mov_b32 v65, v29 :: v_dual_lshlrev_b32 v64, 1, v27
	v_lshlrev_b64_e32 v[64:65], 4, v[64:65]
	s_delay_alu instid0(VALU_DEP_1) | instskip(SKIP_1) | instid1(VALU_DEP_2)
	v_add_co_u32 v68, vcc_lo, s10, v64
	s_wait_alu 0xfffd
	v_add_co_ci_u32_e64 v69, null, s11, v65, vcc_lo
	v_cmp_ge_i32_e32 vcc_lo, v26, v31
	s_clause 0x1
	global_load_b128 v[64:67], v[68:69], off
	global_load_b128 v[68:71], v[68:69], off offset:16
	s_wait_alu 0xfffe
	s_or_b32 s2, vcc_lo, s2
	s_wait_loadcnt 0x1
	v_fma_f64 v[20:21], v[44:45], v[64:65], v[20:21]
	v_fma_f64 v[10:11], v[46:47], v[64:65], v[10:11]
	;; [unrolled: 1-line block ×8, first 2 shown]
	v_fma_f64 v[20:21], -v[46:47], v[66:67], v[20:21]
	v_fma_f64 v[10:11], v[44:45], v[66:67], v[10:11]
	v_fma_f64 v[22:23], -v[38:39], v[66:67], v[22:23]
	v_fma_f64 v[24:25], v[36:37], v[66:67], v[24:25]
	;; [unrolled: 2-line block ×4, first 2 shown]
	s_wait_loadcnt 0x0
	v_fma_f64 v[20:21], v[40:41], v[68:69], v[20:21]
	v_fma_f64 v[10:11], v[42:43], v[68:69], v[10:11]
	;; [unrolled: 1-line block ×8, first 2 shown]
	v_fma_f64 v[20:21], -v[42:43], v[70:71], v[20:21]
	v_fma_f64 v[10:11], v[40:41], v[70:71], v[10:11]
	v_fma_f64 v[22:23], -v[34:35], v[70:71], v[22:23]
	v_fma_f64 v[24:25], v[32:33], v[70:71], v[24:25]
	;; [unrolled: 2-line block ×4, first 2 shown]
	s_wait_alu 0xfffe
	s_and_not1_b32 exec_lo, exec_lo, s2
	s_cbranch_execnz .LBB118_13
; %bb.14:
	s_or_b32 exec_lo, exec_lo, s2
.LBB118_15:
	s_wait_alu 0xfffe
	s_or_b32 exec_lo, exec_lo, s3
.LBB118_16:
	v_mbcnt_lo_u32_b32 v44, -1, 0
	s_delay_alu instid0(VALU_DEP_1) | instskip(NEXT) | instid1(VALU_DEP_1)
	v_xor_b32_e32 v26, 8, v44
	v_cmp_gt_i32_e32 vcc_lo, 32, v26
	s_wait_alu 0xfffd
	v_cndmask_b32_e32 v26, v44, v26, vcc_lo
	s_delay_alu instid0(VALU_DEP_1)
	v_lshlrev_b32_e32 v41, 2, v26
	ds_bpermute_b32 v26, v41, v20
	ds_bpermute_b32 v27, v41, v21
	;; [unrolled: 1-line block ×16, first 2 shown]
	s_wait_dscnt 0xe
	v_add_f64_e32 v[20:21], v[20:21], v[26:27]
	v_xor_b32_e32 v26, 4, v44
	s_wait_dscnt 0xc
	v_add_f64_e32 v[10:11], v[10:11], v[28:29]
	s_wait_dscnt 0xa
	v_add_f64_e32 v[22:23], v[22:23], v[30:31]
	s_wait_dscnt 0x8
	v_add_f64_e32 v[24:25], v[24:25], v[32:33]
	v_cmp_gt_i32_e32 vcc_lo, 32, v26
	s_wait_dscnt 0x6
	v_add_f64_e32 v[16:17], v[16:17], v[34:35]
	s_wait_dscnt 0x4
	v_add_f64_e32 v[18:19], v[18:19], v[36:37]
	;; [unrolled: 2-line block ×3, first 2 shown]
	s_wait_alu 0xfffd
	v_cndmask_b32_e32 v26, v44, v26, vcc_lo
	s_wait_dscnt 0x0
	v_add_f64_e32 v[14:15], v[14:15], v[40:41]
	s_delay_alu instid0(VALU_DEP_2)
	v_lshlrev_b32_e32 v41, 2, v26
	ds_bpermute_b32 v26, v41, v20
	ds_bpermute_b32 v27, v41, v21
	;; [unrolled: 1-line block ×16, first 2 shown]
	s_wait_dscnt 0xe
	v_add_f64_e32 v[20:21], v[20:21], v[26:27]
	s_wait_dscnt 0xc
	v_add_f64_e32 v[26:27], v[10:11], v[28:29]
	v_xor_b32_e32 v10, 2, v44
	s_wait_dscnt 0xa
	v_add_f64_e32 v[22:23], v[22:23], v[30:31]
	s_wait_dscnt 0x8
	v_add_f64_e32 v[28:29], v[24:25], v[32:33]
	;; [unrolled: 2-line block ×3, first 2 shown]
	v_cmp_gt_i32_e32 vcc_lo, 32, v10
	s_wait_dscnt 0x4
	v_add_f64_e32 v[18:19], v[18:19], v[36:37]
	s_wait_dscnt 0x2
	v_add_f64_e32 v[30:31], v[12:13], v[38:39]
	;; [unrolled: 2-line block ×3, first 2 shown]
	s_wait_alu 0xfffd
	v_cndmask_b32_e32 v10, v44, v10, vcc_lo
	s_delay_alu instid0(VALU_DEP_1)
	v_lshlrev_b32_e32 v24, 2, v10
	ds_bpermute_b32 v10, v24, v20
	ds_bpermute_b32 v11, v24, v21
	;; [unrolled: 1-line block ×16, first 2 shown]
	s_wait_dscnt 0xe
	v_add_f64_e32 v[10:11], v[20:21], v[10:11]
	s_wait_dscnt 0xc
	v_add_f64_e32 v[24:25], v[26:27], v[12:13]
	v_xor_b32_e32 v26, 1, v44
	s_wait_dscnt 0xa
	v_add_f64_e32 v[12:13], v[22:23], v[14:15]
	s_wait_dscnt 0x8
	v_add_f64_e32 v[22:23], v[28:29], v[34:35]
	;; [unrolled: 2-line block ×3, first 2 shown]
	v_cmp_gt_i32_e32 vcc_lo, 32, v26
	s_wait_dscnt 0x4
	v_add_f64_e32 v[20:21], v[18:19], v[38:39]
	s_wait_dscnt 0x2
	v_add_f64_e32 v[16:17], v[30:31], v[40:41]
	;; [unrolled: 2-line block ×3, first 2 shown]
	s_wait_alu 0xfffd
	v_cndmask_b32_e32 v26, v44, v26, vcc_lo
	v_cmp_eq_u32_e32 vcc_lo, 15, v0
	s_delay_alu instid0(VALU_DEP_2)
	v_lshlrev_b32_e32 v29, 2, v26
	ds_bpermute_b32 v40, v29, v10
	ds_bpermute_b32 v41, v29, v11
	;; [unrolled: 1-line block ×16, first 2 shown]
	s_and_b32 exec_lo, exec_lo, vcc_lo
	s_cbranch_execz .LBB118_21
; %bb.17:
	v_cmp_eq_f64_e32 vcc_lo, 0, v[5:6]
	v_cmp_eq_f64_e64 s2, 0, v[7:8]
	s_wait_dscnt 0xe
	v_add_f64_e32 v[10:11], v[10:11], v[40:41]
	s_wait_dscnt 0xc
	v_add_f64_e32 v[24:25], v[24:25], v[38:39]
	;; [unrolled: 2-line block ×8, first 2 shown]
	s_load_b64 s[0:1], s[0:1], 0x48
	s_and_b32 s2, vcc_lo, s2
	s_wait_alu 0xfffe
	s_and_saveexec_b32 s3, s2
	s_wait_alu 0xfffe
	s_xor_b32 s2, exec_lo, s3
	s_cbranch_execz .LBB118_19
; %bb.18:
	v_mul_f64_e64 v[5:6], v[24:25], -v[3:4]
	v_mul_f64_e32 v[7:8], v[1:2], v[24:25]
	v_mul_f64_e64 v[24:25], v[22:23], -v[3:4]
	v_mul_f64_e32 v[22:23], v[1:2], v[22:23]
	;; [unrolled: 2-line block ×4, first 2 shown]
	v_fma_f64 v[5:6], v[1:2], v[10:11], v[5:6]
	v_fma_f64 v[7:8], v[3:4], v[10:11], v[7:8]
	;; [unrolled: 1-line block ×8, first 2 shown]
	v_lshlrev_b32_e32 v14, 2, v9
                                        ; implicit-def: $vgpr9
                                        ; implicit-def: $vgpr24_vgpr25
                                        ; implicit-def: $vgpr22_vgpr23
                                        ; implicit-def: $vgpr16_vgpr17
	s_delay_alu instid0(VALU_DEP_1) | instskip(NEXT) | instid1(VALU_DEP_1)
	v_ashrrev_i32_e32 v15, 31, v14
	v_lshlrev_b64_e32 v[14:15], 4, v[14:15]
	s_wait_kmcnt 0x0
	s_delay_alu instid0(VALU_DEP_1) | instskip(SKIP_1) | instid1(VALU_DEP_2)
	v_add_co_u32 v14, vcc_lo, s0, v14
	s_wait_alu 0xfffd
	v_add_co_ci_u32_e64 v15, null, s1, v15, vcc_lo
	s_clause 0x3
	global_store_b128 v[14:15], v[5:8], off
	global_store_b128 v[14:15], v[10:13], off offset:16
	global_store_b128 v[14:15], v[18:21], off offset:32
	;; [unrolled: 1-line block ×3, first 2 shown]
                                        ; implicit-def: $vgpr10_vgpr11
                                        ; implicit-def: $vgpr12_vgpr13
                                        ; implicit-def: $vgpr14_vgpr15
                                        ; implicit-def: $vgpr20_vgpr21
                                        ; implicit-def: $vgpr18_vgpr19
                                        ; implicit-def: $vgpr7_vgpr8
                                        ; implicit-def: $vgpr3_vgpr4
.LBB118_19:
	s_wait_alu 0xfffe
	s_and_not1_saveexec_b32 s2, s2
	s_cbranch_execz .LBB118_21
; %bb.20:
	v_lshlrev_b32_e32 v26, 2, v9
	v_mul_f64_e64 v[44:45], v[24:25], -v[3:4]
	v_mul_f64_e32 v[24:25], v[1:2], v[24:25]
	v_mul_f64_e64 v[46:47], v[22:23], -v[3:4]
	v_mul_f64_e32 v[22:23], v[1:2], v[22:23]
	v_ashrrev_i32_e32 v27, 31, v26
	v_mul_f64_e64 v[48:49], v[20:21], -v[3:4]
	v_mul_f64_e32 v[20:21], v[1:2], v[20:21]
	v_mul_f64_e64 v[50:51], v[18:19], -v[3:4]
	v_mul_f64_e32 v[18:19], v[1:2], v[18:19]
	v_lshlrev_b64_e32 v[26:27], 4, v[26:27]
	s_wait_kmcnt 0x0
	s_delay_alu instid0(VALU_DEP_1) | instskip(SKIP_1) | instid1(VALU_DEP_2)
	v_add_co_u32 v42, vcc_lo, s0, v26
	s_wait_alu 0xfffd
	v_add_co_ci_u32_e64 v43, null, s1, v27, vcc_lo
	s_clause 0x3
	global_load_b128 v[26:29], v[42:43], off
	global_load_b128 v[30:33], v[42:43], off offset:16
	global_load_b128 v[34:37], v[42:43], off offset:32
	;; [unrolled: 1-line block ×3, first 2 shown]
	v_fma_f64 v[44:45], v[1:2], v[10:11], v[44:45]
	v_fma_f64 v[9:10], v[3:4], v[10:11], v[24:25]
	;; [unrolled: 1-line block ×8, first 2 shown]
	s_wait_loadcnt 0x3
	v_fma_f64 v[15:16], v[5:6], v[26:27], v[44:45]
	v_fma_f64 v[9:10], v[7:8], v[26:27], v[9:10]
	s_wait_loadcnt 0x2
	v_fma_f64 v[17:18], v[5:6], v[30:31], v[24:25]
	v_fma_f64 v[11:12], v[7:8], v[30:31], v[11:12]
	;; [unrolled: 3-line block ×4, first 2 shown]
	v_fma_f64 v[0:1], -v[7:8], v[28:29], v[15:16]
	v_fma_f64 v[2:3], v[5:6], v[28:29], v[9:10]
	v_fma_f64 v[9:10], -v[7:8], v[32:33], v[17:18]
	v_fma_f64 v[11:12], v[5:6], v[32:33], v[11:12]
	;; [unrolled: 2-line block ×4, first 2 shown]
	s_clause 0x3
	global_store_b128 v[42:43], v[0:3], off
	global_store_b128 v[42:43], v[9:12], off offset:16
	global_store_b128 v[42:43], v[13:16], off offset:32
	;; [unrolled: 1-line block ×3, first 2 shown]
.LBB118_21:
	s_endpgm
	.section	.rodata,"a",@progbits
	.p2align	6, 0x0
	.amdhsa_kernel _ZN9rocsparseL19gebsrmvn_4xn_kernelILj128ELj2ELj16E21rocsparse_complex_numIdEEEvi20rocsparse_direction_NS_24const_host_device_scalarIT2_EEPKiS8_PKS5_SA_S6_PS5_21rocsparse_index_base_b
		.amdhsa_group_segment_fixed_size 0
		.amdhsa_private_segment_fixed_size 0
		.amdhsa_kernarg_size 88
		.amdhsa_user_sgpr_count 2
		.amdhsa_user_sgpr_dispatch_ptr 0
		.amdhsa_user_sgpr_queue_ptr 0
		.amdhsa_user_sgpr_kernarg_segment_ptr 1
		.amdhsa_user_sgpr_dispatch_id 0
		.amdhsa_user_sgpr_private_segment_size 0
		.amdhsa_wavefront_size32 1
		.amdhsa_uses_dynamic_stack 0
		.amdhsa_enable_private_segment 0
		.amdhsa_system_sgpr_workgroup_id_x 1
		.amdhsa_system_sgpr_workgroup_id_y 0
		.amdhsa_system_sgpr_workgroup_id_z 0
		.amdhsa_system_sgpr_workgroup_info 0
		.amdhsa_system_vgpr_workitem_id 0
		.amdhsa_next_free_vgpr 72
		.amdhsa_next_free_sgpr 14
		.amdhsa_reserve_vcc 1
		.amdhsa_float_round_mode_32 0
		.amdhsa_float_round_mode_16_64 0
		.amdhsa_float_denorm_mode_32 3
		.amdhsa_float_denorm_mode_16_64 3
		.amdhsa_fp16_overflow 0
		.amdhsa_workgroup_processor_mode 1
		.amdhsa_memory_ordered 1
		.amdhsa_forward_progress 1
		.amdhsa_inst_pref_size 27
		.amdhsa_round_robin_scheduling 0
		.amdhsa_exception_fp_ieee_invalid_op 0
		.amdhsa_exception_fp_denorm_src 0
		.amdhsa_exception_fp_ieee_div_zero 0
		.amdhsa_exception_fp_ieee_overflow 0
		.amdhsa_exception_fp_ieee_underflow 0
		.amdhsa_exception_fp_ieee_inexact 0
		.amdhsa_exception_int_div_zero 0
	.end_amdhsa_kernel
	.section	.text._ZN9rocsparseL19gebsrmvn_4xn_kernelILj128ELj2ELj16E21rocsparse_complex_numIdEEEvi20rocsparse_direction_NS_24const_host_device_scalarIT2_EEPKiS8_PKS5_SA_S6_PS5_21rocsparse_index_base_b,"axG",@progbits,_ZN9rocsparseL19gebsrmvn_4xn_kernelILj128ELj2ELj16E21rocsparse_complex_numIdEEEvi20rocsparse_direction_NS_24const_host_device_scalarIT2_EEPKiS8_PKS5_SA_S6_PS5_21rocsparse_index_base_b,comdat
.Lfunc_end118:
	.size	_ZN9rocsparseL19gebsrmvn_4xn_kernelILj128ELj2ELj16E21rocsparse_complex_numIdEEEvi20rocsparse_direction_NS_24const_host_device_scalarIT2_EEPKiS8_PKS5_SA_S6_PS5_21rocsparse_index_base_b, .Lfunc_end118-_ZN9rocsparseL19gebsrmvn_4xn_kernelILj128ELj2ELj16E21rocsparse_complex_numIdEEEvi20rocsparse_direction_NS_24const_host_device_scalarIT2_EEPKiS8_PKS5_SA_S6_PS5_21rocsparse_index_base_b
                                        ; -- End function
	.set _ZN9rocsparseL19gebsrmvn_4xn_kernelILj128ELj2ELj16E21rocsparse_complex_numIdEEEvi20rocsparse_direction_NS_24const_host_device_scalarIT2_EEPKiS8_PKS5_SA_S6_PS5_21rocsparse_index_base_b.num_vgpr, 72
	.set _ZN9rocsparseL19gebsrmvn_4xn_kernelILj128ELj2ELj16E21rocsparse_complex_numIdEEEvi20rocsparse_direction_NS_24const_host_device_scalarIT2_EEPKiS8_PKS5_SA_S6_PS5_21rocsparse_index_base_b.num_agpr, 0
	.set _ZN9rocsparseL19gebsrmvn_4xn_kernelILj128ELj2ELj16E21rocsparse_complex_numIdEEEvi20rocsparse_direction_NS_24const_host_device_scalarIT2_EEPKiS8_PKS5_SA_S6_PS5_21rocsparse_index_base_b.numbered_sgpr, 14
	.set _ZN9rocsparseL19gebsrmvn_4xn_kernelILj128ELj2ELj16E21rocsparse_complex_numIdEEEvi20rocsparse_direction_NS_24const_host_device_scalarIT2_EEPKiS8_PKS5_SA_S6_PS5_21rocsparse_index_base_b.num_named_barrier, 0
	.set _ZN9rocsparseL19gebsrmvn_4xn_kernelILj128ELj2ELj16E21rocsparse_complex_numIdEEEvi20rocsparse_direction_NS_24const_host_device_scalarIT2_EEPKiS8_PKS5_SA_S6_PS5_21rocsparse_index_base_b.private_seg_size, 0
	.set _ZN9rocsparseL19gebsrmvn_4xn_kernelILj128ELj2ELj16E21rocsparse_complex_numIdEEEvi20rocsparse_direction_NS_24const_host_device_scalarIT2_EEPKiS8_PKS5_SA_S6_PS5_21rocsparse_index_base_b.uses_vcc, 1
	.set _ZN9rocsparseL19gebsrmvn_4xn_kernelILj128ELj2ELj16E21rocsparse_complex_numIdEEEvi20rocsparse_direction_NS_24const_host_device_scalarIT2_EEPKiS8_PKS5_SA_S6_PS5_21rocsparse_index_base_b.uses_flat_scratch, 0
	.set _ZN9rocsparseL19gebsrmvn_4xn_kernelILj128ELj2ELj16E21rocsparse_complex_numIdEEEvi20rocsparse_direction_NS_24const_host_device_scalarIT2_EEPKiS8_PKS5_SA_S6_PS5_21rocsparse_index_base_b.has_dyn_sized_stack, 0
	.set _ZN9rocsparseL19gebsrmvn_4xn_kernelILj128ELj2ELj16E21rocsparse_complex_numIdEEEvi20rocsparse_direction_NS_24const_host_device_scalarIT2_EEPKiS8_PKS5_SA_S6_PS5_21rocsparse_index_base_b.has_recursion, 0
	.set _ZN9rocsparseL19gebsrmvn_4xn_kernelILj128ELj2ELj16E21rocsparse_complex_numIdEEEvi20rocsparse_direction_NS_24const_host_device_scalarIT2_EEPKiS8_PKS5_SA_S6_PS5_21rocsparse_index_base_b.has_indirect_call, 0
	.section	.AMDGPU.csdata,"",@progbits
; Kernel info:
; codeLenInByte = 3336
; TotalNumSgprs: 16
; NumVgprs: 72
; ScratchSize: 0
; MemoryBound: 0
; FloatMode: 240
; IeeeMode: 1
; LDSByteSize: 0 bytes/workgroup (compile time only)
; SGPRBlocks: 0
; VGPRBlocks: 8
; NumSGPRsForWavesPerEU: 16
; NumVGPRsForWavesPerEU: 72
; Occupancy: 16
; WaveLimiterHint : 1
; COMPUTE_PGM_RSRC2:SCRATCH_EN: 0
; COMPUTE_PGM_RSRC2:USER_SGPR: 2
; COMPUTE_PGM_RSRC2:TRAP_HANDLER: 0
; COMPUTE_PGM_RSRC2:TGID_X_EN: 1
; COMPUTE_PGM_RSRC2:TGID_Y_EN: 0
; COMPUTE_PGM_RSRC2:TGID_Z_EN: 0
; COMPUTE_PGM_RSRC2:TIDIG_COMP_CNT: 0
	.section	.text._ZN9rocsparseL19gebsrmvn_4xn_kernelILj128ELj2ELj32E21rocsparse_complex_numIdEEEvi20rocsparse_direction_NS_24const_host_device_scalarIT2_EEPKiS8_PKS5_SA_S6_PS5_21rocsparse_index_base_b,"axG",@progbits,_ZN9rocsparseL19gebsrmvn_4xn_kernelILj128ELj2ELj32E21rocsparse_complex_numIdEEEvi20rocsparse_direction_NS_24const_host_device_scalarIT2_EEPKiS8_PKS5_SA_S6_PS5_21rocsparse_index_base_b,comdat
	.globl	_ZN9rocsparseL19gebsrmvn_4xn_kernelILj128ELj2ELj32E21rocsparse_complex_numIdEEEvi20rocsparse_direction_NS_24const_host_device_scalarIT2_EEPKiS8_PKS5_SA_S6_PS5_21rocsparse_index_base_b ; -- Begin function _ZN9rocsparseL19gebsrmvn_4xn_kernelILj128ELj2ELj32E21rocsparse_complex_numIdEEEvi20rocsparse_direction_NS_24const_host_device_scalarIT2_EEPKiS8_PKS5_SA_S6_PS5_21rocsparse_index_base_b
	.p2align	8
	.type	_ZN9rocsparseL19gebsrmvn_4xn_kernelILj128ELj2ELj32E21rocsparse_complex_numIdEEEvi20rocsparse_direction_NS_24const_host_device_scalarIT2_EEPKiS8_PKS5_SA_S6_PS5_21rocsparse_index_base_b,@function
_ZN9rocsparseL19gebsrmvn_4xn_kernelILj128ELj2ELj32E21rocsparse_complex_numIdEEEvi20rocsparse_direction_NS_24const_host_device_scalarIT2_EEPKiS8_PKS5_SA_S6_PS5_21rocsparse_index_base_b: ; @_ZN9rocsparseL19gebsrmvn_4xn_kernelILj128ELj2ELj32E21rocsparse_complex_numIdEEEvi20rocsparse_direction_NS_24const_host_device_scalarIT2_EEPKiS8_PKS5_SA_S6_PS5_21rocsparse_index_base_b
; %bb.0:
	s_clause 0x1
	s_load_b64 s[12:13], s[0:1], 0x50
	s_load_b64 s[2:3], s[0:1], 0x8
	s_add_nc_u64 s[4:5], s[0:1], 8
	s_load_b64 s[6:7], s[0:1], 0x38
	s_wait_kmcnt 0x0
	s_bitcmp1_b32 s13, 0
	s_cselect_b32 s2, s4, s2
	s_cselect_b32 s3, s5, s3
	s_delay_alu instid0(SALU_CYCLE_1)
	v_dual_mov_b32 v1, s2 :: v_dual_mov_b32 v2, s3
	s_add_nc_u64 s[2:3], s[0:1], 56
	s_wait_alu 0xfffe
	s_cselect_b32 s2, s2, s6
	s_cselect_b32 s3, s3, s7
	flat_load_b128 v[1:4], v[1:2]
	s_wait_alu 0xfffe
	v_dual_mov_b32 v5, s2 :: v_dual_mov_b32 v6, s3
	flat_load_b128 v[5:8], v[5:6]
	s_wait_loadcnt_dscnt 0x101
	v_cmp_eq_f64_e32 vcc_lo, 0, v[1:2]
	v_cmp_eq_f64_e64 s2, 0, v[3:4]
	s_and_b32 s4, vcc_lo, s2
	s_mov_b32 s2, -1
	s_and_saveexec_b32 s3, s4
	s_cbranch_execz .LBB119_2
; %bb.1:
	s_wait_loadcnt_dscnt 0x0
	v_cmp_neq_f64_e32 vcc_lo, 1.0, v[5:6]
	v_cmp_neq_f64_e64 s2, 0, v[7:8]
	s_wait_alu 0xfffe
	s_or_b32 s2, vcc_lo, s2
	s_wait_alu 0xfffe
	s_or_not1_b32 s2, s2, exec_lo
.LBB119_2:
	s_wait_alu 0xfffe
	s_or_b32 exec_lo, exec_lo, s3
	s_and_saveexec_b32 s3, s2
	s_cbranch_execz .LBB119_21
; %bb.3:
	s_load_b64 s[2:3], s[0:1], 0x0
	v_lshrrev_b32_e32 v9, 5, v0
	s_delay_alu instid0(VALU_DEP_1) | instskip(SKIP_1) | instid1(VALU_DEP_1)
	v_lshl_or_b32 v9, ttmp9, 2, v9
	s_wait_kmcnt 0x0
	v_cmp_gt_i32_e32 vcc_lo, s2, v9
	s_and_b32 exec_lo, exec_lo, vcc_lo
	s_cbranch_execz .LBB119_21
; %bb.4:
	s_load_b256 s[4:11], s[0:1], 0x18
	v_ashrrev_i32_e32 v10, 31, v9
	v_and_b32_e32 v0, 31, v0
	s_cmp_lg_u32 s3, 0
	s_delay_alu instid0(VALU_DEP_2) | instskip(SKIP_1) | instid1(VALU_DEP_1)
	v_lshlrev_b64_e32 v[10:11], 2, v[9:10]
	s_wait_kmcnt 0x0
	v_add_co_u32 v10, vcc_lo, s4, v10
	s_delay_alu instid0(VALU_DEP_1) | instskip(SKIP_4) | instid1(VALU_DEP_2)
	v_add_co_ci_u32_e64 v11, null, s5, v11, vcc_lo
	global_load_b64 v[10:11], v[10:11], off
	s_wait_loadcnt 0x0
	v_subrev_nc_u32_e32 v10, s12, v10
	v_subrev_nc_u32_e32 v31, s12, v11
	v_add_nc_u32_e32 v26, v10, v0
	s_delay_alu instid0(VALU_DEP_1)
	v_cmp_lt_i32_e64 s2, v26, v31
	s_cbranch_scc0 .LBB119_10
; %bb.5:
	v_mov_b32_e32 v10, 0
	v_mov_b32_e32 v12, 0
	;; [unrolled: 1-line block ×3, first 2 shown]
	v_dual_mov_b32 v22, 0 :: v_dual_mov_b32 v11, 0
	v_dual_mov_b32 v20, 0 :: v_dual_mov_b32 v13, 0
	;; [unrolled: 1-line block ×5, first 2 shown]
	v_mov_b32_e32 v15, 0
	v_mov_b32_e32 v19, 0
	;; [unrolled: 1-line block ×3, first 2 shown]
	s_and_saveexec_b32 s3, s2
	s_cbranch_execz .LBB119_9
; %bb.6:
	v_mov_b32_e32 v20, 0
	v_mov_b32_e32 v14, 0
	v_dual_mov_b32 v18, 0 :: v_dual_lshlrev_b32 v27, 3, v26
	v_dual_mov_b32 v10, 0 :: v_dual_mov_b32 v21, 0
	v_dual_mov_b32 v12, 0 :: v_dual_mov_b32 v15, 0
	;; [unrolled: 1-line block ×3, first 2 shown]
	v_mov_b32_e32 v22, 0
	v_dual_mov_b32 v24, 0 :: v_dual_mov_b32 v29, v26
	v_dual_mov_b32 v11, 0 :: v_dual_mov_b32 v28, 0
	v_mov_b32_e32 v13, 0
	v_mov_b32_e32 v17, 0
	;; [unrolled: 1-line block ×4, first 2 shown]
	s_mov_b32 s4, 0
.LBB119_7:                              ; =>This Inner Loop Header: Depth=1
	v_ashrrev_i32_e32 v30, 31, v29
	s_delay_alu instid0(VALU_DEP_1) | instskip(SKIP_1) | instid1(VALU_DEP_2)
	v_lshlrev_b64_e32 v[32:33], 2, v[29:30]
	v_add_nc_u32_e32 v29, 32, v29
	v_add_co_u32 v32, vcc_lo, s6, v32
	s_wait_alu 0xfffd
	s_delay_alu instid0(VALU_DEP_3) | instskip(SKIP_3) | instid1(VALU_DEP_2)
	v_add_co_ci_u32_e64 v33, null, s7, v33, vcc_lo
	global_load_b32 v30, v[32:33], off
	v_lshlrev_b64_e32 v[32:33], 4, v[27:28]
	v_add_nc_u32_e32 v27, 0x100, v27
	v_add_co_u32 v68, vcc_lo, s8, v32
	s_wait_alu 0xfffd
	s_delay_alu instid0(VALU_DEP_3)
	v_add_co_ci_u32_e64 v69, null, s9, v33, vcc_lo
	s_clause 0x3
	global_load_b128 v[32:35], v[68:69], off offset:48
	global_load_b128 v[36:39], v[68:69], off offset:32
	;; [unrolled: 1-line block ×3, first 2 shown]
	global_load_b128 v[44:47], v[68:69], off
	s_wait_loadcnt 0x4
	v_subrev_nc_u32_e32 v30, s12, v30
	s_delay_alu instid0(VALU_DEP_1) | instskip(NEXT) | instid1(VALU_DEP_1)
	v_dual_mov_b32 v49, v28 :: v_dual_lshlrev_b32 v48, 1, v30
	v_lshlrev_b64_e32 v[48:49], 4, v[48:49]
	s_delay_alu instid0(VALU_DEP_1) | instskip(SKIP_1) | instid1(VALU_DEP_2)
	v_add_co_u32 v52, vcc_lo, s10, v48
	s_wait_alu 0xfffd
	v_add_co_ci_u32_e64 v53, null, s11, v49, vcc_lo
	v_cmp_ge_i32_e32 vcc_lo, v29, v31
	s_clause 0x1
	global_load_b128 v[48:51], v[52:53], off
	global_load_b128 v[52:55], v[52:53], off offset:16
	s_clause 0x3
	global_load_b128 v[56:59], v[68:69], off offset:64
	global_load_b128 v[60:63], v[68:69], off offset:80
	;; [unrolled: 1-line block ×4, first 2 shown]
	s_wait_alu 0xfffe
	s_or_b32 s4, vcc_lo, s4
	s_wait_loadcnt 0x5
	v_fma_f64 v[20:21], v[44:45], v[48:49], v[20:21]
	v_fma_f64 v[10:11], v[46:47], v[48:49], v[10:11]
	;; [unrolled: 1-line block ×8, first 2 shown]
	v_fma_f64 v[20:21], -v[46:47], v[50:51], v[20:21]
	v_fma_f64 v[10:11], v[44:45], v[50:51], v[10:11]
	v_fma_f64 v[22:23], -v[42:43], v[50:51], v[22:23]
	v_fma_f64 v[24:25], v[40:41], v[50:51], v[24:25]
	;; [unrolled: 2-line block ×4, first 2 shown]
	s_wait_loadcnt 0x3
	v_fma_f64 v[20:21], v[56:57], v[52:53], v[20:21]
	v_fma_f64 v[10:11], v[58:59], v[52:53], v[10:11]
	s_wait_loadcnt 0x2
	v_fma_f64 v[22:23], v[60:61], v[52:53], v[22:23]
	v_fma_f64 v[24:25], v[62:63], v[52:53], v[24:25]
	;; [unrolled: 3-line block ×4, first 2 shown]
	v_fma_f64 v[20:21], -v[58:59], v[54:55], v[20:21]
	v_fma_f64 v[10:11], v[56:57], v[54:55], v[10:11]
	v_fma_f64 v[22:23], -v[62:63], v[54:55], v[22:23]
	v_fma_f64 v[24:25], v[60:61], v[54:55], v[24:25]
	;; [unrolled: 2-line block ×4, first 2 shown]
	s_wait_alu 0xfffe
	s_and_not1_b32 exec_lo, exec_lo, s4
	s_cbranch_execnz .LBB119_7
; %bb.8:
	s_or_b32 exec_lo, exec_lo, s4
.LBB119_9:
	s_wait_alu 0xfffe
	s_or_b32 exec_lo, exec_lo, s3
	s_cbranch_execz .LBB119_11
	s_branch .LBB119_16
.LBB119_10:
                                        ; implicit-def: $vgpr10_vgpr11
                                        ; implicit-def: $vgpr20_vgpr21
                                        ; implicit-def: $vgpr12_vgpr13
                                        ; implicit-def: $vgpr14_vgpr15
                                        ; implicit-def: $vgpr16_vgpr17
                                        ; implicit-def: $vgpr18_vgpr19
                                        ; implicit-def: $vgpr22_vgpr23
                                        ; implicit-def: $vgpr24_vgpr25
.LBB119_11:
	v_mov_b32_e32 v10, 0
	v_mov_b32_e32 v12, 0
	;; [unrolled: 1-line block ×3, first 2 shown]
	v_dual_mov_b32 v22, 0 :: v_dual_mov_b32 v11, 0
	v_dual_mov_b32 v20, 0 :: v_dual_mov_b32 v13, 0
	;; [unrolled: 1-line block ×5, first 2 shown]
	v_mov_b32_e32 v15, 0
	v_mov_b32_e32 v19, 0
	;; [unrolled: 1-line block ×3, first 2 shown]
	s_and_saveexec_b32 s3, s2
	s_cbranch_execz .LBB119_15
; %bb.12:
	v_mov_b32_e32 v10, 0
	v_mov_b32_e32 v20, 0
	;; [unrolled: 1-line block ×7, first 2 shown]
	v_dual_mov_b32 v24, 0 :: v_dual_mov_b32 v29, 0
	v_dual_mov_b32 v11, 0 :: v_dual_lshlrev_b32 v28, 3, v26
	v_mov_b32_e32 v21, 0
	v_mov_b32_e32 v13, 0
	;; [unrolled: 1-line block ×7, first 2 shown]
	s_mov_b32 s2, 0
.LBB119_13:                             ; =>This Inner Loop Header: Depth=1
	v_ashrrev_i32_e32 v27, 31, v26
	s_delay_alu instid0(VALU_DEP_1) | instskip(SKIP_1) | instid1(VALU_DEP_2)
	v_lshlrev_b64_e32 v[32:33], 2, v[26:27]
	v_add_nc_u32_e32 v26, 32, v26
	v_add_co_u32 v32, vcc_lo, s6, v32
	s_wait_alu 0xfffd
	s_delay_alu instid0(VALU_DEP_3) | instskip(SKIP_3) | instid1(VALU_DEP_2)
	v_add_co_ci_u32_e64 v33, null, s7, v33, vcc_lo
	global_load_b32 v27, v[32:33], off
	v_lshlrev_b64_e32 v[32:33], 4, v[28:29]
	v_add_nc_u32_e32 v28, 0x100, v28
	v_add_co_u32 v60, vcc_lo, s8, v32
	s_wait_alu 0xfffd
	s_delay_alu instid0(VALU_DEP_3)
	v_add_co_ci_u32_e64 v61, null, s9, v33, vcc_lo
	s_clause 0x7
	global_load_b128 v[32:35], v[60:61], off offset:48
	global_load_b128 v[36:39], v[60:61], off offset:32
	global_load_b128 v[40:43], v[60:61], off offset:16
	global_load_b128 v[44:47], v[60:61], off
	global_load_b128 v[48:51], v[60:61], off offset:112
	global_load_b128 v[52:55], v[60:61], off offset:96
	;; [unrolled: 1-line block ×4, first 2 shown]
	s_wait_loadcnt 0x8
	v_subrev_nc_u32_e32 v27, s12, v27
	s_delay_alu instid0(VALU_DEP_1) | instskip(NEXT) | instid1(VALU_DEP_1)
	v_dual_mov_b32 v65, v29 :: v_dual_lshlrev_b32 v64, 1, v27
	v_lshlrev_b64_e32 v[64:65], 4, v[64:65]
	s_delay_alu instid0(VALU_DEP_1) | instskip(SKIP_1) | instid1(VALU_DEP_2)
	v_add_co_u32 v68, vcc_lo, s10, v64
	s_wait_alu 0xfffd
	v_add_co_ci_u32_e64 v69, null, s11, v65, vcc_lo
	v_cmp_ge_i32_e32 vcc_lo, v26, v31
	s_clause 0x1
	global_load_b128 v[64:67], v[68:69], off
	global_load_b128 v[68:71], v[68:69], off offset:16
	s_wait_alu 0xfffe
	s_or_b32 s2, vcc_lo, s2
	s_wait_loadcnt 0x1
	v_fma_f64 v[20:21], v[44:45], v[64:65], v[20:21]
	v_fma_f64 v[10:11], v[46:47], v[64:65], v[10:11]
	;; [unrolled: 1-line block ×8, first 2 shown]
	v_fma_f64 v[20:21], -v[46:47], v[66:67], v[20:21]
	v_fma_f64 v[10:11], v[44:45], v[66:67], v[10:11]
	v_fma_f64 v[22:23], -v[38:39], v[66:67], v[22:23]
	v_fma_f64 v[24:25], v[36:37], v[66:67], v[24:25]
	;; [unrolled: 2-line block ×4, first 2 shown]
	s_wait_loadcnt 0x0
	v_fma_f64 v[20:21], v[40:41], v[68:69], v[20:21]
	v_fma_f64 v[10:11], v[42:43], v[68:69], v[10:11]
	;; [unrolled: 1-line block ×8, first 2 shown]
	v_fma_f64 v[20:21], -v[42:43], v[70:71], v[20:21]
	v_fma_f64 v[10:11], v[40:41], v[70:71], v[10:11]
	v_fma_f64 v[22:23], -v[34:35], v[70:71], v[22:23]
	v_fma_f64 v[24:25], v[32:33], v[70:71], v[24:25]
	;; [unrolled: 2-line block ×4, first 2 shown]
	s_wait_alu 0xfffe
	s_and_not1_b32 exec_lo, exec_lo, s2
	s_cbranch_execnz .LBB119_13
; %bb.14:
	s_or_b32 exec_lo, exec_lo, s2
.LBB119_15:
	s_wait_alu 0xfffe
	s_or_b32 exec_lo, exec_lo, s3
.LBB119_16:
	v_mbcnt_lo_u32_b32 v44, -1, 0
	s_delay_alu instid0(VALU_DEP_1) | instskip(NEXT) | instid1(VALU_DEP_1)
	v_xor_b32_e32 v26, 16, v44
	v_cmp_gt_i32_e32 vcc_lo, 32, v26
	s_wait_alu 0xfffd
	v_cndmask_b32_e32 v26, v44, v26, vcc_lo
	s_delay_alu instid0(VALU_DEP_1)
	v_lshlrev_b32_e32 v41, 2, v26
	ds_bpermute_b32 v26, v41, v20
	ds_bpermute_b32 v27, v41, v21
	;; [unrolled: 1-line block ×16, first 2 shown]
	s_wait_dscnt 0xe
	v_add_f64_e32 v[20:21], v[20:21], v[26:27]
	v_xor_b32_e32 v26, 8, v44
	s_wait_dscnt 0xc
	v_add_f64_e32 v[10:11], v[10:11], v[28:29]
	s_wait_dscnt 0xa
	v_add_f64_e32 v[22:23], v[22:23], v[30:31]
	;; [unrolled: 2-line block ×3, first 2 shown]
	v_cmp_gt_i32_e32 vcc_lo, 32, v26
	s_wait_dscnt 0x6
	v_add_f64_e32 v[16:17], v[16:17], v[34:35]
	s_wait_dscnt 0x4
	v_add_f64_e32 v[18:19], v[18:19], v[36:37]
	;; [unrolled: 2-line block ×3, first 2 shown]
	s_wait_alu 0xfffd
	v_cndmask_b32_e32 v26, v44, v26, vcc_lo
	s_wait_dscnt 0x0
	v_add_f64_e32 v[14:15], v[14:15], v[40:41]
	s_delay_alu instid0(VALU_DEP_2)
	v_lshlrev_b32_e32 v41, 2, v26
	ds_bpermute_b32 v26, v41, v20
	ds_bpermute_b32 v27, v41, v21
	;; [unrolled: 1-line block ×16, first 2 shown]
	s_wait_dscnt 0xe
	v_add_f64_e32 v[20:21], v[20:21], v[26:27]
	v_xor_b32_e32 v26, 4, v44
	s_wait_dscnt 0xc
	v_add_f64_e32 v[10:11], v[10:11], v[28:29]
	s_wait_dscnt 0xa
	v_add_f64_e32 v[22:23], v[22:23], v[30:31]
	;; [unrolled: 2-line block ×3, first 2 shown]
	v_cmp_gt_i32_e32 vcc_lo, 32, v26
	s_wait_dscnt 0x6
	v_add_f64_e32 v[16:17], v[16:17], v[34:35]
	s_wait_dscnt 0x4
	v_add_f64_e32 v[18:19], v[18:19], v[36:37]
	;; [unrolled: 2-line block ×3, first 2 shown]
	s_wait_alu 0xfffd
	v_cndmask_b32_e32 v26, v44, v26, vcc_lo
	s_wait_dscnt 0x0
	v_add_f64_e32 v[14:15], v[14:15], v[40:41]
	s_delay_alu instid0(VALU_DEP_2)
	v_lshlrev_b32_e32 v41, 2, v26
	ds_bpermute_b32 v26, v41, v20
	ds_bpermute_b32 v27, v41, v21
	;; [unrolled: 1-line block ×16, first 2 shown]
	s_wait_dscnt 0xe
	v_add_f64_e32 v[20:21], v[20:21], v[26:27]
	s_wait_dscnt 0xc
	v_add_f64_e32 v[26:27], v[10:11], v[28:29]
	v_xor_b32_e32 v10, 2, v44
	s_wait_dscnt 0xa
	v_add_f64_e32 v[22:23], v[22:23], v[30:31]
	s_wait_dscnt 0x8
	v_add_f64_e32 v[28:29], v[24:25], v[32:33]
	;; [unrolled: 2-line block ×3, first 2 shown]
	v_cmp_gt_i32_e32 vcc_lo, 32, v10
	s_wait_dscnt 0x4
	v_add_f64_e32 v[18:19], v[18:19], v[36:37]
	s_wait_dscnt 0x2
	v_add_f64_e32 v[30:31], v[12:13], v[38:39]
	;; [unrolled: 2-line block ×3, first 2 shown]
	s_wait_alu 0xfffd
	v_cndmask_b32_e32 v10, v44, v10, vcc_lo
	s_delay_alu instid0(VALU_DEP_1)
	v_lshlrev_b32_e32 v24, 2, v10
	ds_bpermute_b32 v10, v24, v20
	ds_bpermute_b32 v11, v24, v21
	;; [unrolled: 1-line block ×16, first 2 shown]
	s_wait_dscnt 0xe
	v_add_f64_e32 v[10:11], v[20:21], v[10:11]
	s_wait_dscnt 0xc
	v_add_f64_e32 v[24:25], v[26:27], v[12:13]
	v_xor_b32_e32 v26, 1, v44
	s_wait_dscnt 0xa
	v_add_f64_e32 v[12:13], v[22:23], v[14:15]
	s_wait_dscnt 0x8
	v_add_f64_e32 v[22:23], v[28:29], v[34:35]
	;; [unrolled: 2-line block ×3, first 2 shown]
	v_cmp_gt_i32_e32 vcc_lo, 32, v26
	s_wait_dscnt 0x4
	v_add_f64_e32 v[20:21], v[18:19], v[38:39]
	s_wait_dscnt 0x2
	v_add_f64_e32 v[16:17], v[30:31], v[40:41]
	;; [unrolled: 2-line block ×3, first 2 shown]
	s_wait_alu 0xfffd
	v_cndmask_b32_e32 v26, v44, v26, vcc_lo
	v_cmp_eq_u32_e32 vcc_lo, 31, v0
	s_delay_alu instid0(VALU_DEP_2)
	v_lshlrev_b32_e32 v29, 2, v26
	ds_bpermute_b32 v40, v29, v10
	ds_bpermute_b32 v41, v29, v11
	;; [unrolled: 1-line block ×16, first 2 shown]
	s_and_b32 exec_lo, exec_lo, vcc_lo
	s_cbranch_execz .LBB119_21
; %bb.17:
	v_cmp_eq_f64_e32 vcc_lo, 0, v[5:6]
	v_cmp_eq_f64_e64 s2, 0, v[7:8]
	s_wait_dscnt 0xe
	v_add_f64_e32 v[10:11], v[10:11], v[40:41]
	s_wait_dscnt 0xc
	v_add_f64_e32 v[24:25], v[24:25], v[38:39]
	;; [unrolled: 2-line block ×8, first 2 shown]
	s_load_b64 s[0:1], s[0:1], 0x48
	s_and_b32 s2, vcc_lo, s2
	s_wait_alu 0xfffe
	s_and_saveexec_b32 s3, s2
	s_wait_alu 0xfffe
	s_xor_b32 s2, exec_lo, s3
	s_cbranch_execz .LBB119_19
; %bb.18:
	v_mul_f64_e64 v[5:6], v[24:25], -v[3:4]
	v_mul_f64_e32 v[7:8], v[1:2], v[24:25]
	v_mul_f64_e64 v[24:25], v[22:23], -v[3:4]
	v_mul_f64_e32 v[22:23], v[1:2], v[22:23]
	;; [unrolled: 2-line block ×4, first 2 shown]
	v_fma_f64 v[5:6], v[1:2], v[10:11], v[5:6]
	v_fma_f64 v[7:8], v[3:4], v[10:11], v[7:8]
	;; [unrolled: 1-line block ×8, first 2 shown]
	v_lshlrev_b32_e32 v14, 2, v9
                                        ; implicit-def: $vgpr9
                                        ; implicit-def: $vgpr24_vgpr25
                                        ; implicit-def: $vgpr22_vgpr23
                                        ; implicit-def: $vgpr16_vgpr17
	s_delay_alu instid0(VALU_DEP_1) | instskip(NEXT) | instid1(VALU_DEP_1)
	v_ashrrev_i32_e32 v15, 31, v14
	v_lshlrev_b64_e32 v[14:15], 4, v[14:15]
	s_wait_kmcnt 0x0
	s_delay_alu instid0(VALU_DEP_1) | instskip(SKIP_1) | instid1(VALU_DEP_2)
	v_add_co_u32 v14, vcc_lo, s0, v14
	s_wait_alu 0xfffd
	v_add_co_ci_u32_e64 v15, null, s1, v15, vcc_lo
	s_clause 0x3
	global_store_b128 v[14:15], v[5:8], off
	global_store_b128 v[14:15], v[10:13], off offset:16
	global_store_b128 v[14:15], v[18:21], off offset:32
	;; [unrolled: 1-line block ×3, first 2 shown]
                                        ; implicit-def: $vgpr10_vgpr11
                                        ; implicit-def: $vgpr12_vgpr13
                                        ; implicit-def: $vgpr14_vgpr15
                                        ; implicit-def: $vgpr20_vgpr21
                                        ; implicit-def: $vgpr18_vgpr19
                                        ; implicit-def: $vgpr7_vgpr8
                                        ; implicit-def: $vgpr3_vgpr4
.LBB119_19:
	s_wait_alu 0xfffe
	s_and_not1_saveexec_b32 s2, s2
	s_cbranch_execz .LBB119_21
; %bb.20:
	v_lshlrev_b32_e32 v26, 2, v9
	v_mul_f64_e64 v[44:45], v[24:25], -v[3:4]
	v_mul_f64_e32 v[24:25], v[1:2], v[24:25]
	v_mul_f64_e64 v[46:47], v[22:23], -v[3:4]
	v_mul_f64_e32 v[22:23], v[1:2], v[22:23]
	v_ashrrev_i32_e32 v27, 31, v26
	v_mul_f64_e64 v[48:49], v[20:21], -v[3:4]
	v_mul_f64_e32 v[20:21], v[1:2], v[20:21]
	v_mul_f64_e64 v[50:51], v[18:19], -v[3:4]
	v_mul_f64_e32 v[18:19], v[1:2], v[18:19]
	v_lshlrev_b64_e32 v[26:27], 4, v[26:27]
	s_wait_kmcnt 0x0
	s_delay_alu instid0(VALU_DEP_1) | instskip(SKIP_1) | instid1(VALU_DEP_2)
	v_add_co_u32 v42, vcc_lo, s0, v26
	s_wait_alu 0xfffd
	v_add_co_ci_u32_e64 v43, null, s1, v27, vcc_lo
	s_clause 0x3
	global_load_b128 v[26:29], v[42:43], off
	global_load_b128 v[30:33], v[42:43], off offset:16
	global_load_b128 v[34:37], v[42:43], off offset:32
	;; [unrolled: 1-line block ×3, first 2 shown]
	v_fma_f64 v[44:45], v[1:2], v[10:11], v[44:45]
	v_fma_f64 v[9:10], v[3:4], v[10:11], v[24:25]
	;; [unrolled: 1-line block ×8, first 2 shown]
	s_wait_loadcnt 0x3
	v_fma_f64 v[15:16], v[5:6], v[26:27], v[44:45]
	v_fma_f64 v[9:10], v[7:8], v[26:27], v[9:10]
	s_wait_loadcnt 0x2
	v_fma_f64 v[17:18], v[5:6], v[30:31], v[24:25]
	v_fma_f64 v[11:12], v[7:8], v[30:31], v[11:12]
	;; [unrolled: 3-line block ×4, first 2 shown]
	v_fma_f64 v[0:1], -v[7:8], v[28:29], v[15:16]
	v_fma_f64 v[2:3], v[5:6], v[28:29], v[9:10]
	v_fma_f64 v[9:10], -v[7:8], v[32:33], v[17:18]
	v_fma_f64 v[11:12], v[5:6], v[32:33], v[11:12]
	;; [unrolled: 2-line block ×4, first 2 shown]
	s_clause 0x3
	global_store_b128 v[42:43], v[0:3], off
	global_store_b128 v[42:43], v[9:12], off offset:16
	global_store_b128 v[42:43], v[13:16], off offset:32
	;; [unrolled: 1-line block ×3, first 2 shown]
.LBB119_21:
	s_endpgm
	.section	.rodata,"a",@progbits
	.p2align	6, 0x0
	.amdhsa_kernel _ZN9rocsparseL19gebsrmvn_4xn_kernelILj128ELj2ELj32E21rocsparse_complex_numIdEEEvi20rocsparse_direction_NS_24const_host_device_scalarIT2_EEPKiS8_PKS5_SA_S6_PS5_21rocsparse_index_base_b
		.amdhsa_group_segment_fixed_size 0
		.amdhsa_private_segment_fixed_size 0
		.amdhsa_kernarg_size 88
		.amdhsa_user_sgpr_count 2
		.amdhsa_user_sgpr_dispatch_ptr 0
		.amdhsa_user_sgpr_queue_ptr 0
		.amdhsa_user_sgpr_kernarg_segment_ptr 1
		.amdhsa_user_sgpr_dispatch_id 0
		.amdhsa_user_sgpr_private_segment_size 0
		.amdhsa_wavefront_size32 1
		.amdhsa_uses_dynamic_stack 0
		.amdhsa_enable_private_segment 0
		.amdhsa_system_sgpr_workgroup_id_x 1
		.amdhsa_system_sgpr_workgroup_id_y 0
		.amdhsa_system_sgpr_workgroup_id_z 0
		.amdhsa_system_sgpr_workgroup_info 0
		.amdhsa_system_vgpr_workitem_id 0
		.amdhsa_next_free_vgpr 72
		.amdhsa_next_free_sgpr 14
		.amdhsa_reserve_vcc 1
		.amdhsa_float_round_mode_32 0
		.amdhsa_float_round_mode_16_64 0
		.amdhsa_float_denorm_mode_32 3
		.amdhsa_float_denorm_mode_16_64 3
		.amdhsa_fp16_overflow 0
		.amdhsa_workgroup_processor_mode 1
		.amdhsa_memory_ordered 1
		.amdhsa_forward_progress 1
		.amdhsa_inst_pref_size 28
		.amdhsa_round_robin_scheduling 0
		.amdhsa_exception_fp_ieee_invalid_op 0
		.amdhsa_exception_fp_denorm_src 0
		.amdhsa_exception_fp_ieee_div_zero 0
		.amdhsa_exception_fp_ieee_overflow 0
		.amdhsa_exception_fp_ieee_underflow 0
		.amdhsa_exception_fp_ieee_inexact 0
		.amdhsa_exception_int_div_zero 0
	.end_amdhsa_kernel
	.section	.text._ZN9rocsparseL19gebsrmvn_4xn_kernelILj128ELj2ELj32E21rocsparse_complex_numIdEEEvi20rocsparse_direction_NS_24const_host_device_scalarIT2_EEPKiS8_PKS5_SA_S6_PS5_21rocsparse_index_base_b,"axG",@progbits,_ZN9rocsparseL19gebsrmvn_4xn_kernelILj128ELj2ELj32E21rocsparse_complex_numIdEEEvi20rocsparse_direction_NS_24const_host_device_scalarIT2_EEPKiS8_PKS5_SA_S6_PS5_21rocsparse_index_base_b,comdat
.Lfunc_end119:
	.size	_ZN9rocsparseL19gebsrmvn_4xn_kernelILj128ELj2ELj32E21rocsparse_complex_numIdEEEvi20rocsparse_direction_NS_24const_host_device_scalarIT2_EEPKiS8_PKS5_SA_S6_PS5_21rocsparse_index_base_b, .Lfunc_end119-_ZN9rocsparseL19gebsrmvn_4xn_kernelILj128ELj2ELj32E21rocsparse_complex_numIdEEEvi20rocsparse_direction_NS_24const_host_device_scalarIT2_EEPKiS8_PKS5_SA_S6_PS5_21rocsparse_index_base_b
                                        ; -- End function
	.set _ZN9rocsparseL19gebsrmvn_4xn_kernelILj128ELj2ELj32E21rocsparse_complex_numIdEEEvi20rocsparse_direction_NS_24const_host_device_scalarIT2_EEPKiS8_PKS5_SA_S6_PS5_21rocsparse_index_base_b.num_vgpr, 72
	.set _ZN9rocsparseL19gebsrmvn_4xn_kernelILj128ELj2ELj32E21rocsparse_complex_numIdEEEvi20rocsparse_direction_NS_24const_host_device_scalarIT2_EEPKiS8_PKS5_SA_S6_PS5_21rocsparse_index_base_b.num_agpr, 0
	.set _ZN9rocsparseL19gebsrmvn_4xn_kernelILj128ELj2ELj32E21rocsparse_complex_numIdEEEvi20rocsparse_direction_NS_24const_host_device_scalarIT2_EEPKiS8_PKS5_SA_S6_PS5_21rocsparse_index_base_b.numbered_sgpr, 14
	.set _ZN9rocsparseL19gebsrmvn_4xn_kernelILj128ELj2ELj32E21rocsparse_complex_numIdEEEvi20rocsparse_direction_NS_24const_host_device_scalarIT2_EEPKiS8_PKS5_SA_S6_PS5_21rocsparse_index_base_b.num_named_barrier, 0
	.set _ZN9rocsparseL19gebsrmvn_4xn_kernelILj128ELj2ELj32E21rocsparse_complex_numIdEEEvi20rocsparse_direction_NS_24const_host_device_scalarIT2_EEPKiS8_PKS5_SA_S6_PS5_21rocsparse_index_base_b.private_seg_size, 0
	.set _ZN9rocsparseL19gebsrmvn_4xn_kernelILj128ELj2ELj32E21rocsparse_complex_numIdEEEvi20rocsparse_direction_NS_24const_host_device_scalarIT2_EEPKiS8_PKS5_SA_S6_PS5_21rocsparse_index_base_b.uses_vcc, 1
	.set _ZN9rocsparseL19gebsrmvn_4xn_kernelILj128ELj2ELj32E21rocsparse_complex_numIdEEEvi20rocsparse_direction_NS_24const_host_device_scalarIT2_EEPKiS8_PKS5_SA_S6_PS5_21rocsparse_index_base_b.uses_flat_scratch, 0
	.set _ZN9rocsparseL19gebsrmvn_4xn_kernelILj128ELj2ELj32E21rocsparse_complex_numIdEEEvi20rocsparse_direction_NS_24const_host_device_scalarIT2_EEPKiS8_PKS5_SA_S6_PS5_21rocsparse_index_base_b.has_dyn_sized_stack, 0
	.set _ZN9rocsparseL19gebsrmvn_4xn_kernelILj128ELj2ELj32E21rocsparse_complex_numIdEEEvi20rocsparse_direction_NS_24const_host_device_scalarIT2_EEPKiS8_PKS5_SA_S6_PS5_21rocsparse_index_base_b.has_recursion, 0
	.set _ZN9rocsparseL19gebsrmvn_4xn_kernelILj128ELj2ELj32E21rocsparse_complex_numIdEEEvi20rocsparse_direction_NS_24const_host_device_scalarIT2_EEPKiS8_PKS5_SA_S6_PS5_21rocsparse_index_base_b.has_indirect_call, 0
	.section	.AMDGPU.csdata,"",@progbits
; Kernel info:
; codeLenInByte = 3552
; TotalNumSgprs: 16
; NumVgprs: 72
; ScratchSize: 0
; MemoryBound: 0
; FloatMode: 240
; IeeeMode: 1
; LDSByteSize: 0 bytes/workgroup (compile time only)
; SGPRBlocks: 0
; VGPRBlocks: 8
; NumSGPRsForWavesPerEU: 16
; NumVGPRsForWavesPerEU: 72
; Occupancy: 16
; WaveLimiterHint : 1
; COMPUTE_PGM_RSRC2:SCRATCH_EN: 0
; COMPUTE_PGM_RSRC2:USER_SGPR: 2
; COMPUTE_PGM_RSRC2:TRAP_HANDLER: 0
; COMPUTE_PGM_RSRC2:TGID_X_EN: 1
; COMPUTE_PGM_RSRC2:TGID_Y_EN: 0
; COMPUTE_PGM_RSRC2:TGID_Z_EN: 0
; COMPUTE_PGM_RSRC2:TIDIG_COMP_CNT: 0
	.section	.text._ZN9rocsparseL19gebsrmvn_4xn_kernelILj128ELj2ELj64E21rocsparse_complex_numIdEEEvi20rocsparse_direction_NS_24const_host_device_scalarIT2_EEPKiS8_PKS5_SA_S6_PS5_21rocsparse_index_base_b,"axG",@progbits,_ZN9rocsparseL19gebsrmvn_4xn_kernelILj128ELj2ELj64E21rocsparse_complex_numIdEEEvi20rocsparse_direction_NS_24const_host_device_scalarIT2_EEPKiS8_PKS5_SA_S6_PS5_21rocsparse_index_base_b,comdat
	.globl	_ZN9rocsparseL19gebsrmvn_4xn_kernelILj128ELj2ELj64E21rocsparse_complex_numIdEEEvi20rocsparse_direction_NS_24const_host_device_scalarIT2_EEPKiS8_PKS5_SA_S6_PS5_21rocsparse_index_base_b ; -- Begin function _ZN9rocsparseL19gebsrmvn_4xn_kernelILj128ELj2ELj64E21rocsparse_complex_numIdEEEvi20rocsparse_direction_NS_24const_host_device_scalarIT2_EEPKiS8_PKS5_SA_S6_PS5_21rocsparse_index_base_b
	.p2align	8
	.type	_ZN9rocsparseL19gebsrmvn_4xn_kernelILj128ELj2ELj64E21rocsparse_complex_numIdEEEvi20rocsparse_direction_NS_24const_host_device_scalarIT2_EEPKiS8_PKS5_SA_S6_PS5_21rocsparse_index_base_b,@function
_ZN9rocsparseL19gebsrmvn_4xn_kernelILj128ELj2ELj64E21rocsparse_complex_numIdEEEvi20rocsparse_direction_NS_24const_host_device_scalarIT2_EEPKiS8_PKS5_SA_S6_PS5_21rocsparse_index_base_b: ; @_ZN9rocsparseL19gebsrmvn_4xn_kernelILj128ELj2ELj64E21rocsparse_complex_numIdEEEvi20rocsparse_direction_NS_24const_host_device_scalarIT2_EEPKiS8_PKS5_SA_S6_PS5_21rocsparse_index_base_b
; %bb.0:
	s_clause 0x1
	s_load_b64 s[12:13], s[0:1], 0x50
	s_load_b64 s[2:3], s[0:1], 0x8
	s_add_nc_u64 s[4:5], s[0:1], 8
	s_load_b64 s[6:7], s[0:1], 0x38
	s_wait_kmcnt 0x0
	s_bitcmp1_b32 s13, 0
	s_cselect_b32 s2, s4, s2
	s_cselect_b32 s3, s5, s3
	s_delay_alu instid0(SALU_CYCLE_1)
	v_dual_mov_b32 v1, s2 :: v_dual_mov_b32 v2, s3
	s_add_nc_u64 s[2:3], s[0:1], 56
	s_wait_alu 0xfffe
	s_cselect_b32 s2, s2, s6
	s_cselect_b32 s3, s3, s7
	flat_load_b128 v[1:4], v[1:2]
	s_wait_alu 0xfffe
	v_dual_mov_b32 v5, s2 :: v_dual_mov_b32 v6, s3
	flat_load_b128 v[5:8], v[5:6]
	s_wait_loadcnt_dscnt 0x101
	v_cmp_eq_f64_e32 vcc_lo, 0, v[1:2]
	v_cmp_eq_f64_e64 s2, 0, v[3:4]
	s_and_b32 s4, vcc_lo, s2
	s_mov_b32 s2, -1
	s_and_saveexec_b32 s3, s4
	s_cbranch_execz .LBB120_2
; %bb.1:
	s_wait_loadcnt_dscnt 0x0
	v_cmp_neq_f64_e32 vcc_lo, 1.0, v[5:6]
	v_cmp_neq_f64_e64 s2, 0, v[7:8]
	s_wait_alu 0xfffe
	s_or_b32 s2, vcc_lo, s2
	s_wait_alu 0xfffe
	s_or_not1_b32 s2, s2, exec_lo
.LBB120_2:
	s_wait_alu 0xfffe
	s_or_b32 exec_lo, exec_lo, s3
	s_and_saveexec_b32 s3, s2
	s_cbranch_execz .LBB120_21
; %bb.3:
	s_load_b64 s[2:3], s[0:1], 0x0
	v_lshrrev_b32_e32 v9, 6, v0
	s_delay_alu instid0(VALU_DEP_1) | instskip(SKIP_1) | instid1(VALU_DEP_1)
	v_lshl_or_b32 v9, ttmp9, 1, v9
	s_wait_kmcnt 0x0
	v_cmp_gt_i32_e32 vcc_lo, s2, v9
	s_and_b32 exec_lo, exec_lo, vcc_lo
	s_cbranch_execz .LBB120_21
; %bb.4:
	s_load_b256 s[4:11], s[0:1], 0x18
	v_ashrrev_i32_e32 v10, 31, v9
	v_and_b32_e32 v0, 63, v0
	s_cmp_lg_u32 s3, 0
	s_delay_alu instid0(VALU_DEP_2) | instskip(SKIP_1) | instid1(VALU_DEP_1)
	v_lshlrev_b64_e32 v[10:11], 2, v[9:10]
	s_wait_kmcnt 0x0
	v_add_co_u32 v10, vcc_lo, s4, v10
	s_delay_alu instid0(VALU_DEP_1) | instskip(SKIP_4) | instid1(VALU_DEP_2)
	v_add_co_ci_u32_e64 v11, null, s5, v11, vcc_lo
	global_load_b64 v[10:11], v[10:11], off
	s_wait_loadcnt 0x0
	v_subrev_nc_u32_e32 v10, s12, v10
	v_subrev_nc_u32_e32 v31, s12, v11
	v_add_nc_u32_e32 v26, v10, v0
	s_delay_alu instid0(VALU_DEP_1)
	v_cmp_lt_i32_e64 s2, v26, v31
	s_cbranch_scc0 .LBB120_10
; %bb.5:
	v_mov_b32_e32 v10, 0
	v_mov_b32_e32 v12, 0
	;; [unrolled: 1-line block ×3, first 2 shown]
	v_dual_mov_b32 v22, 0 :: v_dual_mov_b32 v11, 0
	v_dual_mov_b32 v20, 0 :: v_dual_mov_b32 v13, 0
	;; [unrolled: 1-line block ×5, first 2 shown]
	v_mov_b32_e32 v15, 0
	v_mov_b32_e32 v19, 0
	;; [unrolled: 1-line block ×3, first 2 shown]
	s_and_saveexec_b32 s3, s2
	s_cbranch_execz .LBB120_9
; %bb.6:
	v_mov_b32_e32 v20, 0
	v_mov_b32_e32 v14, 0
	v_dual_mov_b32 v18, 0 :: v_dual_lshlrev_b32 v27, 3, v26
	v_dual_mov_b32 v10, 0 :: v_dual_mov_b32 v21, 0
	v_dual_mov_b32 v12, 0 :: v_dual_mov_b32 v15, 0
	;; [unrolled: 1-line block ×3, first 2 shown]
	v_mov_b32_e32 v22, 0
	v_dual_mov_b32 v24, 0 :: v_dual_mov_b32 v29, v26
	v_dual_mov_b32 v11, 0 :: v_dual_mov_b32 v28, 0
	v_mov_b32_e32 v13, 0
	v_mov_b32_e32 v17, 0
	v_mov_b32_e32 v23, 0
	v_mov_b32_e32 v25, 0
	s_mov_b32 s4, 0
.LBB120_7:                              ; =>This Inner Loop Header: Depth=1
	v_ashrrev_i32_e32 v30, 31, v29
	s_delay_alu instid0(VALU_DEP_1) | instskip(SKIP_1) | instid1(VALU_DEP_2)
	v_lshlrev_b64_e32 v[32:33], 2, v[29:30]
	v_add_nc_u32_e32 v29, 64, v29
	v_add_co_u32 v32, vcc_lo, s6, v32
	s_wait_alu 0xfffd
	s_delay_alu instid0(VALU_DEP_3) | instskip(SKIP_3) | instid1(VALU_DEP_2)
	v_add_co_ci_u32_e64 v33, null, s7, v33, vcc_lo
	global_load_b32 v30, v[32:33], off
	v_lshlrev_b64_e32 v[32:33], 4, v[27:28]
	v_add_nc_u32_e32 v27, 0x200, v27
	v_add_co_u32 v68, vcc_lo, s8, v32
	s_wait_alu 0xfffd
	s_delay_alu instid0(VALU_DEP_3)
	v_add_co_ci_u32_e64 v69, null, s9, v33, vcc_lo
	s_clause 0x3
	global_load_b128 v[32:35], v[68:69], off offset:48
	global_load_b128 v[36:39], v[68:69], off offset:32
	;; [unrolled: 1-line block ×3, first 2 shown]
	global_load_b128 v[44:47], v[68:69], off
	s_wait_loadcnt 0x4
	v_subrev_nc_u32_e32 v30, s12, v30
	s_delay_alu instid0(VALU_DEP_1) | instskip(NEXT) | instid1(VALU_DEP_1)
	v_dual_mov_b32 v49, v28 :: v_dual_lshlrev_b32 v48, 1, v30
	v_lshlrev_b64_e32 v[48:49], 4, v[48:49]
	s_delay_alu instid0(VALU_DEP_1) | instskip(SKIP_1) | instid1(VALU_DEP_2)
	v_add_co_u32 v52, vcc_lo, s10, v48
	s_wait_alu 0xfffd
	v_add_co_ci_u32_e64 v53, null, s11, v49, vcc_lo
	v_cmp_ge_i32_e32 vcc_lo, v29, v31
	s_clause 0x1
	global_load_b128 v[48:51], v[52:53], off
	global_load_b128 v[52:55], v[52:53], off offset:16
	s_clause 0x3
	global_load_b128 v[56:59], v[68:69], off offset:64
	global_load_b128 v[60:63], v[68:69], off offset:80
	;; [unrolled: 1-line block ×4, first 2 shown]
	s_wait_alu 0xfffe
	s_or_b32 s4, vcc_lo, s4
	s_wait_loadcnt 0x5
	v_fma_f64 v[20:21], v[44:45], v[48:49], v[20:21]
	v_fma_f64 v[10:11], v[46:47], v[48:49], v[10:11]
	;; [unrolled: 1-line block ×8, first 2 shown]
	v_fma_f64 v[20:21], -v[46:47], v[50:51], v[20:21]
	v_fma_f64 v[10:11], v[44:45], v[50:51], v[10:11]
	v_fma_f64 v[22:23], -v[42:43], v[50:51], v[22:23]
	v_fma_f64 v[24:25], v[40:41], v[50:51], v[24:25]
	;; [unrolled: 2-line block ×4, first 2 shown]
	s_wait_loadcnt 0x3
	v_fma_f64 v[20:21], v[56:57], v[52:53], v[20:21]
	v_fma_f64 v[10:11], v[58:59], v[52:53], v[10:11]
	s_wait_loadcnt 0x2
	v_fma_f64 v[22:23], v[60:61], v[52:53], v[22:23]
	v_fma_f64 v[24:25], v[62:63], v[52:53], v[24:25]
	;; [unrolled: 3-line block ×4, first 2 shown]
	v_fma_f64 v[20:21], -v[58:59], v[54:55], v[20:21]
	v_fma_f64 v[10:11], v[56:57], v[54:55], v[10:11]
	v_fma_f64 v[22:23], -v[62:63], v[54:55], v[22:23]
	v_fma_f64 v[24:25], v[60:61], v[54:55], v[24:25]
	;; [unrolled: 2-line block ×4, first 2 shown]
	s_wait_alu 0xfffe
	s_and_not1_b32 exec_lo, exec_lo, s4
	s_cbranch_execnz .LBB120_7
; %bb.8:
	s_or_b32 exec_lo, exec_lo, s4
.LBB120_9:
	s_wait_alu 0xfffe
	s_or_b32 exec_lo, exec_lo, s3
	s_cbranch_execz .LBB120_11
	s_branch .LBB120_16
.LBB120_10:
                                        ; implicit-def: $vgpr10_vgpr11
                                        ; implicit-def: $vgpr20_vgpr21
                                        ; implicit-def: $vgpr12_vgpr13
                                        ; implicit-def: $vgpr14_vgpr15
                                        ; implicit-def: $vgpr16_vgpr17
                                        ; implicit-def: $vgpr18_vgpr19
                                        ; implicit-def: $vgpr22_vgpr23
                                        ; implicit-def: $vgpr24_vgpr25
.LBB120_11:
	v_mov_b32_e32 v10, 0
	v_mov_b32_e32 v12, 0
	;; [unrolled: 1-line block ×3, first 2 shown]
	v_dual_mov_b32 v22, 0 :: v_dual_mov_b32 v11, 0
	v_dual_mov_b32 v20, 0 :: v_dual_mov_b32 v13, 0
	v_dual_mov_b32 v14, 0 :: v_dual_mov_b32 v17, 0
	v_dual_mov_b32 v18, 0 :: v_dual_mov_b32 v23, 0
	v_dual_mov_b32 v24, 0 :: v_dual_mov_b32 v21, 0
	v_mov_b32_e32 v15, 0
	v_mov_b32_e32 v19, 0
	;; [unrolled: 1-line block ×3, first 2 shown]
	s_and_saveexec_b32 s3, s2
	s_cbranch_execz .LBB120_15
; %bb.12:
	v_mov_b32_e32 v10, 0
	v_mov_b32_e32 v20, 0
	;; [unrolled: 1-line block ×7, first 2 shown]
	v_dual_mov_b32 v24, 0 :: v_dual_mov_b32 v29, 0
	v_dual_mov_b32 v11, 0 :: v_dual_lshlrev_b32 v28, 3, v26
	v_mov_b32_e32 v21, 0
	v_mov_b32_e32 v13, 0
	;; [unrolled: 1-line block ×7, first 2 shown]
	s_mov_b32 s2, 0
.LBB120_13:                             ; =>This Inner Loop Header: Depth=1
	v_ashrrev_i32_e32 v27, 31, v26
	s_delay_alu instid0(VALU_DEP_1) | instskip(SKIP_1) | instid1(VALU_DEP_2)
	v_lshlrev_b64_e32 v[32:33], 2, v[26:27]
	v_add_nc_u32_e32 v26, 64, v26
	v_add_co_u32 v32, vcc_lo, s6, v32
	s_wait_alu 0xfffd
	s_delay_alu instid0(VALU_DEP_3) | instskip(SKIP_3) | instid1(VALU_DEP_2)
	v_add_co_ci_u32_e64 v33, null, s7, v33, vcc_lo
	global_load_b32 v27, v[32:33], off
	v_lshlrev_b64_e32 v[32:33], 4, v[28:29]
	v_add_nc_u32_e32 v28, 0x200, v28
	v_add_co_u32 v60, vcc_lo, s8, v32
	s_wait_alu 0xfffd
	s_delay_alu instid0(VALU_DEP_3)
	v_add_co_ci_u32_e64 v61, null, s9, v33, vcc_lo
	s_clause 0x7
	global_load_b128 v[32:35], v[60:61], off offset:48
	global_load_b128 v[36:39], v[60:61], off offset:32
	;; [unrolled: 1-line block ×3, first 2 shown]
	global_load_b128 v[44:47], v[60:61], off
	global_load_b128 v[48:51], v[60:61], off offset:112
	global_load_b128 v[52:55], v[60:61], off offset:96
	;; [unrolled: 1-line block ×4, first 2 shown]
	s_wait_loadcnt 0x8
	v_subrev_nc_u32_e32 v27, s12, v27
	s_delay_alu instid0(VALU_DEP_1) | instskip(NEXT) | instid1(VALU_DEP_1)
	v_dual_mov_b32 v65, v29 :: v_dual_lshlrev_b32 v64, 1, v27
	v_lshlrev_b64_e32 v[64:65], 4, v[64:65]
	s_delay_alu instid0(VALU_DEP_1) | instskip(SKIP_1) | instid1(VALU_DEP_2)
	v_add_co_u32 v68, vcc_lo, s10, v64
	s_wait_alu 0xfffd
	v_add_co_ci_u32_e64 v69, null, s11, v65, vcc_lo
	v_cmp_ge_i32_e32 vcc_lo, v26, v31
	s_clause 0x1
	global_load_b128 v[64:67], v[68:69], off
	global_load_b128 v[68:71], v[68:69], off offset:16
	s_wait_alu 0xfffe
	s_or_b32 s2, vcc_lo, s2
	s_wait_loadcnt 0x1
	v_fma_f64 v[20:21], v[44:45], v[64:65], v[20:21]
	v_fma_f64 v[10:11], v[46:47], v[64:65], v[10:11]
	;; [unrolled: 1-line block ×8, first 2 shown]
	v_fma_f64 v[20:21], -v[46:47], v[66:67], v[20:21]
	v_fma_f64 v[10:11], v[44:45], v[66:67], v[10:11]
	v_fma_f64 v[22:23], -v[38:39], v[66:67], v[22:23]
	v_fma_f64 v[24:25], v[36:37], v[66:67], v[24:25]
	;; [unrolled: 2-line block ×4, first 2 shown]
	s_wait_loadcnt 0x0
	v_fma_f64 v[20:21], v[40:41], v[68:69], v[20:21]
	v_fma_f64 v[10:11], v[42:43], v[68:69], v[10:11]
	;; [unrolled: 1-line block ×8, first 2 shown]
	v_fma_f64 v[20:21], -v[42:43], v[70:71], v[20:21]
	v_fma_f64 v[10:11], v[40:41], v[70:71], v[10:11]
	v_fma_f64 v[22:23], -v[34:35], v[70:71], v[22:23]
	v_fma_f64 v[24:25], v[32:33], v[70:71], v[24:25]
	;; [unrolled: 2-line block ×4, first 2 shown]
	s_wait_alu 0xfffe
	s_and_not1_b32 exec_lo, exec_lo, s2
	s_cbranch_execnz .LBB120_13
; %bb.14:
	s_or_b32 exec_lo, exec_lo, s2
.LBB120_15:
	s_wait_alu 0xfffe
	s_or_b32 exec_lo, exec_lo, s3
.LBB120_16:
	v_mbcnt_lo_u32_b32 v44, -1, 0
	s_delay_alu instid0(VALU_DEP_1) | instskip(NEXT) | instid1(VALU_DEP_1)
	v_or_b32_e32 v26, 32, v44
	v_cmp_gt_i32_e32 vcc_lo, 32, v26
	s_wait_alu 0xfffd
	v_cndmask_b32_e32 v26, v44, v26, vcc_lo
	s_delay_alu instid0(VALU_DEP_1)
	v_lshlrev_b32_e32 v41, 2, v26
	ds_bpermute_b32 v26, v41, v20
	ds_bpermute_b32 v27, v41, v21
	ds_bpermute_b32 v28, v41, v10
	ds_bpermute_b32 v29, v41, v11
	ds_bpermute_b32 v30, v41, v22
	ds_bpermute_b32 v31, v41, v23
	ds_bpermute_b32 v32, v41, v24
	ds_bpermute_b32 v33, v41, v25
	ds_bpermute_b32 v34, v41, v16
	ds_bpermute_b32 v35, v41, v17
	ds_bpermute_b32 v36, v41, v18
	ds_bpermute_b32 v37, v41, v19
	ds_bpermute_b32 v38, v41, v12
	ds_bpermute_b32 v39, v41, v13
	ds_bpermute_b32 v40, v41, v14
	ds_bpermute_b32 v41, v41, v15
	s_wait_dscnt 0xe
	v_add_f64_e32 v[20:21], v[20:21], v[26:27]
	v_xor_b32_e32 v26, 16, v44
	s_wait_dscnt 0xc
	v_add_f64_e32 v[10:11], v[10:11], v[28:29]
	s_wait_dscnt 0xa
	v_add_f64_e32 v[22:23], v[22:23], v[30:31]
	s_wait_dscnt 0x8
	v_add_f64_e32 v[24:25], v[24:25], v[32:33]
	v_cmp_gt_i32_e32 vcc_lo, 32, v26
	s_wait_dscnt 0x6
	v_add_f64_e32 v[16:17], v[16:17], v[34:35]
	s_wait_dscnt 0x4
	v_add_f64_e32 v[18:19], v[18:19], v[36:37]
	s_wait_dscnt 0x2
	v_add_f64_e32 v[12:13], v[12:13], v[38:39]
	s_wait_alu 0xfffd
	v_cndmask_b32_e32 v26, v44, v26, vcc_lo
	s_wait_dscnt 0x0
	v_add_f64_e32 v[14:15], v[14:15], v[40:41]
	s_delay_alu instid0(VALU_DEP_2)
	v_lshlrev_b32_e32 v41, 2, v26
	ds_bpermute_b32 v26, v41, v20
	ds_bpermute_b32 v27, v41, v21
	ds_bpermute_b32 v28, v41, v10
	ds_bpermute_b32 v29, v41, v11
	ds_bpermute_b32 v30, v41, v22
	ds_bpermute_b32 v31, v41, v23
	ds_bpermute_b32 v32, v41, v24
	ds_bpermute_b32 v33, v41, v25
	ds_bpermute_b32 v34, v41, v16
	ds_bpermute_b32 v35, v41, v17
	ds_bpermute_b32 v36, v41, v18
	ds_bpermute_b32 v37, v41, v19
	ds_bpermute_b32 v38, v41, v12
	ds_bpermute_b32 v39, v41, v13
	ds_bpermute_b32 v40, v41, v14
	ds_bpermute_b32 v41, v41, v15
	s_wait_dscnt 0xe
	v_add_f64_e32 v[20:21], v[20:21], v[26:27]
	v_xor_b32_e32 v26, 8, v44
	s_wait_dscnt 0xc
	v_add_f64_e32 v[10:11], v[10:11], v[28:29]
	s_wait_dscnt 0xa
	v_add_f64_e32 v[22:23], v[22:23], v[30:31]
	s_wait_dscnt 0x8
	v_add_f64_e32 v[24:25], v[24:25], v[32:33]
	v_cmp_gt_i32_e32 vcc_lo, 32, v26
	s_wait_dscnt 0x6
	v_add_f64_e32 v[16:17], v[16:17], v[34:35]
	s_wait_dscnt 0x4
	v_add_f64_e32 v[18:19], v[18:19], v[36:37]
	s_wait_dscnt 0x2
	v_add_f64_e32 v[12:13], v[12:13], v[38:39]
	s_wait_alu 0xfffd
	v_cndmask_b32_e32 v26, v44, v26, vcc_lo
	s_wait_dscnt 0x0
	v_add_f64_e32 v[14:15], v[14:15], v[40:41]
	s_delay_alu instid0(VALU_DEP_2)
	;; [unrolled: 38-line block ×3, first 2 shown]
	v_lshlrev_b32_e32 v41, 2, v26
	ds_bpermute_b32 v26, v41, v20
	ds_bpermute_b32 v27, v41, v21
	;; [unrolled: 1-line block ×16, first 2 shown]
	s_wait_dscnt 0xe
	v_add_f64_e32 v[20:21], v[20:21], v[26:27]
	s_wait_dscnt 0xc
	v_add_f64_e32 v[26:27], v[10:11], v[28:29]
	v_xor_b32_e32 v10, 2, v44
	s_wait_dscnt 0xa
	v_add_f64_e32 v[22:23], v[22:23], v[30:31]
	s_wait_dscnt 0x8
	v_add_f64_e32 v[28:29], v[24:25], v[32:33]
	s_wait_dscnt 0x6
	v_add_f64_e32 v[16:17], v[16:17], v[34:35]
	v_cmp_gt_i32_e32 vcc_lo, 32, v10
	s_wait_dscnt 0x4
	v_add_f64_e32 v[18:19], v[18:19], v[36:37]
	s_wait_dscnt 0x2
	v_add_f64_e32 v[30:31], v[12:13], v[38:39]
	;; [unrolled: 2-line block ×3, first 2 shown]
	s_wait_alu 0xfffd
	v_cndmask_b32_e32 v10, v44, v10, vcc_lo
	s_delay_alu instid0(VALU_DEP_1)
	v_lshlrev_b32_e32 v24, 2, v10
	ds_bpermute_b32 v10, v24, v20
	ds_bpermute_b32 v11, v24, v21
	;; [unrolled: 1-line block ×16, first 2 shown]
	s_wait_dscnt 0xe
	v_add_f64_e32 v[10:11], v[20:21], v[10:11]
	s_wait_dscnt 0xc
	v_add_f64_e32 v[24:25], v[26:27], v[12:13]
	v_xor_b32_e32 v26, 1, v44
	s_wait_dscnt 0xa
	v_add_f64_e32 v[12:13], v[22:23], v[14:15]
	s_wait_dscnt 0x8
	v_add_f64_e32 v[22:23], v[28:29], v[34:35]
	;; [unrolled: 2-line block ×3, first 2 shown]
	v_cmp_gt_i32_e32 vcc_lo, 32, v26
	s_wait_dscnt 0x4
	v_add_f64_e32 v[20:21], v[18:19], v[38:39]
	s_wait_dscnt 0x2
	v_add_f64_e32 v[16:17], v[30:31], v[40:41]
	;; [unrolled: 2-line block ×3, first 2 shown]
	s_wait_alu 0xfffd
	v_cndmask_b32_e32 v26, v44, v26, vcc_lo
	v_cmp_eq_u32_e32 vcc_lo, 63, v0
	s_delay_alu instid0(VALU_DEP_2)
	v_lshlrev_b32_e32 v29, 2, v26
	ds_bpermute_b32 v40, v29, v10
	ds_bpermute_b32 v41, v29, v11
	ds_bpermute_b32 v38, v29, v24
	ds_bpermute_b32 v39, v29, v25
	ds_bpermute_b32 v36, v29, v12
	ds_bpermute_b32 v37, v29, v13
	ds_bpermute_b32 v34, v29, v22
	ds_bpermute_b32 v35, v29, v23
	ds_bpermute_b32 v32, v29, v14
	ds_bpermute_b32 v33, v29, v15
	ds_bpermute_b32 v30, v29, v20
	ds_bpermute_b32 v31, v29, v21
	ds_bpermute_b32 v26, v29, v16
	ds_bpermute_b32 v27, v29, v17
	ds_bpermute_b32 v28, v29, v18
	ds_bpermute_b32 v29, v29, v19
	s_and_b32 exec_lo, exec_lo, vcc_lo
	s_cbranch_execz .LBB120_21
; %bb.17:
	v_cmp_eq_f64_e32 vcc_lo, 0, v[5:6]
	v_cmp_eq_f64_e64 s2, 0, v[7:8]
	s_wait_dscnt 0xe
	v_add_f64_e32 v[10:11], v[10:11], v[40:41]
	s_wait_dscnt 0xc
	v_add_f64_e32 v[24:25], v[24:25], v[38:39]
	;; [unrolled: 2-line block ×8, first 2 shown]
	s_load_b64 s[0:1], s[0:1], 0x48
	s_and_b32 s2, vcc_lo, s2
	s_wait_alu 0xfffe
	s_and_saveexec_b32 s3, s2
	s_wait_alu 0xfffe
	s_xor_b32 s2, exec_lo, s3
	s_cbranch_execz .LBB120_19
; %bb.18:
	v_mul_f64_e64 v[5:6], v[24:25], -v[3:4]
	v_mul_f64_e32 v[7:8], v[1:2], v[24:25]
	v_mul_f64_e64 v[24:25], v[22:23], -v[3:4]
	v_mul_f64_e32 v[22:23], v[1:2], v[22:23]
	;; [unrolled: 2-line block ×4, first 2 shown]
	v_fma_f64 v[5:6], v[1:2], v[10:11], v[5:6]
	v_fma_f64 v[7:8], v[3:4], v[10:11], v[7:8]
	;; [unrolled: 1-line block ×8, first 2 shown]
	v_lshlrev_b32_e32 v14, 2, v9
                                        ; implicit-def: $vgpr9
                                        ; implicit-def: $vgpr24_vgpr25
                                        ; implicit-def: $vgpr22_vgpr23
                                        ; implicit-def: $vgpr16_vgpr17
	s_delay_alu instid0(VALU_DEP_1) | instskip(NEXT) | instid1(VALU_DEP_1)
	v_ashrrev_i32_e32 v15, 31, v14
	v_lshlrev_b64_e32 v[14:15], 4, v[14:15]
	s_wait_kmcnt 0x0
	s_delay_alu instid0(VALU_DEP_1) | instskip(SKIP_1) | instid1(VALU_DEP_2)
	v_add_co_u32 v14, vcc_lo, s0, v14
	s_wait_alu 0xfffd
	v_add_co_ci_u32_e64 v15, null, s1, v15, vcc_lo
	s_clause 0x3
	global_store_b128 v[14:15], v[5:8], off
	global_store_b128 v[14:15], v[10:13], off offset:16
	global_store_b128 v[14:15], v[18:21], off offset:32
	;; [unrolled: 1-line block ×3, first 2 shown]
                                        ; implicit-def: $vgpr10_vgpr11
                                        ; implicit-def: $vgpr12_vgpr13
                                        ; implicit-def: $vgpr14_vgpr15
                                        ; implicit-def: $vgpr20_vgpr21
                                        ; implicit-def: $vgpr18_vgpr19
                                        ; implicit-def: $vgpr7_vgpr8
                                        ; implicit-def: $vgpr3_vgpr4
.LBB120_19:
	s_wait_alu 0xfffe
	s_and_not1_saveexec_b32 s2, s2
	s_cbranch_execz .LBB120_21
; %bb.20:
	v_lshlrev_b32_e32 v26, 2, v9
	v_mul_f64_e64 v[44:45], v[24:25], -v[3:4]
	v_mul_f64_e32 v[24:25], v[1:2], v[24:25]
	v_mul_f64_e64 v[46:47], v[22:23], -v[3:4]
	v_mul_f64_e32 v[22:23], v[1:2], v[22:23]
	v_ashrrev_i32_e32 v27, 31, v26
	v_mul_f64_e64 v[48:49], v[20:21], -v[3:4]
	v_mul_f64_e32 v[20:21], v[1:2], v[20:21]
	v_mul_f64_e64 v[50:51], v[18:19], -v[3:4]
	v_mul_f64_e32 v[18:19], v[1:2], v[18:19]
	v_lshlrev_b64_e32 v[26:27], 4, v[26:27]
	s_wait_kmcnt 0x0
	s_delay_alu instid0(VALU_DEP_1) | instskip(SKIP_1) | instid1(VALU_DEP_2)
	v_add_co_u32 v42, vcc_lo, s0, v26
	s_wait_alu 0xfffd
	v_add_co_ci_u32_e64 v43, null, s1, v27, vcc_lo
	s_clause 0x3
	global_load_b128 v[26:29], v[42:43], off
	global_load_b128 v[30:33], v[42:43], off offset:16
	global_load_b128 v[34:37], v[42:43], off offset:32
	;; [unrolled: 1-line block ×3, first 2 shown]
	v_fma_f64 v[44:45], v[1:2], v[10:11], v[44:45]
	v_fma_f64 v[9:10], v[3:4], v[10:11], v[24:25]
	;; [unrolled: 1-line block ×8, first 2 shown]
	s_wait_loadcnt 0x3
	v_fma_f64 v[15:16], v[5:6], v[26:27], v[44:45]
	v_fma_f64 v[9:10], v[7:8], v[26:27], v[9:10]
	s_wait_loadcnt 0x2
	v_fma_f64 v[17:18], v[5:6], v[30:31], v[24:25]
	v_fma_f64 v[11:12], v[7:8], v[30:31], v[11:12]
	;; [unrolled: 3-line block ×4, first 2 shown]
	v_fma_f64 v[0:1], -v[7:8], v[28:29], v[15:16]
	v_fma_f64 v[2:3], v[5:6], v[28:29], v[9:10]
	v_fma_f64 v[9:10], -v[7:8], v[32:33], v[17:18]
	v_fma_f64 v[11:12], v[5:6], v[32:33], v[11:12]
	;; [unrolled: 2-line block ×4, first 2 shown]
	s_clause 0x3
	global_store_b128 v[42:43], v[0:3], off
	global_store_b128 v[42:43], v[9:12], off offset:16
	global_store_b128 v[42:43], v[13:16], off offset:32
	;; [unrolled: 1-line block ×3, first 2 shown]
.LBB120_21:
	s_endpgm
	.section	.rodata,"a",@progbits
	.p2align	6, 0x0
	.amdhsa_kernel _ZN9rocsparseL19gebsrmvn_4xn_kernelILj128ELj2ELj64E21rocsparse_complex_numIdEEEvi20rocsparse_direction_NS_24const_host_device_scalarIT2_EEPKiS8_PKS5_SA_S6_PS5_21rocsparse_index_base_b
		.amdhsa_group_segment_fixed_size 0
		.amdhsa_private_segment_fixed_size 0
		.amdhsa_kernarg_size 88
		.amdhsa_user_sgpr_count 2
		.amdhsa_user_sgpr_dispatch_ptr 0
		.amdhsa_user_sgpr_queue_ptr 0
		.amdhsa_user_sgpr_kernarg_segment_ptr 1
		.amdhsa_user_sgpr_dispatch_id 0
		.amdhsa_user_sgpr_private_segment_size 0
		.amdhsa_wavefront_size32 1
		.amdhsa_uses_dynamic_stack 0
		.amdhsa_enable_private_segment 0
		.amdhsa_system_sgpr_workgroup_id_x 1
		.amdhsa_system_sgpr_workgroup_id_y 0
		.amdhsa_system_sgpr_workgroup_id_z 0
		.amdhsa_system_sgpr_workgroup_info 0
		.amdhsa_system_vgpr_workitem_id 0
		.amdhsa_next_free_vgpr 72
		.amdhsa_next_free_sgpr 14
		.amdhsa_reserve_vcc 1
		.amdhsa_float_round_mode_32 0
		.amdhsa_float_round_mode_16_64 0
		.amdhsa_float_denorm_mode_32 3
		.amdhsa_float_denorm_mode_16_64 3
		.amdhsa_fp16_overflow 0
		.amdhsa_workgroup_processor_mode 1
		.amdhsa_memory_ordered 1
		.amdhsa_forward_progress 1
		.amdhsa_inst_pref_size 30
		.amdhsa_round_robin_scheduling 0
		.amdhsa_exception_fp_ieee_invalid_op 0
		.amdhsa_exception_fp_denorm_src 0
		.amdhsa_exception_fp_ieee_div_zero 0
		.amdhsa_exception_fp_ieee_overflow 0
		.amdhsa_exception_fp_ieee_underflow 0
		.amdhsa_exception_fp_ieee_inexact 0
		.amdhsa_exception_int_div_zero 0
	.end_amdhsa_kernel
	.section	.text._ZN9rocsparseL19gebsrmvn_4xn_kernelILj128ELj2ELj64E21rocsparse_complex_numIdEEEvi20rocsparse_direction_NS_24const_host_device_scalarIT2_EEPKiS8_PKS5_SA_S6_PS5_21rocsparse_index_base_b,"axG",@progbits,_ZN9rocsparseL19gebsrmvn_4xn_kernelILj128ELj2ELj64E21rocsparse_complex_numIdEEEvi20rocsparse_direction_NS_24const_host_device_scalarIT2_EEPKiS8_PKS5_SA_S6_PS5_21rocsparse_index_base_b,comdat
.Lfunc_end120:
	.size	_ZN9rocsparseL19gebsrmvn_4xn_kernelILj128ELj2ELj64E21rocsparse_complex_numIdEEEvi20rocsparse_direction_NS_24const_host_device_scalarIT2_EEPKiS8_PKS5_SA_S6_PS5_21rocsparse_index_base_b, .Lfunc_end120-_ZN9rocsparseL19gebsrmvn_4xn_kernelILj128ELj2ELj64E21rocsparse_complex_numIdEEEvi20rocsparse_direction_NS_24const_host_device_scalarIT2_EEPKiS8_PKS5_SA_S6_PS5_21rocsparse_index_base_b
                                        ; -- End function
	.set _ZN9rocsparseL19gebsrmvn_4xn_kernelILj128ELj2ELj64E21rocsparse_complex_numIdEEEvi20rocsparse_direction_NS_24const_host_device_scalarIT2_EEPKiS8_PKS5_SA_S6_PS5_21rocsparse_index_base_b.num_vgpr, 72
	.set _ZN9rocsparseL19gebsrmvn_4xn_kernelILj128ELj2ELj64E21rocsparse_complex_numIdEEEvi20rocsparse_direction_NS_24const_host_device_scalarIT2_EEPKiS8_PKS5_SA_S6_PS5_21rocsparse_index_base_b.num_agpr, 0
	.set _ZN9rocsparseL19gebsrmvn_4xn_kernelILj128ELj2ELj64E21rocsparse_complex_numIdEEEvi20rocsparse_direction_NS_24const_host_device_scalarIT2_EEPKiS8_PKS5_SA_S6_PS5_21rocsparse_index_base_b.numbered_sgpr, 14
	.set _ZN9rocsparseL19gebsrmvn_4xn_kernelILj128ELj2ELj64E21rocsparse_complex_numIdEEEvi20rocsparse_direction_NS_24const_host_device_scalarIT2_EEPKiS8_PKS5_SA_S6_PS5_21rocsparse_index_base_b.num_named_barrier, 0
	.set _ZN9rocsparseL19gebsrmvn_4xn_kernelILj128ELj2ELj64E21rocsparse_complex_numIdEEEvi20rocsparse_direction_NS_24const_host_device_scalarIT2_EEPKiS8_PKS5_SA_S6_PS5_21rocsparse_index_base_b.private_seg_size, 0
	.set _ZN9rocsparseL19gebsrmvn_4xn_kernelILj128ELj2ELj64E21rocsparse_complex_numIdEEEvi20rocsparse_direction_NS_24const_host_device_scalarIT2_EEPKiS8_PKS5_SA_S6_PS5_21rocsparse_index_base_b.uses_vcc, 1
	.set _ZN9rocsparseL19gebsrmvn_4xn_kernelILj128ELj2ELj64E21rocsparse_complex_numIdEEEvi20rocsparse_direction_NS_24const_host_device_scalarIT2_EEPKiS8_PKS5_SA_S6_PS5_21rocsparse_index_base_b.uses_flat_scratch, 0
	.set _ZN9rocsparseL19gebsrmvn_4xn_kernelILj128ELj2ELj64E21rocsparse_complex_numIdEEEvi20rocsparse_direction_NS_24const_host_device_scalarIT2_EEPKiS8_PKS5_SA_S6_PS5_21rocsparse_index_base_b.has_dyn_sized_stack, 0
	.set _ZN9rocsparseL19gebsrmvn_4xn_kernelILj128ELj2ELj64E21rocsparse_complex_numIdEEEvi20rocsparse_direction_NS_24const_host_device_scalarIT2_EEPKiS8_PKS5_SA_S6_PS5_21rocsparse_index_base_b.has_recursion, 0
	.set _ZN9rocsparseL19gebsrmvn_4xn_kernelILj128ELj2ELj64E21rocsparse_complex_numIdEEEvi20rocsparse_direction_NS_24const_host_device_scalarIT2_EEPKiS8_PKS5_SA_S6_PS5_21rocsparse_index_base_b.has_indirect_call, 0
	.section	.AMDGPU.csdata,"",@progbits
; Kernel info:
; codeLenInByte = 3768
; TotalNumSgprs: 16
; NumVgprs: 72
; ScratchSize: 0
; MemoryBound: 0
; FloatMode: 240
; IeeeMode: 1
; LDSByteSize: 0 bytes/workgroup (compile time only)
; SGPRBlocks: 0
; VGPRBlocks: 8
; NumSGPRsForWavesPerEU: 16
; NumVGPRsForWavesPerEU: 72
; Occupancy: 16
; WaveLimiterHint : 1
; COMPUTE_PGM_RSRC2:SCRATCH_EN: 0
; COMPUTE_PGM_RSRC2:USER_SGPR: 2
; COMPUTE_PGM_RSRC2:TRAP_HANDLER: 0
; COMPUTE_PGM_RSRC2:TGID_X_EN: 1
; COMPUTE_PGM_RSRC2:TGID_Y_EN: 0
; COMPUTE_PGM_RSRC2:TGID_Z_EN: 0
; COMPUTE_PGM_RSRC2:TIDIG_COMP_CNT: 0
	.section	.text._ZN9rocsparseL19gebsrmvn_4xn_kernelILj128ELj3ELj4E21rocsparse_complex_numIdEEEvi20rocsparse_direction_NS_24const_host_device_scalarIT2_EEPKiS8_PKS5_SA_S6_PS5_21rocsparse_index_base_b,"axG",@progbits,_ZN9rocsparseL19gebsrmvn_4xn_kernelILj128ELj3ELj4E21rocsparse_complex_numIdEEEvi20rocsparse_direction_NS_24const_host_device_scalarIT2_EEPKiS8_PKS5_SA_S6_PS5_21rocsparse_index_base_b,comdat
	.globl	_ZN9rocsparseL19gebsrmvn_4xn_kernelILj128ELj3ELj4E21rocsparse_complex_numIdEEEvi20rocsparse_direction_NS_24const_host_device_scalarIT2_EEPKiS8_PKS5_SA_S6_PS5_21rocsparse_index_base_b ; -- Begin function _ZN9rocsparseL19gebsrmvn_4xn_kernelILj128ELj3ELj4E21rocsparse_complex_numIdEEEvi20rocsparse_direction_NS_24const_host_device_scalarIT2_EEPKiS8_PKS5_SA_S6_PS5_21rocsparse_index_base_b
	.p2align	8
	.type	_ZN9rocsparseL19gebsrmvn_4xn_kernelILj128ELj3ELj4E21rocsparse_complex_numIdEEEvi20rocsparse_direction_NS_24const_host_device_scalarIT2_EEPKiS8_PKS5_SA_S6_PS5_21rocsparse_index_base_b,@function
_ZN9rocsparseL19gebsrmvn_4xn_kernelILj128ELj3ELj4E21rocsparse_complex_numIdEEEvi20rocsparse_direction_NS_24const_host_device_scalarIT2_EEPKiS8_PKS5_SA_S6_PS5_21rocsparse_index_base_b: ; @_ZN9rocsparseL19gebsrmvn_4xn_kernelILj128ELj3ELj4E21rocsparse_complex_numIdEEEvi20rocsparse_direction_NS_24const_host_device_scalarIT2_EEPKiS8_PKS5_SA_S6_PS5_21rocsparse_index_base_b
; %bb.0:
	s_clause 0x1
	s_load_b64 s[12:13], s[0:1], 0x50
	s_load_b64 s[2:3], s[0:1], 0x8
	s_add_nc_u64 s[4:5], s[0:1], 8
	s_load_b64 s[6:7], s[0:1], 0x38
	s_wait_kmcnt 0x0
	s_bitcmp1_b32 s13, 0
	s_cselect_b32 s2, s4, s2
	s_cselect_b32 s3, s5, s3
	s_delay_alu instid0(SALU_CYCLE_1)
	v_dual_mov_b32 v1, s2 :: v_dual_mov_b32 v2, s3
	s_add_nc_u64 s[2:3], s[0:1], 56
	s_wait_alu 0xfffe
	s_cselect_b32 s2, s2, s6
	s_cselect_b32 s3, s3, s7
	flat_load_b128 v[1:4], v[1:2]
	s_wait_alu 0xfffe
	v_dual_mov_b32 v5, s2 :: v_dual_mov_b32 v6, s3
	flat_load_b128 v[5:8], v[5:6]
	s_wait_loadcnt_dscnt 0x101
	v_cmp_eq_f64_e32 vcc_lo, 0, v[1:2]
	v_cmp_eq_f64_e64 s2, 0, v[3:4]
	s_and_b32 s4, vcc_lo, s2
	s_mov_b32 s2, -1
	s_and_saveexec_b32 s3, s4
	s_cbranch_execz .LBB121_2
; %bb.1:
	s_wait_loadcnt_dscnt 0x0
	v_cmp_neq_f64_e32 vcc_lo, 1.0, v[5:6]
	v_cmp_neq_f64_e64 s2, 0, v[7:8]
	s_wait_alu 0xfffe
	s_or_b32 s2, vcc_lo, s2
	s_wait_alu 0xfffe
	s_or_not1_b32 s2, s2, exec_lo
.LBB121_2:
	s_wait_alu 0xfffe
	s_or_b32 exec_lo, exec_lo, s3
	s_and_saveexec_b32 s3, s2
	s_cbranch_execz .LBB121_21
; %bb.3:
	s_load_b64 s[2:3], s[0:1], 0x0
	v_lshrrev_b32_e32 v9, 2, v0
	s_delay_alu instid0(VALU_DEP_1) | instskip(SKIP_1) | instid1(VALU_DEP_1)
	v_lshl_or_b32 v9, ttmp9, 5, v9
	s_wait_kmcnt 0x0
	v_cmp_gt_i32_e32 vcc_lo, s2, v9
	s_and_b32 exec_lo, exec_lo, vcc_lo
	s_cbranch_execz .LBB121_21
; %bb.4:
	s_load_b256 s[4:11], s[0:1], 0x18
	v_ashrrev_i32_e32 v10, 31, v9
	v_and_b32_e32 v0, 3, v0
	s_cmp_lg_u32 s3, 0
	s_delay_alu instid0(VALU_DEP_2) | instskip(SKIP_1) | instid1(VALU_DEP_1)
	v_lshlrev_b64_e32 v[10:11], 2, v[9:10]
	s_wait_kmcnt 0x0
	v_add_co_u32 v10, vcc_lo, s4, v10
	s_delay_alu instid0(VALU_DEP_1) | instskip(SKIP_4) | instid1(VALU_DEP_2)
	v_add_co_ci_u32_e64 v11, null, s5, v11, vcc_lo
	global_load_b64 v[10:11], v[10:11], off
	s_wait_loadcnt 0x0
	v_subrev_nc_u32_e32 v10, s12, v10
	v_subrev_nc_u32_e32 v32, s12, v11
	v_add_nc_u32_e32 v10, v10, v0
	s_delay_alu instid0(VALU_DEP_1)
	v_cmp_lt_i32_e64 s2, v10, v32
	s_cbranch_scc0 .LBB121_10
; %bb.5:
	v_mov_b32_e32 v12, 0
	v_mov_b32_e32 v14, 0
	;; [unrolled: 1-line block ×3, first 2 shown]
	v_dual_mov_b32 v24, 0 :: v_dual_mov_b32 v13, 0
	v_dual_mov_b32 v16, 0 :: v_dual_mov_b32 v15, 0
	;; [unrolled: 1-line block ×5, first 2 shown]
	v_mov_b32_e32 v19, 0
	v_mov_b32_e32 v23, 0
	;; [unrolled: 1-line block ×3, first 2 shown]
	s_and_saveexec_b32 s3, s2
	s_cbranch_execz .LBB121_9
; %bb.6:
	v_dual_mov_b32 v12, 0 :: v_dual_mov_b32 v29, 0
	v_dual_mov_b32 v13, 0 :: v_dual_mov_b32 v16, 0
	;; [unrolled: 1-line block ×5, first 2 shown]
	v_mul_lo_u32 v28, v10, 12
	v_dual_mov_b32 v21, 0 :: v_dual_mov_b32 v22, 0
	v_dual_mov_b32 v23, 0 :: v_dual_mov_b32 v24, 0
	;; [unrolled: 1-line block ×4, first 2 shown]
	s_mov_b32 s4, 0
.LBB121_7:                              ; =>This Inner Loop Header: Depth=1
	s_delay_alu instid0(VALU_DEP_1) | instskip(SKIP_2) | instid1(VALU_DEP_3)
	v_ashrrev_i32_e32 v31, 31, v30
	v_dual_mov_b32 v90, v29 :: v_dual_add_nc_u32 v53, 4, v28
	v_dual_mov_b32 v70, v29 :: v_dual_add_nc_u32 v73, 8, v28
	v_lshlrev_b64_e32 v[33:34], 2, v[30:31]
	v_add_nc_u32_e32 v30, 4, v30
	s_delay_alu instid0(VALU_DEP_2) | instskip(SKIP_1) | instid1(VALU_DEP_3)
	v_add_co_u32 v33, vcc_lo, s6, v33
	s_wait_alu 0xfffd
	v_add_co_ci_u32_e64 v34, null, s7, v34, vcc_lo
	global_load_b32 v11, v[33:34], off
	v_lshlrev_b64_e32 v[33:34], 4, v[28:29]
	v_add_nc_u32_e32 v28, 48, v28
	s_delay_alu instid0(VALU_DEP_2) | instskip(SKIP_1) | instid1(VALU_DEP_3)
	v_add_co_u32 v45, vcc_lo, s8, v33
	s_wait_alu 0xfffd
	v_add_co_ci_u32_e64 v46, null, s9, v34, vcc_lo
	s_clause 0x3
	global_load_b128 v[33:36], v[45:46], off offset:48
	global_load_b128 v[37:40], v[45:46], off offset:32
	;; [unrolled: 1-line block ×3, first 2 shown]
	global_load_b128 v[45:48], v[45:46], off
	s_wait_loadcnt 0x4
	v_subrev_nc_u32_e32 v11, s12, v11
	s_delay_alu instid0(VALU_DEP_1) | instskip(SKIP_2) | instid1(VALU_DEP_3)
	v_lshl_add_u32 v89, v11, 1, v11
	v_mov_b32_e32 v54, v29
	v_mov_b32_e32 v74, v29
	v_lshlrev_b64_e32 v[49:50], 4, v[89:90]
	v_add_nc_u32_e32 v69, 1, v89
	s_delay_alu instid0(VALU_DEP_4) | instskip(SKIP_2) | instid1(VALU_DEP_4)
	v_lshlrev_b64_e32 v[53:54], 4, v[53:54]
	v_add_nc_u32_e32 v89, 2, v89
	v_lshlrev_b64_e32 v[73:74], 4, v[73:74]
	v_lshlrev_b64_e32 v[69:70], 4, v[69:70]
	v_add_co_u32 v49, vcc_lo, s10, v49
	s_wait_alu 0xfffd
	v_add_co_ci_u32_e64 v50, null, s11, v50, vcc_lo
	v_add_co_u32 v65, vcc_lo, s8, v53
	s_wait_alu 0xfffd
	v_add_co_ci_u32_e64 v66, null, s9, v54, vcc_lo
	global_load_b128 v[49:52], v[49:50], off
	v_add_co_u32 v69, vcc_lo, s10, v69
	s_wait_alu 0xfffd
	v_add_co_ci_u32_e64 v70, null, s11, v70, vcc_lo
	s_clause 0x3
	global_load_b128 v[53:56], v[65:66], off offset:48
	global_load_b128 v[57:60], v[65:66], off offset:32
	;; [unrolled: 1-line block ×3, first 2 shown]
	global_load_b128 v[65:68], v[65:66], off
	v_lshlrev_b64_e32 v[89:90], 4, v[89:90]
	v_add_co_u32 v85, vcc_lo, s8, v73
	global_load_b128 v[69:72], v[69:70], off
	s_wait_alu 0xfffd
	v_add_co_ci_u32_e64 v86, null, s9, v74, vcc_lo
	v_add_co_u32 v89, vcc_lo, s10, v89
	s_wait_alu 0xfffd
	v_add_co_ci_u32_e64 v90, null, s11, v90, vcc_lo
	s_clause 0x3
	global_load_b128 v[73:76], v[85:86], off offset:48
	global_load_b128 v[77:80], v[85:86], off offset:32
	;; [unrolled: 1-line block ×3, first 2 shown]
	global_load_b128 v[85:88], v[85:86], off
	v_cmp_ge_i32_e32 vcc_lo, v30, v32
	global_load_b128 v[89:92], v[89:90], off
	s_wait_alu 0xfffe
	s_or_b32 s4, vcc_lo, s4
	s_wait_loadcnt 0xa
	v_fma_f64 v[16:17], v[45:46], v[49:50], v[16:17]
	v_fma_f64 v[11:12], v[47:48], v[49:50], v[12:13]
	v_fma_f64 v[24:25], v[41:42], v[49:50], v[24:25]
	v_fma_f64 v[26:27], v[43:44], v[49:50], v[26:27]
	v_fma_f64 v[20:21], v[37:38], v[49:50], v[20:21]
	v_fma_f64 v[22:23], v[39:40], v[49:50], v[22:23]
	v_fma_f64 v[13:14], v[33:34], v[49:50], v[14:15]
	v_fma_f64 v[18:19], v[35:36], v[49:50], v[18:19]
	v_fma_f64 v[15:16], -v[47:48], v[51:52], v[16:17]
	v_fma_f64 v[11:12], v[45:46], v[51:52], v[11:12]
	v_fma_f64 v[24:25], -v[43:44], v[51:52], v[24:25]
	v_fma_f64 v[26:27], v[41:42], v[51:52], v[26:27]
	v_fma_f64 v[20:21], -v[39:40], v[51:52], v[20:21]
	v_fma_f64 v[22:23], v[37:38], v[51:52], v[22:23]
	v_fma_f64 v[13:14], -v[35:36], v[51:52], v[13:14]
	v_fma_f64 v[17:18], v[33:34], v[51:52], v[18:19]
	s_wait_loadcnt 0x5
	v_fma_f64 v[15:16], v[65:66], v[69:70], v[15:16]
	v_fma_f64 v[11:12], v[67:68], v[69:70], v[11:12]
	v_fma_f64 v[24:25], v[61:62], v[69:70], v[24:25]
	v_fma_f64 v[26:27], v[63:64], v[69:70], v[26:27]
	v_fma_f64 v[19:20], v[57:58], v[69:70], v[20:21]
	v_fma_f64 v[21:22], v[59:60], v[69:70], v[22:23]
	v_fma_f64 v[13:14], v[53:54], v[69:70], v[13:14]
	v_fma_f64 v[17:18], v[55:56], v[69:70], v[17:18]
	v_fma_f64 v[15:16], -v[67:68], v[71:72], v[15:16]
	v_fma_f64 v[11:12], v[65:66], v[71:72], v[11:12]
	v_fma_f64 v[23:24], -v[63:64], v[71:72], v[24:25]
	v_fma_f64 v[25:26], v[61:62], v[71:72], v[26:27]
	v_fma_f64 v[19:20], -v[59:60], v[71:72], v[19:20]
	v_fma_f64 v[21:22], v[57:58], v[71:72], v[21:22]
	v_fma_f64 v[13:14], -v[55:56], v[71:72], v[13:14]
	v_fma_f64 v[17:18], v[53:54], v[71:72], v[17:18]
	;; [unrolled: 17-line block ×3, first 2 shown]
	s_wait_alu 0xfffe
	s_and_not1_b32 exec_lo, exec_lo, s4
	s_cbranch_execnz .LBB121_7
; %bb.8:
	s_or_b32 exec_lo, exec_lo, s4
.LBB121_9:
	s_wait_alu 0xfffe
	s_or_b32 exec_lo, exec_lo, s3
	s_cbranch_execz .LBB121_11
	s_branch .LBB121_16
.LBB121_10:
                                        ; implicit-def: $vgpr12_vgpr13
                                        ; implicit-def: $vgpr16_vgpr17
                                        ; implicit-def: $vgpr14_vgpr15
                                        ; implicit-def: $vgpr18_vgpr19
                                        ; implicit-def: $vgpr20_vgpr21
                                        ; implicit-def: $vgpr22_vgpr23
                                        ; implicit-def: $vgpr24_vgpr25
                                        ; implicit-def: $vgpr26_vgpr27
.LBB121_11:
	v_mov_b32_e32 v12, 0
	v_mov_b32_e32 v14, 0
	;; [unrolled: 1-line block ×3, first 2 shown]
	v_dual_mov_b32 v24, 0 :: v_dual_mov_b32 v13, 0
	v_dual_mov_b32 v16, 0 :: v_dual_mov_b32 v15, 0
	;; [unrolled: 1-line block ×5, first 2 shown]
	v_mov_b32_e32 v19, 0
	v_mov_b32_e32 v23, 0
	;; [unrolled: 1-line block ×3, first 2 shown]
	s_and_saveexec_b32 s3, s2
	s_cbranch_execz .LBB121_15
; %bb.12:
	v_mad_co_u64_u32 v[28:29], null, v10, 12, 11
	v_mov_b32_e32 v12, 0
	v_mov_b32_e32 v14, 0
	;; [unrolled: 1-line block ×3, first 2 shown]
	v_dual_mov_b32 v24, 0 :: v_dual_mov_b32 v13, 0
	v_dual_mov_b32 v16, 0 :: v_dual_mov_b32 v15, 0
	;; [unrolled: 1-line block ×5, first 2 shown]
	v_mov_b32_e32 v19, 0
	v_mov_b32_e32 v23, 0
	v_dual_mov_b32 v27, 0 :: v_dual_mov_b32 v30, 0
	s_mov_b32 s2, 0
.LBB121_13:                             ; =>This Inner Loop Header: Depth=1
	v_ashrrev_i32_e32 v11, 31, v10
	s_delay_alu instid0(VALU_DEP_2) | instskip(SKIP_1) | instid1(VALU_DEP_3)
	v_dual_mov_b32 v82, v30 :: v_dual_add_nc_u32 v29, -11, v28
	v_dual_mov_b32 v36, v30 :: v_dual_add_nc_u32 v35, -2, v28
	v_lshlrev_b64_e32 v[33:34], 2, v[10:11]
	s_delay_alu instid0(VALU_DEP_3) | instskip(SKIP_1) | instid1(VALU_DEP_4)
	v_lshlrev_b64_e32 v[37:38], 4, v[29:30]
	v_add_nc_u32_e32 v10, 4, v10
	v_lshlrev_b64_e32 v[35:36], 4, v[35:36]
	s_delay_alu instid0(VALU_DEP_4)
	v_add_co_u32 v33, vcc_lo, s6, v33
	s_wait_alu 0xfffd
	v_add_co_ci_u32_e64 v34, null, s7, v34, vcc_lo
	v_add_co_u32 v73, vcc_lo, s8, v37
	s_wait_alu 0xfffd
	v_add_co_ci_u32_e64 v74, null, s9, v38, vcc_lo
	global_load_b32 v11, v[33:34], off
	v_dual_mov_b32 v34, v30 :: v_dual_add_nc_u32 v33, -5, v28
	s_delay_alu instid0(VALU_DEP_1) | instskip(NEXT) | instid1(VALU_DEP_1)
	v_lshlrev_b64_e32 v[33:34], 4, v[33:34]
	v_add_co_u32 v45, vcc_lo, s8, v33
	s_wait_alu 0xfffd
	s_delay_alu instid0(VALU_DEP_2)
	v_add_co_ci_u32_e64 v46, null, s9, v34, vcc_lo
	v_add_co_u32 v49, vcc_lo, s8, v35
	s_wait_alu 0xfffd
	v_add_co_ci_u32_e64 v50, null, s9, v36, vcc_lo
	s_clause 0x4
	global_load_b128 v[33:36], v[73:74], off offset:48
	global_load_b128 v[37:40], v[73:74], off offset:16
	global_load_b128 v[41:44], v[73:74], off
	global_load_b128 v[45:48], v[45:46], off
	;; [unrolled: 1-line block ×3, first 2 shown]
	s_wait_loadcnt 0x5
	v_subrev_nc_u32_e32 v11, s12, v11
	s_delay_alu instid0(VALU_DEP_1) | instskip(NEXT) | instid1(VALU_DEP_1)
	v_lshl_add_u32 v81, v11, 1, v11
	v_lshlrev_b64_e32 v[53:54], 4, v[81:82]
	v_add_nc_u32_e32 v29, 1, v81
	s_delay_alu instid0(VALU_DEP_2) | instskip(SKIP_1) | instid1(VALU_DEP_3)
	v_add_co_u32 v53, vcc_lo, s10, v53
	s_wait_alu 0xfffd
	v_add_co_ci_u32_e64 v54, null, s11, v54, vcc_lo
	s_delay_alu instid0(VALU_DEP_3)
	v_lshlrev_b64_e32 v[57:58], 4, v[29:30]
	v_add_nc_u32_e32 v29, -7, v28
	global_load_b128 v[53:56], v[53:54], off
	v_lshlrev_b64_e32 v[61:62], 4, v[29:30]
	v_add_nc_u32_e32 v29, -4, v28
	v_add_co_u32 v57, vcc_lo, s10, v57
	s_wait_alu 0xfffd
	v_add_co_ci_u32_e64 v58, null, s11, v58, vcc_lo
	s_delay_alu instid0(VALU_DEP_3) | instskip(SKIP_4) | instid1(VALU_DEP_3)
	v_lshlrev_b64_e32 v[63:64], 4, v[29:30]
	v_add_nc_u32_e32 v29, -1, v28
	v_add_co_u32 v61, vcc_lo, s8, v61
	s_wait_alu 0xfffd
	v_add_co_ci_u32_e64 v62, null, s9, v62, vcc_lo
	v_lshlrev_b64_e32 v[65:66], 4, v[29:30]
	v_add_co_u32 v67, vcc_lo, s8, v63
	s_wait_alu 0xfffd
	v_add_co_ci_u32_e64 v68, null, s9, v64, vcc_lo
	global_load_b128 v[57:60], v[57:58], off
	v_add_co_u32 v69, vcc_lo, s8, v65
	s_wait_alu 0xfffd
	v_add_co_ci_u32_e64 v70, null, s9, v66, vcc_lo
	s_clause 0x2
	global_load_b128 v[61:64], v[61:62], off
	global_load_b128 v[65:68], v[67:68], off
	;; [unrolled: 1-line block ×3, first 2 shown]
	v_mov_b32_e32 v29, v30
	s_delay_alu instid0(VALU_DEP_1) | instskip(SKIP_1) | instid1(VALU_DEP_1)
	v_lshlrev_b64_e32 v[75:76], 4, v[28:29]
	v_add_nc_u32_e32 v29, 2, v81
	v_lshlrev_b64_e32 v[81:82], 4, v[29:30]
	v_add_nc_u32_e32 v29, -6, v28
	s_delay_alu instid0(VALU_DEP_4) | instskip(SKIP_2) | instid1(VALU_DEP_3)
	v_add_co_u32 v77, vcc_lo, s8, v75
	s_wait_alu 0xfffd
	v_add_co_ci_u32_e64 v78, null, s9, v76, vcc_lo
	v_lshlrev_b64_e32 v[85:86], 4, v[29:30]
	v_add_nc_u32_e32 v29, -3, v28
	v_add_co_u32 v81, vcc_lo, s10, v81
	s_wait_alu 0xfffd
	v_add_co_ci_u32_e64 v82, null, s11, v82, vcc_lo
	s_delay_alu instid0(VALU_DEP_3)
	v_lshlrev_b64_e32 v[87:88], 4, v[29:30]
	v_add_co_u32 v85, vcc_lo, s8, v85
	s_wait_alu 0xfffd
	v_add_co_ci_u32_e64 v86, null, s9, v86, vcc_lo
	s_clause 0x1
	global_load_b128 v[73:76], v[73:74], off offset:32
	global_load_b128 v[77:80], v[77:78], off
	v_add_co_u32 v89, vcc_lo, s8, v87
	s_wait_alu 0xfffd
	v_add_co_ci_u32_e64 v90, null, s9, v88, vcc_lo
	global_load_b128 v[81:84], v[81:82], off
	s_clause 0x1
	global_load_b128 v[85:88], v[85:86], off
	global_load_b128 v[89:92], v[89:90], off
	v_cmp_ge_i32_e32 vcc_lo, v10, v32
	v_add_nc_u32_e32 v28, 48, v28
	s_wait_alu 0xfffe
	s_or_b32 s2, vcc_lo, s2
	s_wait_loadcnt 0x9
	v_fma_f64 v[16:17], v[41:42], v[53:54], v[16:17]
	v_fma_f64 v[11:12], v[43:44], v[53:54], v[12:13]
	v_fma_f64 v[24:25], v[33:34], v[53:54], v[24:25]
	v_fma_f64 v[26:27], v[35:36], v[53:54], v[26:27]
	v_fma_f64 v[20:21], v[45:46], v[53:54], v[20:21]
	v_fma_f64 v[22:23], v[47:48], v[53:54], v[22:23]
	v_fma_f64 v[13:14], v[49:50], v[53:54], v[14:15]
	v_fma_f64 v[18:19], v[51:52], v[53:54], v[18:19]
	v_fma_f64 v[15:16], -v[43:44], v[55:56], v[16:17]
	v_fma_f64 v[11:12], v[41:42], v[55:56], v[11:12]
	v_fma_f64 v[24:25], -v[35:36], v[55:56], v[24:25]
	v_fma_f64 v[26:27], v[33:34], v[55:56], v[26:27]
	;; [unrolled: 2-line block ×4, first 2 shown]
	s_wait_loadcnt 0x8
	v_fma_f64 v[15:16], v[37:38], v[57:58], v[15:16]
	v_fma_f64 v[11:12], v[39:40], v[57:58], v[11:12]
	s_wait_loadcnt 0x7
	v_fma_f64 v[24:25], v[61:62], v[57:58], v[24:25]
	v_fma_f64 v[26:27], v[63:64], v[57:58], v[26:27]
	;; [unrolled: 3-line block ×4, first 2 shown]
	v_fma_f64 v[15:16], -v[39:40], v[59:60], v[15:16]
	v_fma_f64 v[11:12], v[37:38], v[59:60], v[11:12]
	v_fma_f64 v[23:24], -v[63:64], v[59:60], v[24:25]
	v_fma_f64 v[25:26], v[61:62], v[59:60], v[26:27]
	;; [unrolled: 2-line block ×4, first 2 shown]
	s_wait_loadcnt 0x2
	v_fma_f64 v[15:16], v[73:74], v[81:82], v[15:16]
	v_fma_f64 v[11:12], v[75:76], v[81:82], v[11:12]
	s_wait_loadcnt 0x1
	v_fma_f64 v[23:24], v[85:86], v[81:82], v[23:24]
	v_fma_f64 v[26:27], v[87:88], v[81:82], v[25:26]
	;; [unrolled: 3-line block ×3, first 2 shown]
	v_fma_f64 v[35:36], v[77:78], v[81:82], v[13:14]
	v_fma_f64 v[37:38], v[79:80], v[81:82], v[17:18]
	v_fma_f64 v[16:17], -v[75:76], v[83:84], v[15:16]
	v_fma_f64 v[12:13], v[73:74], v[83:84], v[11:12]
	v_fma_f64 v[24:25], -v[87:88], v[83:84], v[23:24]
	;; [unrolled: 2-line block ×4, first 2 shown]
	v_fma_f64 v[18:19], v[77:78], v[83:84], v[37:38]
	s_wait_alu 0xfffe
	s_and_not1_b32 exec_lo, exec_lo, s2
	s_cbranch_execnz .LBB121_13
; %bb.14:
	s_or_b32 exec_lo, exec_lo, s2
.LBB121_15:
	s_wait_alu 0xfffe
	s_or_b32 exec_lo, exec_lo, s3
.LBB121_16:
	v_mbcnt_lo_u32_b32 v44, -1, 0
	s_delay_alu instid0(VALU_DEP_1) | instskip(NEXT) | instid1(VALU_DEP_1)
	v_xor_b32_e32 v10, 2, v44
	v_cmp_gt_i32_e32 vcc_lo, 32, v10
	s_wait_alu 0xfffd
	v_cndmask_b32_e32 v10, v44, v10, vcc_lo
	s_delay_alu instid0(VALU_DEP_1)
	v_lshlrev_b32_e32 v30, 2, v10
	ds_bpermute_b32 v10, v30, v16
	ds_bpermute_b32 v11, v30, v17
	;; [unrolled: 1-line block ×16, first 2 shown]
	s_wait_dscnt 0xe
	v_add_f64_e32 v[10:11], v[16:17], v[10:11]
	s_wait_dscnt 0xc
	v_add_f64_e32 v[30:31], v[12:13], v[28:29]
	;; [unrolled: 2-line block ×7, first 2 shown]
	v_xor_b32_e32 v14, 1, v44
	s_wait_dscnt 0x0
	v_add_f64_e32 v[18:19], v[18:19], v[42:43]
	s_delay_alu instid0(VALU_DEP_2) | instskip(SKIP_3) | instid1(VALU_DEP_2)
	v_cmp_gt_i32_e32 vcc_lo, 32, v14
	s_wait_alu 0xfffd
	v_cndmask_b32_e32 v14, v44, v14, vcc_lo
	v_cmp_eq_u32_e32 vcc_lo, 3, v0
	v_lshlrev_b32_e32 v35, 2, v14
	ds_bpermute_b32 v40, v35, v10
	ds_bpermute_b32 v41, v35, v11
	;; [unrolled: 1-line block ×16, first 2 shown]
	s_and_b32 exec_lo, exec_lo, vcc_lo
	s_cbranch_execz .LBB121_21
; %bb.17:
	v_cmp_eq_f64_e32 vcc_lo, 0, v[5:6]
	v_cmp_eq_f64_e64 s2, 0, v[7:8]
	s_wait_dscnt 0xe
	v_add_f64_e32 v[10:11], v[10:11], v[40:41]
	s_wait_dscnt 0xc
	v_add_f64_e32 v[24:25], v[30:31], v[24:25]
	;; [unrolled: 2-line block ×8, first 2 shown]
	s_load_b64 s[0:1], s[0:1], 0x48
	s_and_b32 s2, vcc_lo, s2
	s_wait_alu 0xfffe
	s_and_saveexec_b32 s3, s2
	s_wait_alu 0xfffe
	s_xor_b32 s2, exec_lo, s3
	s_cbranch_execz .LBB121_19
; %bb.18:
	v_mul_f64_e64 v[5:6], v[24:25], -v[3:4]
	v_mul_f64_e32 v[7:8], v[1:2], v[24:25]
	v_mul_f64_e64 v[24:25], v[22:23], -v[3:4]
	v_mul_f64_e32 v[22:23], v[1:2], v[22:23]
	;; [unrolled: 2-line block ×4, first 2 shown]
	v_fma_f64 v[5:6], v[1:2], v[10:11], v[5:6]
	v_fma_f64 v[7:8], v[3:4], v[10:11], v[7:8]
	v_fma_f64 v[10:11], v[1:2], v[12:13], v[24:25]
	v_fma_f64 v[12:13], v[3:4], v[12:13], v[22:23]
	v_fma_f64 v[18:19], v[1:2], v[14:15], v[26:27]
	v_fma_f64 v[20:21], v[3:4], v[14:15], v[20:21]
	v_fma_f64 v[0:1], v[1:2], v[16:17], v[28:29]
	v_fma_f64 v[2:3], v[3:4], v[16:17], v[30:31]
	v_lshlrev_b32_e32 v14, 2, v9
                                        ; implicit-def: $vgpr9
                                        ; implicit-def: $vgpr24_vgpr25
                                        ; implicit-def: $vgpr22_vgpr23
                                        ; implicit-def: $vgpr16_vgpr17
	s_delay_alu instid0(VALU_DEP_1) | instskip(NEXT) | instid1(VALU_DEP_1)
	v_ashrrev_i32_e32 v15, 31, v14
	v_lshlrev_b64_e32 v[14:15], 4, v[14:15]
	s_wait_kmcnt 0x0
	s_delay_alu instid0(VALU_DEP_1) | instskip(SKIP_1) | instid1(VALU_DEP_2)
	v_add_co_u32 v14, vcc_lo, s0, v14
	s_wait_alu 0xfffd
	v_add_co_ci_u32_e64 v15, null, s1, v15, vcc_lo
	s_clause 0x3
	global_store_b128 v[14:15], v[5:8], off
	global_store_b128 v[14:15], v[10:13], off offset:16
	global_store_b128 v[14:15], v[18:21], off offset:32
	;; [unrolled: 1-line block ×3, first 2 shown]
                                        ; implicit-def: $vgpr10_vgpr11
                                        ; implicit-def: $vgpr12_vgpr13
                                        ; implicit-def: $vgpr14_vgpr15
                                        ; implicit-def: $vgpr20_vgpr21
                                        ; implicit-def: $vgpr18_vgpr19
                                        ; implicit-def: $vgpr7_vgpr8
                                        ; implicit-def: $vgpr3_vgpr4
.LBB121_19:
	s_wait_alu 0xfffe
	s_and_not1_saveexec_b32 s2, s2
	s_cbranch_execz .LBB121_21
; %bb.20:
	v_lshlrev_b32_e32 v26, 2, v9
	v_mul_f64_e64 v[44:45], v[24:25], -v[3:4]
	v_mul_f64_e32 v[24:25], v[1:2], v[24:25]
	v_mul_f64_e64 v[46:47], v[22:23], -v[3:4]
	v_mul_f64_e32 v[22:23], v[1:2], v[22:23]
	v_ashrrev_i32_e32 v27, 31, v26
	v_mul_f64_e64 v[48:49], v[20:21], -v[3:4]
	v_mul_f64_e32 v[20:21], v[1:2], v[20:21]
	v_mul_f64_e64 v[50:51], v[18:19], -v[3:4]
	v_mul_f64_e32 v[18:19], v[1:2], v[18:19]
	v_lshlrev_b64_e32 v[26:27], 4, v[26:27]
	s_wait_kmcnt 0x0
	s_delay_alu instid0(VALU_DEP_1) | instskip(SKIP_1) | instid1(VALU_DEP_2)
	v_add_co_u32 v42, vcc_lo, s0, v26
	s_wait_alu 0xfffd
	v_add_co_ci_u32_e64 v43, null, s1, v27, vcc_lo
	s_clause 0x3
	global_load_b128 v[26:29], v[42:43], off
	global_load_b128 v[30:33], v[42:43], off offset:16
	global_load_b128 v[34:37], v[42:43], off offset:32
	;; [unrolled: 1-line block ×3, first 2 shown]
	v_fma_f64 v[44:45], v[1:2], v[10:11], v[44:45]
	v_fma_f64 v[9:10], v[3:4], v[10:11], v[24:25]
	v_fma_f64 v[24:25], v[1:2], v[12:13], v[46:47]
	v_fma_f64 v[11:12], v[3:4], v[12:13], v[22:23]
	v_fma_f64 v[22:23], v[1:2], v[14:15], v[48:49]
	v_fma_f64 v[13:14], v[3:4], v[14:15], v[20:21]
	v_fma_f64 v[0:1], v[1:2], v[16:17], v[50:51]
	v_fma_f64 v[2:3], v[3:4], v[16:17], v[18:19]
	s_wait_loadcnt 0x3
	v_fma_f64 v[15:16], v[5:6], v[26:27], v[44:45]
	v_fma_f64 v[9:10], v[7:8], v[26:27], v[9:10]
	s_wait_loadcnt 0x2
	v_fma_f64 v[17:18], v[5:6], v[30:31], v[24:25]
	v_fma_f64 v[11:12], v[7:8], v[30:31], v[11:12]
	;; [unrolled: 3-line block ×4, first 2 shown]
	v_fma_f64 v[0:1], -v[7:8], v[28:29], v[15:16]
	v_fma_f64 v[2:3], v[5:6], v[28:29], v[9:10]
	v_fma_f64 v[9:10], -v[7:8], v[32:33], v[17:18]
	v_fma_f64 v[11:12], v[5:6], v[32:33], v[11:12]
	;; [unrolled: 2-line block ×4, first 2 shown]
	s_clause 0x3
	global_store_b128 v[42:43], v[0:3], off
	global_store_b128 v[42:43], v[9:12], off offset:16
	global_store_b128 v[42:43], v[13:16], off offset:32
	;; [unrolled: 1-line block ×3, first 2 shown]
.LBB121_21:
	s_endpgm
	.section	.rodata,"a",@progbits
	.p2align	6, 0x0
	.amdhsa_kernel _ZN9rocsparseL19gebsrmvn_4xn_kernelILj128ELj3ELj4E21rocsparse_complex_numIdEEEvi20rocsparse_direction_NS_24const_host_device_scalarIT2_EEPKiS8_PKS5_SA_S6_PS5_21rocsparse_index_base_b
		.amdhsa_group_segment_fixed_size 0
		.amdhsa_private_segment_fixed_size 0
		.amdhsa_kernarg_size 88
		.amdhsa_user_sgpr_count 2
		.amdhsa_user_sgpr_dispatch_ptr 0
		.amdhsa_user_sgpr_queue_ptr 0
		.amdhsa_user_sgpr_kernarg_segment_ptr 1
		.amdhsa_user_sgpr_dispatch_id 0
		.amdhsa_user_sgpr_private_segment_size 0
		.amdhsa_wavefront_size32 1
		.amdhsa_uses_dynamic_stack 0
		.amdhsa_enable_private_segment 0
		.amdhsa_system_sgpr_workgroup_id_x 1
		.amdhsa_system_sgpr_workgroup_id_y 0
		.amdhsa_system_sgpr_workgroup_id_z 0
		.amdhsa_system_sgpr_workgroup_info 0
		.amdhsa_system_vgpr_workitem_id 0
		.amdhsa_next_free_vgpr 93
		.amdhsa_next_free_sgpr 14
		.amdhsa_reserve_vcc 1
		.amdhsa_float_round_mode_32 0
		.amdhsa_float_round_mode_16_64 0
		.amdhsa_float_denorm_mode_32 3
		.amdhsa_float_denorm_mode_16_64 3
		.amdhsa_fp16_overflow 0
		.amdhsa_workgroup_processor_mode 1
		.amdhsa_memory_ordered 1
		.amdhsa_forward_progress 1
		.amdhsa_inst_pref_size 30
		.amdhsa_round_robin_scheduling 0
		.amdhsa_exception_fp_ieee_invalid_op 0
		.amdhsa_exception_fp_denorm_src 0
		.amdhsa_exception_fp_ieee_div_zero 0
		.amdhsa_exception_fp_ieee_overflow 0
		.amdhsa_exception_fp_ieee_underflow 0
		.amdhsa_exception_fp_ieee_inexact 0
		.amdhsa_exception_int_div_zero 0
	.end_amdhsa_kernel
	.section	.text._ZN9rocsparseL19gebsrmvn_4xn_kernelILj128ELj3ELj4E21rocsparse_complex_numIdEEEvi20rocsparse_direction_NS_24const_host_device_scalarIT2_EEPKiS8_PKS5_SA_S6_PS5_21rocsparse_index_base_b,"axG",@progbits,_ZN9rocsparseL19gebsrmvn_4xn_kernelILj128ELj3ELj4E21rocsparse_complex_numIdEEEvi20rocsparse_direction_NS_24const_host_device_scalarIT2_EEPKiS8_PKS5_SA_S6_PS5_21rocsparse_index_base_b,comdat
.Lfunc_end121:
	.size	_ZN9rocsparseL19gebsrmvn_4xn_kernelILj128ELj3ELj4E21rocsparse_complex_numIdEEEvi20rocsparse_direction_NS_24const_host_device_scalarIT2_EEPKiS8_PKS5_SA_S6_PS5_21rocsparse_index_base_b, .Lfunc_end121-_ZN9rocsparseL19gebsrmvn_4xn_kernelILj128ELj3ELj4E21rocsparse_complex_numIdEEEvi20rocsparse_direction_NS_24const_host_device_scalarIT2_EEPKiS8_PKS5_SA_S6_PS5_21rocsparse_index_base_b
                                        ; -- End function
	.set _ZN9rocsparseL19gebsrmvn_4xn_kernelILj128ELj3ELj4E21rocsparse_complex_numIdEEEvi20rocsparse_direction_NS_24const_host_device_scalarIT2_EEPKiS8_PKS5_SA_S6_PS5_21rocsparse_index_base_b.num_vgpr, 93
	.set _ZN9rocsparseL19gebsrmvn_4xn_kernelILj128ELj3ELj4E21rocsparse_complex_numIdEEEvi20rocsparse_direction_NS_24const_host_device_scalarIT2_EEPKiS8_PKS5_SA_S6_PS5_21rocsparse_index_base_b.num_agpr, 0
	.set _ZN9rocsparseL19gebsrmvn_4xn_kernelILj128ELj3ELj4E21rocsparse_complex_numIdEEEvi20rocsparse_direction_NS_24const_host_device_scalarIT2_EEPKiS8_PKS5_SA_S6_PS5_21rocsparse_index_base_b.numbered_sgpr, 14
	.set _ZN9rocsparseL19gebsrmvn_4xn_kernelILj128ELj3ELj4E21rocsparse_complex_numIdEEEvi20rocsparse_direction_NS_24const_host_device_scalarIT2_EEPKiS8_PKS5_SA_S6_PS5_21rocsparse_index_base_b.num_named_barrier, 0
	.set _ZN9rocsparseL19gebsrmvn_4xn_kernelILj128ELj3ELj4E21rocsparse_complex_numIdEEEvi20rocsparse_direction_NS_24const_host_device_scalarIT2_EEPKiS8_PKS5_SA_S6_PS5_21rocsparse_index_base_b.private_seg_size, 0
	.set _ZN9rocsparseL19gebsrmvn_4xn_kernelILj128ELj3ELj4E21rocsparse_complex_numIdEEEvi20rocsparse_direction_NS_24const_host_device_scalarIT2_EEPKiS8_PKS5_SA_S6_PS5_21rocsparse_index_base_b.uses_vcc, 1
	.set _ZN9rocsparseL19gebsrmvn_4xn_kernelILj128ELj3ELj4E21rocsparse_complex_numIdEEEvi20rocsparse_direction_NS_24const_host_device_scalarIT2_EEPKiS8_PKS5_SA_S6_PS5_21rocsparse_index_base_b.uses_flat_scratch, 0
	.set _ZN9rocsparseL19gebsrmvn_4xn_kernelILj128ELj3ELj4E21rocsparse_complex_numIdEEEvi20rocsparse_direction_NS_24const_host_device_scalarIT2_EEPKiS8_PKS5_SA_S6_PS5_21rocsparse_index_base_b.has_dyn_sized_stack, 0
	.set _ZN9rocsparseL19gebsrmvn_4xn_kernelILj128ELj3ELj4E21rocsparse_complex_numIdEEEvi20rocsparse_direction_NS_24const_host_device_scalarIT2_EEPKiS8_PKS5_SA_S6_PS5_21rocsparse_index_base_b.has_recursion, 0
	.set _ZN9rocsparseL19gebsrmvn_4xn_kernelILj128ELj3ELj4E21rocsparse_complex_numIdEEEvi20rocsparse_direction_NS_24const_host_device_scalarIT2_EEPKiS8_PKS5_SA_S6_PS5_21rocsparse_index_base_b.has_indirect_call, 0
	.section	.AMDGPU.csdata,"",@progbits
; Kernel info:
; codeLenInByte = 3756
; TotalNumSgprs: 16
; NumVgprs: 93
; ScratchSize: 0
; MemoryBound: 0
; FloatMode: 240
; IeeeMode: 1
; LDSByteSize: 0 bytes/workgroup (compile time only)
; SGPRBlocks: 0
; VGPRBlocks: 11
; NumSGPRsForWavesPerEU: 16
; NumVGPRsForWavesPerEU: 93
; Occupancy: 16
; WaveLimiterHint : 1
; COMPUTE_PGM_RSRC2:SCRATCH_EN: 0
; COMPUTE_PGM_RSRC2:USER_SGPR: 2
; COMPUTE_PGM_RSRC2:TRAP_HANDLER: 0
; COMPUTE_PGM_RSRC2:TGID_X_EN: 1
; COMPUTE_PGM_RSRC2:TGID_Y_EN: 0
; COMPUTE_PGM_RSRC2:TGID_Z_EN: 0
; COMPUTE_PGM_RSRC2:TIDIG_COMP_CNT: 0
	.section	.text._ZN9rocsparseL19gebsrmvn_4xn_kernelILj128ELj3ELj8E21rocsparse_complex_numIdEEEvi20rocsparse_direction_NS_24const_host_device_scalarIT2_EEPKiS8_PKS5_SA_S6_PS5_21rocsparse_index_base_b,"axG",@progbits,_ZN9rocsparseL19gebsrmvn_4xn_kernelILj128ELj3ELj8E21rocsparse_complex_numIdEEEvi20rocsparse_direction_NS_24const_host_device_scalarIT2_EEPKiS8_PKS5_SA_S6_PS5_21rocsparse_index_base_b,comdat
	.globl	_ZN9rocsparseL19gebsrmvn_4xn_kernelILj128ELj3ELj8E21rocsparse_complex_numIdEEEvi20rocsparse_direction_NS_24const_host_device_scalarIT2_EEPKiS8_PKS5_SA_S6_PS5_21rocsparse_index_base_b ; -- Begin function _ZN9rocsparseL19gebsrmvn_4xn_kernelILj128ELj3ELj8E21rocsparse_complex_numIdEEEvi20rocsparse_direction_NS_24const_host_device_scalarIT2_EEPKiS8_PKS5_SA_S6_PS5_21rocsparse_index_base_b
	.p2align	8
	.type	_ZN9rocsparseL19gebsrmvn_4xn_kernelILj128ELj3ELj8E21rocsparse_complex_numIdEEEvi20rocsparse_direction_NS_24const_host_device_scalarIT2_EEPKiS8_PKS5_SA_S6_PS5_21rocsparse_index_base_b,@function
_ZN9rocsparseL19gebsrmvn_4xn_kernelILj128ELj3ELj8E21rocsparse_complex_numIdEEEvi20rocsparse_direction_NS_24const_host_device_scalarIT2_EEPKiS8_PKS5_SA_S6_PS5_21rocsparse_index_base_b: ; @_ZN9rocsparseL19gebsrmvn_4xn_kernelILj128ELj3ELj8E21rocsparse_complex_numIdEEEvi20rocsparse_direction_NS_24const_host_device_scalarIT2_EEPKiS8_PKS5_SA_S6_PS5_21rocsparse_index_base_b
; %bb.0:
	s_clause 0x1
	s_load_b64 s[12:13], s[0:1], 0x50
	s_load_b64 s[2:3], s[0:1], 0x8
	s_add_nc_u64 s[4:5], s[0:1], 8
	s_load_b64 s[6:7], s[0:1], 0x38
	s_wait_kmcnt 0x0
	s_bitcmp1_b32 s13, 0
	s_cselect_b32 s2, s4, s2
	s_cselect_b32 s3, s5, s3
	s_delay_alu instid0(SALU_CYCLE_1)
	v_dual_mov_b32 v1, s2 :: v_dual_mov_b32 v2, s3
	s_add_nc_u64 s[2:3], s[0:1], 56
	s_wait_alu 0xfffe
	s_cselect_b32 s2, s2, s6
	s_cselect_b32 s3, s3, s7
	flat_load_b128 v[1:4], v[1:2]
	s_wait_alu 0xfffe
	v_dual_mov_b32 v5, s2 :: v_dual_mov_b32 v6, s3
	flat_load_b128 v[5:8], v[5:6]
	s_wait_loadcnt_dscnt 0x101
	v_cmp_eq_f64_e32 vcc_lo, 0, v[1:2]
	v_cmp_eq_f64_e64 s2, 0, v[3:4]
	s_and_b32 s4, vcc_lo, s2
	s_mov_b32 s2, -1
	s_and_saveexec_b32 s3, s4
	s_cbranch_execz .LBB122_2
; %bb.1:
	s_wait_loadcnt_dscnt 0x0
	v_cmp_neq_f64_e32 vcc_lo, 1.0, v[5:6]
	v_cmp_neq_f64_e64 s2, 0, v[7:8]
	s_wait_alu 0xfffe
	s_or_b32 s2, vcc_lo, s2
	s_wait_alu 0xfffe
	s_or_not1_b32 s2, s2, exec_lo
.LBB122_2:
	s_wait_alu 0xfffe
	s_or_b32 exec_lo, exec_lo, s3
	s_and_saveexec_b32 s3, s2
	s_cbranch_execz .LBB122_21
; %bb.3:
	s_load_b64 s[2:3], s[0:1], 0x0
	v_lshrrev_b32_e32 v9, 3, v0
	s_delay_alu instid0(VALU_DEP_1) | instskip(SKIP_1) | instid1(VALU_DEP_1)
	v_lshl_or_b32 v9, ttmp9, 4, v9
	s_wait_kmcnt 0x0
	v_cmp_gt_i32_e32 vcc_lo, s2, v9
	s_and_b32 exec_lo, exec_lo, vcc_lo
	s_cbranch_execz .LBB122_21
; %bb.4:
	s_load_b256 s[4:11], s[0:1], 0x18
	v_ashrrev_i32_e32 v10, 31, v9
	v_and_b32_e32 v0, 7, v0
	s_cmp_lg_u32 s3, 0
	s_delay_alu instid0(VALU_DEP_2) | instskip(SKIP_1) | instid1(VALU_DEP_1)
	v_lshlrev_b64_e32 v[10:11], 2, v[9:10]
	s_wait_kmcnt 0x0
	v_add_co_u32 v10, vcc_lo, s4, v10
	s_delay_alu instid0(VALU_DEP_1) | instskip(SKIP_4) | instid1(VALU_DEP_2)
	v_add_co_ci_u32_e64 v11, null, s5, v11, vcc_lo
	global_load_b64 v[10:11], v[10:11], off
	s_wait_loadcnt 0x0
	v_subrev_nc_u32_e32 v10, s12, v10
	v_subrev_nc_u32_e32 v32, s12, v11
	v_add_nc_u32_e32 v18, v10, v0
	s_delay_alu instid0(VALU_DEP_1)
	v_cmp_lt_i32_e64 s2, v18, v32
	s_cbranch_scc0 .LBB122_10
; %bb.5:
	v_mov_b32_e32 v10, 0
	v_mov_b32_e32 v12, 0
	;; [unrolled: 1-line block ×3, first 2 shown]
	v_dual_mov_b32 v24, 0 :: v_dual_mov_b32 v11, 0
	v_dual_mov_b32 v14, 0 :: v_dual_mov_b32 v13, 0
	;; [unrolled: 1-line block ×5, first 2 shown]
	v_mov_b32_e32 v17, 0
	v_mov_b32_e32 v23, 0
	;; [unrolled: 1-line block ×3, first 2 shown]
	s_and_saveexec_b32 s3, s2
	s_cbranch_execz .LBB122_9
; %bb.6:
	v_dual_mov_b32 v10, 0 :: v_dual_mov_b32 v29, 0
	v_dual_mov_b32 v11, 0 :: v_dual_mov_b32 v14, 0
	;; [unrolled: 1-line block ×5, first 2 shown]
	v_mul_lo_u32 v28, v18, 12
	v_dual_mov_b32 v21, 0 :: v_dual_mov_b32 v22, 0
	v_dual_mov_b32 v23, 0 :: v_dual_mov_b32 v24, 0
	;; [unrolled: 1-line block ×4, first 2 shown]
	s_mov_b32 s4, 0
.LBB122_7:                              ; =>This Inner Loop Header: Depth=1
	s_delay_alu instid0(VALU_DEP_1) | instskip(SKIP_2) | instid1(VALU_DEP_3)
	v_ashrrev_i32_e32 v31, 31, v30
	v_dual_mov_b32 v90, v29 :: v_dual_add_nc_u32 v53, 4, v28
	v_dual_mov_b32 v70, v29 :: v_dual_add_nc_u32 v73, 8, v28
	v_lshlrev_b64_e32 v[33:34], 2, v[30:31]
	v_add_nc_u32_e32 v30, 8, v30
	s_delay_alu instid0(VALU_DEP_2) | instskip(SKIP_1) | instid1(VALU_DEP_3)
	v_add_co_u32 v33, vcc_lo, s6, v33
	s_wait_alu 0xfffd
	v_add_co_ci_u32_e64 v34, null, s7, v34, vcc_lo
	global_load_b32 v19, v[33:34], off
	v_lshlrev_b64_e32 v[33:34], 4, v[28:29]
	v_add_nc_u32_e32 v28, 0x60, v28
	s_delay_alu instid0(VALU_DEP_2) | instskip(SKIP_1) | instid1(VALU_DEP_3)
	v_add_co_u32 v45, vcc_lo, s8, v33
	s_wait_alu 0xfffd
	v_add_co_ci_u32_e64 v46, null, s9, v34, vcc_lo
	s_clause 0x3
	global_load_b128 v[33:36], v[45:46], off offset:48
	global_load_b128 v[37:40], v[45:46], off offset:32
	;; [unrolled: 1-line block ×3, first 2 shown]
	global_load_b128 v[45:48], v[45:46], off
	s_wait_loadcnt 0x4
	v_subrev_nc_u32_e32 v19, s12, v19
	s_delay_alu instid0(VALU_DEP_1) | instskip(SKIP_2) | instid1(VALU_DEP_3)
	v_lshl_add_u32 v89, v19, 1, v19
	v_mov_b32_e32 v54, v29
	v_mov_b32_e32 v74, v29
	v_lshlrev_b64_e32 v[49:50], 4, v[89:90]
	v_add_nc_u32_e32 v69, 1, v89
	s_delay_alu instid0(VALU_DEP_4) | instskip(SKIP_2) | instid1(VALU_DEP_4)
	v_lshlrev_b64_e32 v[53:54], 4, v[53:54]
	v_add_nc_u32_e32 v89, 2, v89
	v_lshlrev_b64_e32 v[73:74], 4, v[73:74]
	v_lshlrev_b64_e32 v[69:70], 4, v[69:70]
	v_add_co_u32 v49, vcc_lo, s10, v49
	s_wait_alu 0xfffd
	v_add_co_ci_u32_e64 v50, null, s11, v50, vcc_lo
	v_add_co_u32 v65, vcc_lo, s8, v53
	s_wait_alu 0xfffd
	v_add_co_ci_u32_e64 v66, null, s9, v54, vcc_lo
	global_load_b128 v[49:52], v[49:50], off
	v_add_co_u32 v69, vcc_lo, s10, v69
	s_wait_alu 0xfffd
	v_add_co_ci_u32_e64 v70, null, s11, v70, vcc_lo
	s_clause 0x3
	global_load_b128 v[53:56], v[65:66], off offset:48
	global_load_b128 v[57:60], v[65:66], off offset:32
	global_load_b128 v[61:64], v[65:66], off offset:16
	global_load_b128 v[65:68], v[65:66], off
	v_lshlrev_b64_e32 v[89:90], 4, v[89:90]
	v_add_co_u32 v85, vcc_lo, s8, v73
	global_load_b128 v[69:72], v[69:70], off
	s_wait_alu 0xfffd
	v_add_co_ci_u32_e64 v86, null, s9, v74, vcc_lo
	v_add_co_u32 v89, vcc_lo, s10, v89
	s_wait_alu 0xfffd
	v_add_co_ci_u32_e64 v90, null, s11, v90, vcc_lo
	s_clause 0x3
	global_load_b128 v[73:76], v[85:86], off offset:48
	global_load_b128 v[77:80], v[85:86], off offset:32
	;; [unrolled: 1-line block ×3, first 2 shown]
	global_load_b128 v[85:88], v[85:86], off
	v_cmp_ge_i32_e32 vcc_lo, v30, v32
	global_load_b128 v[89:92], v[89:90], off
	s_wait_alu 0xfffe
	s_or_b32 s4, vcc_lo, s4
	s_wait_loadcnt 0xa
	v_fma_f64 v[14:15], v[45:46], v[49:50], v[14:15]
	v_fma_f64 v[10:11], v[47:48], v[49:50], v[10:11]
	v_fma_f64 v[24:25], v[41:42], v[49:50], v[24:25]
	v_fma_f64 v[26:27], v[43:44], v[49:50], v[26:27]
	v_fma_f64 v[19:20], v[37:38], v[49:50], v[20:21]
	v_fma_f64 v[21:22], v[39:40], v[49:50], v[22:23]
	v_fma_f64 v[12:13], v[33:34], v[49:50], v[12:13]
	v_fma_f64 v[16:17], v[35:36], v[49:50], v[16:17]
	v_fma_f64 v[14:15], -v[47:48], v[51:52], v[14:15]
	v_fma_f64 v[10:11], v[45:46], v[51:52], v[10:11]
	v_fma_f64 v[23:24], -v[43:44], v[51:52], v[24:25]
	v_fma_f64 v[25:26], v[41:42], v[51:52], v[26:27]
	v_fma_f64 v[19:20], -v[39:40], v[51:52], v[19:20]
	v_fma_f64 v[21:22], v[37:38], v[51:52], v[21:22]
	v_fma_f64 v[12:13], -v[35:36], v[51:52], v[12:13]
	v_fma_f64 v[16:17], v[33:34], v[51:52], v[16:17]
	s_wait_loadcnt 0x5
	v_fma_f64 v[14:15], v[65:66], v[69:70], v[14:15]
	v_fma_f64 v[10:11], v[67:68], v[69:70], v[10:11]
	v_fma_f64 v[23:24], v[61:62], v[69:70], v[23:24]
	v_fma_f64 v[25:26], v[63:64], v[69:70], v[25:26]
	v_fma_f64 v[19:20], v[57:58], v[69:70], v[19:20]
	v_fma_f64 v[21:22], v[59:60], v[69:70], v[21:22]
	v_fma_f64 v[12:13], v[53:54], v[69:70], v[12:13]
	v_fma_f64 v[16:17], v[55:56], v[69:70], v[16:17]
	v_fma_f64 v[14:15], -v[67:68], v[71:72], v[14:15]
	v_fma_f64 v[10:11], v[65:66], v[71:72], v[10:11]
	v_fma_f64 v[23:24], -v[63:64], v[71:72], v[23:24]
	v_fma_f64 v[25:26], v[61:62], v[71:72], v[25:26]
	v_fma_f64 v[19:20], -v[59:60], v[71:72], v[19:20]
	v_fma_f64 v[21:22], v[57:58], v[71:72], v[21:22]
	v_fma_f64 v[12:13], -v[55:56], v[71:72], v[12:13]
	v_fma_f64 v[16:17], v[53:54], v[71:72], v[16:17]
	s_wait_loadcnt 0x0
	v_fma_f64 v[14:15], v[85:86], v[89:90], v[14:15]
	v_fma_f64 v[10:11], v[87:88], v[89:90], v[10:11]
	v_fma_f64 v[23:24], v[81:82], v[89:90], v[23:24]
	v_fma_f64 v[26:27], v[83:84], v[89:90], v[25:26]
	v_fma_f64 v[19:20], v[77:78], v[89:90], v[19:20]
	v_fma_f64 v[33:34], v[79:80], v[89:90], v[21:22]
	v_fma_f64 v[12:13], v[73:74], v[89:90], v[12:13]
	v_fma_f64 v[16:17], v[75:76], v[89:90], v[16:17]
	v_fma_f64 v[14:15], -v[87:88], v[91:92], v[14:15]
	v_fma_f64 v[10:11], v[85:86], v[91:92], v[10:11]
	v_fma_f64 v[24:25], -v[83:84], v[91:92], v[23:24]
	v_fma_f64 v[26:27], v[81:82], v[91:92], v[26:27]
	v_fma_f64 v[20:21], -v[79:80], v[91:92], v[19:20]
	v_fma_f64 v[22:23], v[77:78], v[91:92], v[33:34]
	v_fma_f64 v[12:13], -v[75:76], v[91:92], v[12:13]
	v_fma_f64 v[16:17], v[73:74], v[91:92], v[16:17]
	s_wait_alu 0xfffe
	s_and_not1_b32 exec_lo, exec_lo, s4
	s_cbranch_execnz .LBB122_7
; %bb.8:
	s_or_b32 exec_lo, exec_lo, s4
.LBB122_9:
	s_wait_alu 0xfffe
	s_or_b32 exec_lo, exec_lo, s3
	s_cbranch_execz .LBB122_11
	s_branch .LBB122_16
.LBB122_10:
                                        ; implicit-def: $vgpr10_vgpr11
                                        ; implicit-def: $vgpr14_vgpr15
                                        ; implicit-def: $vgpr12_vgpr13
                                        ; implicit-def: $vgpr16_vgpr17
                                        ; implicit-def: $vgpr20_vgpr21
                                        ; implicit-def: $vgpr22_vgpr23
                                        ; implicit-def: $vgpr24_vgpr25
                                        ; implicit-def: $vgpr26_vgpr27
.LBB122_11:
	v_mov_b32_e32 v10, 0
	v_mov_b32_e32 v12, 0
	;; [unrolled: 1-line block ×3, first 2 shown]
	v_dual_mov_b32 v24, 0 :: v_dual_mov_b32 v11, 0
	v_dual_mov_b32 v14, 0 :: v_dual_mov_b32 v13, 0
	;; [unrolled: 1-line block ×5, first 2 shown]
	v_mov_b32_e32 v17, 0
	v_mov_b32_e32 v23, 0
	;; [unrolled: 1-line block ×3, first 2 shown]
	s_and_saveexec_b32 s3, s2
	s_cbranch_execz .LBB122_15
; %bb.12:
	v_mad_co_u64_u32 v[28:29], null, v18, 12, 11
	v_mov_b32_e32 v10, 0
	v_mov_b32_e32 v12, 0
	;; [unrolled: 1-line block ×3, first 2 shown]
	v_dual_mov_b32 v24, 0 :: v_dual_mov_b32 v11, 0
	v_dual_mov_b32 v14, 0 :: v_dual_mov_b32 v13, 0
	v_dual_mov_b32 v16, 0 :: v_dual_mov_b32 v21, 0
	v_dual_mov_b32 v22, 0 :: v_dual_mov_b32 v25, 0
	v_dual_mov_b32 v26, 0 :: v_dual_mov_b32 v15, 0
	v_mov_b32_e32 v17, 0
	v_mov_b32_e32 v23, 0
	v_dual_mov_b32 v27, 0 :: v_dual_mov_b32 v30, 0
	s_mov_b32 s2, 0
.LBB122_13:                             ; =>This Inner Loop Header: Depth=1
	v_ashrrev_i32_e32 v19, 31, v18
	s_delay_alu instid0(VALU_DEP_2) | instskip(SKIP_1) | instid1(VALU_DEP_3)
	v_dual_mov_b32 v82, v30 :: v_dual_add_nc_u32 v29, -11, v28
	v_dual_mov_b32 v36, v30 :: v_dual_add_nc_u32 v35, -2, v28
	v_lshlrev_b64_e32 v[33:34], 2, v[18:19]
	s_delay_alu instid0(VALU_DEP_3) | instskip(SKIP_1) | instid1(VALU_DEP_4)
	v_lshlrev_b64_e32 v[37:38], 4, v[29:30]
	v_add_nc_u32_e32 v18, 8, v18
	v_lshlrev_b64_e32 v[35:36], 4, v[35:36]
	s_delay_alu instid0(VALU_DEP_4)
	v_add_co_u32 v33, vcc_lo, s6, v33
	s_wait_alu 0xfffd
	v_add_co_ci_u32_e64 v34, null, s7, v34, vcc_lo
	v_add_co_u32 v73, vcc_lo, s8, v37
	s_wait_alu 0xfffd
	v_add_co_ci_u32_e64 v74, null, s9, v38, vcc_lo
	global_load_b32 v19, v[33:34], off
	v_dual_mov_b32 v34, v30 :: v_dual_add_nc_u32 v33, -5, v28
	s_delay_alu instid0(VALU_DEP_1) | instskip(NEXT) | instid1(VALU_DEP_1)
	v_lshlrev_b64_e32 v[33:34], 4, v[33:34]
	v_add_co_u32 v45, vcc_lo, s8, v33
	s_wait_alu 0xfffd
	s_delay_alu instid0(VALU_DEP_2)
	v_add_co_ci_u32_e64 v46, null, s9, v34, vcc_lo
	v_add_co_u32 v49, vcc_lo, s8, v35
	s_wait_alu 0xfffd
	v_add_co_ci_u32_e64 v50, null, s9, v36, vcc_lo
	s_clause 0x4
	global_load_b128 v[33:36], v[73:74], off offset:48
	global_load_b128 v[37:40], v[73:74], off offset:16
	global_load_b128 v[41:44], v[73:74], off
	global_load_b128 v[45:48], v[45:46], off
	;; [unrolled: 1-line block ×3, first 2 shown]
	s_wait_loadcnt 0x5
	v_subrev_nc_u32_e32 v19, s12, v19
	s_delay_alu instid0(VALU_DEP_1) | instskip(NEXT) | instid1(VALU_DEP_1)
	v_lshl_add_u32 v81, v19, 1, v19
	v_lshlrev_b64_e32 v[53:54], 4, v[81:82]
	v_add_nc_u32_e32 v29, 1, v81
	s_delay_alu instid0(VALU_DEP_2) | instskip(SKIP_1) | instid1(VALU_DEP_3)
	v_add_co_u32 v53, vcc_lo, s10, v53
	s_wait_alu 0xfffd
	v_add_co_ci_u32_e64 v54, null, s11, v54, vcc_lo
	s_delay_alu instid0(VALU_DEP_3)
	v_lshlrev_b64_e32 v[57:58], 4, v[29:30]
	v_add_nc_u32_e32 v29, -7, v28
	global_load_b128 v[53:56], v[53:54], off
	v_lshlrev_b64_e32 v[61:62], 4, v[29:30]
	v_add_nc_u32_e32 v29, -4, v28
	v_add_co_u32 v57, vcc_lo, s10, v57
	s_wait_alu 0xfffd
	v_add_co_ci_u32_e64 v58, null, s11, v58, vcc_lo
	s_delay_alu instid0(VALU_DEP_3) | instskip(SKIP_4) | instid1(VALU_DEP_3)
	v_lshlrev_b64_e32 v[63:64], 4, v[29:30]
	v_add_nc_u32_e32 v29, -1, v28
	v_add_co_u32 v61, vcc_lo, s8, v61
	s_wait_alu 0xfffd
	v_add_co_ci_u32_e64 v62, null, s9, v62, vcc_lo
	v_lshlrev_b64_e32 v[65:66], 4, v[29:30]
	v_add_co_u32 v67, vcc_lo, s8, v63
	s_wait_alu 0xfffd
	v_add_co_ci_u32_e64 v68, null, s9, v64, vcc_lo
	global_load_b128 v[57:60], v[57:58], off
	v_add_co_u32 v69, vcc_lo, s8, v65
	s_wait_alu 0xfffd
	v_add_co_ci_u32_e64 v70, null, s9, v66, vcc_lo
	s_clause 0x2
	global_load_b128 v[61:64], v[61:62], off
	global_load_b128 v[65:68], v[67:68], off
	;; [unrolled: 1-line block ×3, first 2 shown]
	v_mov_b32_e32 v29, v30
	s_delay_alu instid0(VALU_DEP_1) | instskip(SKIP_1) | instid1(VALU_DEP_1)
	v_lshlrev_b64_e32 v[75:76], 4, v[28:29]
	v_add_nc_u32_e32 v29, 2, v81
	v_lshlrev_b64_e32 v[81:82], 4, v[29:30]
	v_add_nc_u32_e32 v29, -6, v28
	s_delay_alu instid0(VALU_DEP_4) | instskip(SKIP_2) | instid1(VALU_DEP_3)
	v_add_co_u32 v77, vcc_lo, s8, v75
	s_wait_alu 0xfffd
	v_add_co_ci_u32_e64 v78, null, s9, v76, vcc_lo
	v_lshlrev_b64_e32 v[85:86], 4, v[29:30]
	v_add_nc_u32_e32 v29, -3, v28
	v_add_co_u32 v81, vcc_lo, s10, v81
	s_wait_alu 0xfffd
	v_add_co_ci_u32_e64 v82, null, s11, v82, vcc_lo
	s_delay_alu instid0(VALU_DEP_3)
	v_lshlrev_b64_e32 v[87:88], 4, v[29:30]
	v_add_co_u32 v85, vcc_lo, s8, v85
	s_wait_alu 0xfffd
	v_add_co_ci_u32_e64 v86, null, s9, v86, vcc_lo
	s_clause 0x1
	global_load_b128 v[73:76], v[73:74], off offset:32
	global_load_b128 v[77:80], v[77:78], off
	v_add_co_u32 v89, vcc_lo, s8, v87
	s_wait_alu 0xfffd
	v_add_co_ci_u32_e64 v90, null, s9, v88, vcc_lo
	global_load_b128 v[81:84], v[81:82], off
	s_clause 0x1
	global_load_b128 v[85:88], v[85:86], off
	global_load_b128 v[89:92], v[89:90], off
	v_cmp_ge_i32_e32 vcc_lo, v18, v32
	v_add_nc_u32_e32 v28, 0x60, v28
	s_wait_alu 0xfffe
	s_or_b32 s2, vcc_lo, s2
	s_wait_loadcnt 0x9
	v_fma_f64 v[14:15], v[41:42], v[53:54], v[14:15]
	v_fma_f64 v[10:11], v[43:44], v[53:54], v[10:11]
	;; [unrolled: 1-line block ×8, first 2 shown]
	v_fma_f64 v[14:15], -v[43:44], v[55:56], v[14:15]
	v_fma_f64 v[10:11], v[41:42], v[55:56], v[10:11]
	v_fma_f64 v[23:24], -v[35:36], v[55:56], v[24:25]
	v_fma_f64 v[25:26], v[33:34], v[55:56], v[26:27]
	;; [unrolled: 2-line block ×4, first 2 shown]
	s_wait_loadcnt 0x8
	v_fma_f64 v[14:15], v[37:38], v[57:58], v[14:15]
	v_fma_f64 v[10:11], v[39:40], v[57:58], v[10:11]
	s_wait_loadcnt 0x7
	v_fma_f64 v[23:24], v[61:62], v[57:58], v[23:24]
	v_fma_f64 v[25:26], v[63:64], v[57:58], v[25:26]
	s_wait_loadcnt 0x6
	v_fma_f64 v[19:20], v[65:66], v[57:58], v[19:20]
	v_fma_f64 v[21:22], v[67:68], v[57:58], v[21:22]
	s_wait_loadcnt 0x5
	v_fma_f64 v[12:13], v[69:70], v[57:58], v[12:13]
	v_fma_f64 v[16:17], v[71:72], v[57:58], v[16:17]
	v_fma_f64 v[14:15], -v[39:40], v[59:60], v[14:15]
	v_fma_f64 v[10:11], v[37:38], v[59:60], v[10:11]
	v_fma_f64 v[23:24], -v[63:64], v[59:60], v[23:24]
	v_fma_f64 v[25:26], v[61:62], v[59:60], v[25:26]
	;; [unrolled: 2-line block ×4, first 2 shown]
	s_wait_loadcnt 0x2
	v_fma_f64 v[14:15], v[73:74], v[81:82], v[14:15]
	v_fma_f64 v[10:11], v[75:76], v[81:82], v[10:11]
	s_wait_loadcnt 0x1
	v_fma_f64 v[23:24], v[85:86], v[81:82], v[23:24]
	v_fma_f64 v[26:27], v[87:88], v[81:82], v[25:26]
	;; [unrolled: 3-line block ×3, first 2 shown]
	v_fma_f64 v[12:13], v[77:78], v[81:82], v[12:13]
	v_fma_f64 v[16:17], v[79:80], v[81:82], v[16:17]
	v_fma_f64 v[14:15], -v[75:76], v[83:84], v[14:15]
	v_fma_f64 v[10:11], v[73:74], v[83:84], v[10:11]
	v_fma_f64 v[24:25], -v[87:88], v[83:84], v[23:24]
	;; [unrolled: 2-line block ×4, first 2 shown]
	v_fma_f64 v[16:17], v[77:78], v[83:84], v[16:17]
	s_wait_alu 0xfffe
	s_and_not1_b32 exec_lo, exec_lo, s2
	s_cbranch_execnz .LBB122_13
; %bb.14:
	s_or_b32 exec_lo, exec_lo, s2
.LBB122_15:
	s_wait_alu 0xfffe
	s_or_b32 exec_lo, exec_lo, s3
.LBB122_16:
	v_mbcnt_lo_u32_b32 v44, -1, 0
	s_delay_alu instid0(VALU_DEP_1) | instskip(NEXT) | instid1(VALU_DEP_1)
	v_xor_b32_e32 v18, 4, v44
	v_cmp_gt_i32_e32 vcc_lo, 32, v18
	s_wait_alu 0xfffd
	v_cndmask_b32_e32 v18, v44, v18, vcc_lo
	s_delay_alu instid0(VALU_DEP_1)
	v_lshlrev_b32_e32 v41, 2, v18
	ds_bpermute_b32 v18, v41, v14
	ds_bpermute_b32 v19, v41, v15
	;; [unrolled: 1-line block ×16, first 2 shown]
	s_wait_dscnt 0xe
	v_add_f64_e32 v[14:15], v[14:15], v[18:19]
	s_wait_dscnt 0xc
	v_add_f64_e32 v[18:19], v[10:11], v[28:29]
	v_xor_b32_e32 v10, 2, v44
	s_wait_dscnt 0xa
	v_add_f64_e32 v[28:29], v[24:25], v[30:31]
	s_wait_dscnt 0x8
	v_add_f64_e32 v[26:27], v[26:27], v[32:33]
	;; [unrolled: 2-line block ×3, first 2 shown]
	v_cmp_gt_i32_e32 vcc_lo, 32, v10
	s_wait_dscnt 0x4
	v_add_f64_e32 v[30:31], v[22:23], v[36:37]
	s_wait_dscnt 0x2
	v_add_f64_e32 v[32:33], v[12:13], v[38:39]
	;; [unrolled: 2-line block ×3, first 2 shown]
	s_wait_alu 0xfffd
	v_cndmask_b32_e32 v10, v44, v10, vcc_lo
	s_delay_alu instid0(VALU_DEP_1)
	v_lshlrev_b32_e32 v24, 2, v10
	ds_bpermute_b32 v10, v24, v14
	ds_bpermute_b32 v11, v24, v15
	;; [unrolled: 1-line block ×16, first 2 shown]
	s_wait_dscnt 0xe
	v_add_f64_e32 v[10:11], v[14:15], v[10:11]
	s_wait_dscnt 0xc
	v_add_f64_e32 v[24:25], v[18:19], v[12:13]
	;; [unrolled: 2-line block ×4, first 2 shown]
	v_xor_b32_e32 v26, 1, v44
	s_wait_dscnt 0x6
	v_add_f64_e32 v[14:15], v[20:21], v[36:37]
	s_wait_dscnt 0x4
	v_add_f64_e32 v[20:21], v[30:31], v[38:39]
	s_wait_dscnt 0x2
	v_add_f64_e32 v[16:17], v[32:33], v[40:41]
	v_cmp_gt_i32_e32 vcc_lo, 32, v26
	s_wait_dscnt 0x0
	v_add_f64_e32 v[18:19], v[34:35], v[42:43]
	s_wait_alu 0xfffd
	v_cndmask_b32_e32 v26, v44, v26, vcc_lo
	v_cmp_eq_u32_e32 vcc_lo, 7, v0
	s_delay_alu instid0(VALU_DEP_2)
	v_lshlrev_b32_e32 v29, 2, v26
	ds_bpermute_b32 v40, v29, v10
	ds_bpermute_b32 v41, v29, v11
	;; [unrolled: 1-line block ×16, first 2 shown]
	s_and_b32 exec_lo, exec_lo, vcc_lo
	s_cbranch_execz .LBB122_21
; %bb.17:
	v_cmp_eq_f64_e32 vcc_lo, 0, v[5:6]
	v_cmp_eq_f64_e64 s2, 0, v[7:8]
	s_wait_dscnt 0xe
	v_add_f64_e32 v[10:11], v[10:11], v[40:41]
	s_wait_dscnt 0xc
	v_add_f64_e32 v[24:25], v[24:25], v[38:39]
	;; [unrolled: 2-line block ×8, first 2 shown]
	s_load_b64 s[0:1], s[0:1], 0x48
	s_and_b32 s2, vcc_lo, s2
	s_wait_alu 0xfffe
	s_and_saveexec_b32 s3, s2
	s_wait_alu 0xfffe
	s_xor_b32 s2, exec_lo, s3
	s_cbranch_execz .LBB122_19
; %bb.18:
	v_mul_f64_e64 v[5:6], v[24:25], -v[3:4]
	v_mul_f64_e32 v[7:8], v[1:2], v[24:25]
	v_mul_f64_e64 v[24:25], v[22:23], -v[3:4]
	v_mul_f64_e32 v[22:23], v[1:2], v[22:23]
	;; [unrolled: 2-line block ×4, first 2 shown]
	v_fma_f64 v[5:6], v[1:2], v[10:11], v[5:6]
	v_fma_f64 v[7:8], v[3:4], v[10:11], v[7:8]
	;; [unrolled: 1-line block ×8, first 2 shown]
	v_lshlrev_b32_e32 v14, 2, v9
                                        ; implicit-def: $vgpr9
                                        ; implicit-def: $vgpr24_vgpr25
                                        ; implicit-def: $vgpr22_vgpr23
                                        ; implicit-def: $vgpr16_vgpr17
	s_delay_alu instid0(VALU_DEP_1) | instskip(NEXT) | instid1(VALU_DEP_1)
	v_ashrrev_i32_e32 v15, 31, v14
	v_lshlrev_b64_e32 v[14:15], 4, v[14:15]
	s_wait_kmcnt 0x0
	s_delay_alu instid0(VALU_DEP_1) | instskip(SKIP_1) | instid1(VALU_DEP_2)
	v_add_co_u32 v14, vcc_lo, s0, v14
	s_wait_alu 0xfffd
	v_add_co_ci_u32_e64 v15, null, s1, v15, vcc_lo
	s_clause 0x3
	global_store_b128 v[14:15], v[5:8], off
	global_store_b128 v[14:15], v[10:13], off offset:16
	global_store_b128 v[14:15], v[18:21], off offset:32
	global_store_b128 v[14:15], v[0:3], off offset:48
                                        ; implicit-def: $vgpr10_vgpr11
                                        ; implicit-def: $vgpr12_vgpr13
                                        ; implicit-def: $vgpr14_vgpr15
                                        ; implicit-def: $vgpr20_vgpr21
                                        ; implicit-def: $vgpr18_vgpr19
                                        ; implicit-def: $vgpr7_vgpr8
                                        ; implicit-def: $vgpr3_vgpr4
.LBB122_19:
	s_wait_alu 0xfffe
	s_and_not1_saveexec_b32 s2, s2
	s_cbranch_execz .LBB122_21
; %bb.20:
	v_lshlrev_b32_e32 v26, 2, v9
	v_mul_f64_e64 v[44:45], v[24:25], -v[3:4]
	v_mul_f64_e32 v[24:25], v[1:2], v[24:25]
	v_mul_f64_e64 v[46:47], v[22:23], -v[3:4]
	v_mul_f64_e32 v[22:23], v[1:2], v[22:23]
	v_ashrrev_i32_e32 v27, 31, v26
	v_mul_f64_e64 v[48:49], v[20:21], -v[3:4]
	v_mul_f64_e32 v[20:21], v[1:2], v[20:21]
	v_mul_f64_e64 v[50:51], v[18:19], -v[3:4]
	v_mul_f64_e32 v[18:19], v[1:2], v[18:19]
	v_lshlrev_b64_e32 v[26:27], 4, v[26:27]
	s_wait_kmcnt 0x0
	s_delay_alu instid0(VALU_DEP_1) | instskip(SKIP_1) | instid1(VALU_DEP_2)
	v_add_co_u32 v42, vcc_lo, s0, v26
	s_wait_alu 0xfffd
	v_add_co_ci_u32_e64 v43, null, s1, v27, vcc_lo
	s_clause 0x3
	global_load_b128 v[26:29], v[42:43], off
	global_load_b128 v[30:33], v[42:43], off offset:16
	global_load_b128 v[34:37], v[42:43], off offset:32
	global_load_b128 v[38:41], v[42:43], off offset:48
	v_fma_f64 v[44:45], v[1:2], v[10:11], v[44:45]
	v_fma_f64 v[9:10], v[3:4], v[10:11], v[24:25]
	;; [unrolled: 1-line block ×8, first 2 shown]
	s_wait_loadcnt 0x3
	v_fma_f64 v[15:16], v[5:6], v[26:27], v[44:45]
	v_fma_f64 v[9:10], v[7:8], v[26:27], v[9:10]
	s_wait_loadcnt 0x2
	v_fma_f64 v[17:18], v[5:6], v[30:31], v[24:25]
	v_fma_f64 v[11:12], v[7:8], v[30:31], v[11:12]
	;; [unrolled: 3-line block ×4, first 2 shown]
	v_fma_f64 v[0:1], -v[7:8], v[28:29], v[15:16]
	v_fma_f64 v[2:3], v[5:6], v[28:29], v[9:10]
	v_fma_f64 v[9:10], -v[7:8], v[32:33], v[17:18]
	v_fma_f64 v[11:12], v[5:6], v[32:33], v[11:12]
	;; [unrolled: 2-line block ×4, first 2 shown]
	s_clause 0x3
	global_store_b128 v[42:43], v[0:3], off
	global_store_b128 v[42:43], v[9:12], off offset:16
	global_store_b128 v[42:43], v[13:16], off offset:32
	;; [unrolled: 1-line block ×3, first 2 shown]
.LBB122_21:
	s_endpgm
	.section	.rodata,"a",@progbits
	.p2align	6, 0x0
	.amdhsa_kernel _ZN9rocsparseL19gebsrmvn_4xn_kernelILj128ELj3ELj8E21rocsparse_complex_numIdEEEvi20rocsparse_direction_NS_24const_host_device_scalarIT2_EEPKiS8_PKS5_SA_S6_PS5_21rocsparse_index_base_b
		.amdhsa_group_segment_fixed_size 0
		.amdhsa_private_segment_fixed_size 0
		.amdhsa_kernarg_size 88
		.amdhsa_user_sgpr_count 2
		.amdhsa_user_sgpr_dispatch_ptr 0
		.amdhsa_user_sgpr_queue_ptr 0
		.amdhsa_user_sgpr_kernarg_segment_ptr 1
		.amdhsa_user_sgpr_dispatch_id 0
		.amdhsa_user_sgpr_private_segment_size 0
		.amdhsa_wavefront_size32 1
		.amdhsa_uses_dynamic_stack 0
		.amdhsa_enable_private_segment 0
		.amdhsa_system_sgpr_workgroup_id_x 1
		.amdhsa_system_sgpr_workgroup_id_y 0
		.amdhsa_system_sgpr_workgroup_id_z 0
		.amdhsa_system_sgpr_workgroup_info 0
		.amdhsa_system_vgpr_workitem_id 0
		.amdhsa_next_free_vgpr 93
		.amdhsa_next_free_sgpr 14
		.amdhsa_reserve_vcc 1
		.amdhsa_float_round_mode_32 0
		.amdhsa_float_round_mode_16_64 0
		.amdhsa_float_denorm_mode_32 3
		.amdhsa_float_denorm_mode_16_64 3
		.amdhsa_fp16_overflow 0
		.amdhsa_workgroup_processor_mode 1
		.amdhsa_memory_ordered 1
		.amdhsa_forward_progress 1
		.amdhsa_inst_pref_size 32
		.amdhsa_round_robin_scheduling 0
		.amdhsa_exception_fp_ieee_invalid_op 0
		.amdhsa_exception_fp_denorm_src 0
		.amdhsa_exception_fp_ieee_div_zero 0
		.amdhsa_exception_fp_ieee_overflow 0
		.amdhsa_exception_fp_ieee_underflow 0
		.amdhsa_exception_fp_ieee_inexact 0
		.amdhsa_exception_int_div_zero 0
	.end_amdhsa_kernel
	.section	.text._ZN9rocsparseL19gebsrmvn_4xn_kernelILj128ELj3ELj8E21rocsparse_complex_numIdEEEvi20rocsparse_direction_NS_24const_host_device_scalarIT2_EEPKiS8_PKS5_SA_S6_PS5_21rocsparse_index_base_b,"axG",@progbits,_ZN9rocsparseL19gebsrmvn_4xn_kernelILj128ELj3ELj8E21rocsparse_complex_numIdEEEvi20rocsparse_direction_NS_24const_host_device_scalarIT2_EEPKiS8_PKS5_SA_S6_PS5_21rocsparse_index_base_b,comdat
.Lfunc_end122:
	.size	_ZN9rocsparseL19gebsrmvn_4xn_kernelILj128ELj3ELj8E21rocsparse_complex_numIdEEEvi20rocsparse_direction_NS_24const_host_device_scalarIT2_EEPKiS8_PKS5_SA_S6_PS5_21rocsparse_index_base_b, .Lfunc_end122-_ZN9rocsparseL19gebsrmvn_4xn_kernelILj128ELj3ELj8E21rocsparse_complex_numIdEEEvi20rocsparse_direction_NS_24const_host_device_scalarIT2_EEPKiS8_PKS5_SA_S6_PS5_21rocsparse_index_base_b
                                        ; -- End function
	.set _ZN9rocsparseL19gebsrmvn_4xn_kernelILj128ELj3ELj8E21rocsparse_complex_numIdEEEvi20rocsparse_direction_NS_24const_host_device_scalarIT2_EEPKiS8_PKS5_SA_S6_PS5_21rocsparse_index_base_b.num_vgpr, 93
	.set _ZN9rocsparseL19gebsrmvn_4xn_kernelILj128ELj3ELj8E21rocsparse_complex_numIdEEEvi20rocsparse_direction_NS_24const_host_device_scalarIT2_EEPKiS8_PKS5_SA_S6_PS5_21rocsparse_index_base_b.num_agpr, 0
	.set _ZN9rocsparseL19gebsrmvn_4xn_kernelILj128ELj3ELj8E21rocsparse_complex_numIdEEEvi20rocsparse_direction_NS_24const_host_device_scalarIT2_EEPKiS8_PKS5_SA_S6_PS5_21rocsparse_index_base_b.numbered_sgpr, 14
	.set _ZN9rocsparseL19gebsrmvn_4xn_kernelILj128ELj3ELj8E21rocsparse_complex_numIdEEEvi20rocsparse_direction_NS_24const_host_device_scalarIT2_EEPKiS8_PKS5_SA_S6_PS5_21rocsparse_index_base_b.num_named_barrier, 0
	.set _ZN9rocsparseL19gebsrmvn_4xn_kernelILj128ELj3ELj8E21rocsparse_complex_numIdEEEvi20rocsparse_direction_NS_24const_host_device_scalarIT2_EEPKiS8_PKS5_SA_S6_PS5_21rocsparse_index_base_b.private_seg_size, 0
	.set _ZN9rocsparseL19gebsrmvn_4xn_kernelILj128ELj3ELj8E21rocsparse_complex_numIdEEEvi20rocsparse_direction_NS_24const_host_device_scalarIT2_EEPKiS8_PKS5_SA_S6_PS5_21rocsparse_index_base_b.uses_vcc, 1
	.set _ZN9rocsparseL19gebsrmvn_4xn_kernelILj128ELj3ELj8E21rocsparse_complex_numIdEEEvi20rocsparse_direction_NS_24const_host_device_scalarIT2_EEPKiS8_PKS5_SA_S6_PS5_21rocsparse_index_base_b.uses_flat_scratch, 0
	.set _ZN9rocsparseL19gebsrmvn_4xn_kernelILj128ELj3ELj8E21rocsparse_complex_numIdEEEvi20rocsparse_direction_NS_24const_host_device_scalarIT2_EEPKiS8_PKS5_SA_S6_PS5_21rocsparse_index_base_b.has_dyn_sized_stack, 0
	.set _ZN9rocsparseL19gebsrmvn_4xn_kernelILj128ELj3ELj8E21rocsparse_complex_numIdEEEvi20rocsparse_direction_NS_24const_host_device_scalarIT2_EEPKiS8_PKS5_SA_S6_PS5_21rocsparse_index_base_b.has_recursion, 0
	.set _ZN9rocsparseL19gebsrmvn_4xn_kernelILj128ELj3ELj8E21rocsparse_complex_numIdEEEvi20rocsparse_direction_NS_24const_host_device_scalarIT2_EEPKiS8_PKS5_SA_S6_PS5_21rocsparse_index_base_b.has_indirect_call, 0
	.section	.AMDGPU.csdata,"",@progbits
; Kernel info:
; codeLenInByte = 3980
; TotalNumSgprs: 16
; NumVgprs: 93
; ScratchSize: 0
; MemoryBound: 0
; FloatMode: 240
; IeeeMode: 1
; LDSByteSize: 0 bytes/workgroup (compile time only)
; SGPRBlocks: 0
; VGPRBlocks: 11
; NumSGPRsForWavesPerEU: 16
; NumVGPRsForWavesPerEU: 93
; Occupancy: 16
; WaveLimiterHint : 1
; COMPUTE_PGM_RSRC2:SCRATCH_EN: 0
; COMPUTE_PGM_RSRC2:USER_SGPR: 2
; COMPUTE_PGM_RSRC2:TRAP_HANDLER: 0
; COMPUTE_PGM_RSRC2:TGID_X_EN: 1
; COMPUTE_PGM_RSRC2:TGID_Y_EN: 0
; COMPUTE_PGM_RSRC2:TGID_Z_EN: 0
; COMPUTE_PGM_RSRC2:TIDIG_COMP_CNT: 0
	.section	.text._ZN9rocsparseL19gebsrmvn_4xn_kernelILj128ELj3ELj16E21rocsparse_complex_numIdEEEvi20rocsparse_direction_NS_24const_host_device_scalarIT2_EEPKiS8_PKS5_SA_S6_PS5_21rocsparse_index_base_b,"axG",@progbits,_ZN9rocsparseL19gebsrmvn_4xn_kernelILj128ELj3ELj16E21rocsparse_complex_numIdEEEvi20rocsparse_direction_NS_24const_host_device_scalarIT2_EEPKiS8_PKS5_SA_S6_PS5_21rocsparse_index_base_b,comdat
	.globl	_ZN9rocsparseL19gebsrmvn_4xn_kernelILj128ELj3ELj16E21rocsparse_complex_numIdEEEvi20rocsparse_direction_NS_24const_host_device_scalarIT2_EEPKiS8_PKS5_SA_S6_PS5_21rocsparse_index_base_b ; -- Begin function _ZN9rocsparseL19gebsrmvn_4xn_kernelILj128ELj3ELj16E21rocsparse_complex_numIdEEEvi20rocsparse_direction_NS_24const_host_device_scalarIT2_EEPKiS8_PKS5_SA_S6_PS5_21rocsparse_index_base_b
	.p2align	8
	.type	_ZN9rocsparseL19gebsrmvn_4xn_kernelILj128ELj3ELj16E21rocsparse_complex_numIdEEEvi20rocsparse_direction_NS_24const_host_device_scalarIT2_EEPKiS8_PKS5_SA_S6_PS5_21rocsparse_index_base_b,@function
_ZN9rocsparseL19gebsrmvn_4xn_kernelILj128ELj3ELj16E21rocsparse_complex_numIdEEEvi20rocsparse_direction_NS_24const_host_device_scalarIT2_EEPKiS8_PKS5_SA_S6_PS5_21rocsparse_index_base_b: ; @_ZN9rocsparseL19gebsrmvn_4xn_kernelILj128ELj3ELj16E21rocsparse_complex_numIdEEEvi20rocsparse_direction_NS_24const_host_device_scalarIT2_EEPKiS8_PKS5_SA_S6_PS5_21rocsparse_index_base_b
; %bb.0:
	s_clause 0x1
	s_load_b64 s[12:13], s[0:1], 0x50
	s_load_b64 s[2:3], s[0:1], 0x8
	s_add_nc_u64 s[4:5], s[0:1], 8
	s_load_b64 s[6:7], s[0:1], 0x38
	s_wait_kmcnt 0x0
	s_bitcmp1_b32 s13, 0
	s_cselect_b32 s2, s4, s2
	s_cselect_b32 s3, s5, s3
	s_delay_alu instid0(SALU_CYCLE_1)
	v_dual_mov_b32 v1, s2 :: v_dual_mov_b32 v2, s3
	s_add_nc_u64 s[2:3], s[0:1], 56
	s_wait_alu 0xfffe
	s_cselect_b32 s2, s2, s6
	s_cselect_b32 s3, s3, s7
	flat_load_b128 v[1:4], v[1:2]
	s_wait_alu 0xfffe
	v_dual_mov_b32 v5, s2 :: v_dual_mov_b32 v6, s3
	flat_load_b128 v[5:8], v[5:6]
	s_wait_loadcnt_dscnt 0x101
	v_cmp_eq_f64_e32 vcc_lo, 0, v[1:2]
	v_cmp_eq_f64_e64 s2, 0, v[3:4]
	s_and_b32 s4, vcc_lo, s2
	s_mov_b32 s2, -1
	s_and_saveexec_b32 s3, s4
	s_cbranch_execz .LBB123_2
; %bb.1:
	s_wait_loadcnt_dscnt 0x0
	v_cmp_neq_f64_e32 vcc_lo, 1.0, v[5:6]
	v_cmp_neq_f64_e64 s2, 0, v[7:8]
	s_wait_alu 0xfffe
	s_or_b32 s2, vcc_lo, s2
	s_wait_alu 0xfffe
	s_or_not1_b32 s2, s2, exec_lo
.LBB123_2:
	s_wait_alu 0xfffe
	s_or_b32 exec_lo, exec_lo, s3
	s_and_saveexec_b32 s3, s2
	s_cbranch_execz .LBB123_21
; %bb.3:
	s_load_b64 s[2:3], s[0:1], 0x0
	v_lshrrev_b32_e32 v9, 4, v0
	s_delay_alu instid0(VALU_DEP_1) | instskip(SKIP_1) | instid1(VALU_DEP_1)
	v_lshl_or_b32 v9, ttmp9, 3, v9
	s_wait_kmcnt 0x0
	v_cmp_gt_i32_e32 vcc_lo, s2, v9
	s_and_b32 exec_lo, exec_lo, vcc_lo
	s_cbranch_execz .LBB123_21
; %bb.4:
	s_load_b256 s[4:11], s[0:1], 0x18
	v_ashrrev_i32_e32 v10, 31, v9
	v_and_b32_e32 v0, 15, v0
	s_cmp_lg_u32 s3, 0
	s_delay_alu instid0(VALU_DEP_2) | instskip(SKIP_1) | instid1(VALU_DEP_1)
	v_lshlrev_b64_e32 v[10:11], 2, v[9:10]
	s_wait_kmcnt 0x0
	v_add_co_u32 v10, vcc_lo, s4, v10
	s_delay_alu instid0(VALU_DEP_1) | instskip(SKIP_4) | instid1(VALU_DEP_2)
	v_add_co_ci_u32_e64 v11, null, s5, v11, vcc_lo
	global_load_b64 v[10:11], v[10:11], off
	s_wait_loadcnt 0x0
	v_subrev_nc_u32_e32 v10, s12, v10
	v_subrev_nc_u32_e32 v31, s12, v11
	v_add_nc_u32_e32 v26, v10, v0
	s_delay_alu instid0(VALU_DEP_1)
	v_cmp_lt_i32_e64 s2, v26, v31
	s_cbranch_scc0 .LBB123_10
; %bb.5:
	v_mov_b32_e32 v10, 0
	v_mov_b32_e32 v12, 0
	;; [unrolled: 1-line block ×3, first 2 shown]
	v_dual_mov_b32 v22, 0 :: v_dual_mov_b32 v11, 0
	v_dual_mov_b32 v14, 0 :: v_dual_mov_b32 v13, 0
	;; [unrolled: 1-line block ×5, first 2 shown]
	v_mov_b32_e32 v17, 0
	v_mov_b32_e32 v21, 0
	;; [unrolled: 1-line block ×3, first 2 shown]
	s_and_saveexec_b32 s3, s2
	s_cbranch_execz .LBB123_9
; %bb.6:
	v_mul_lo_u32 v27, v26, 12
	v_mov_b32_e32 v10, 0
	v_mov_b32_e32 v14, 0
	;; [unrolled: 1-line block ×7, first 2 shown]
	v_dual_mov_b32 v24, 0 :: v_dual_mov_b32 v29, v26
	v_dual_mov_b32 v11, 0 :: v_dual_mov_b32 v28, 0
	v_mov_b32_e32 v15, 0
	v_mov_b32_e32 v13, 0
	;; [unrolled: 1-line block ×7, first 2 shown]
	s_mov_b32 s4, 0
.LBB123_7:                              ; =>This Inner Loop Header: Depth=1
	v_ashrrev_i32_e32 v30, 31, v29
	v_dual_mov_b32 v89, v28 :: v_dual_add_nc_u32 v52, 4, v27
	v_dual_mov_b32 v69, v28 :: v_dual_add_nc_u32 v72, 8, v27
	s_delay_alu instid0(VALU_DEP_3) | instskip(SKIP_1) | instid1(VALU_DEP_2)
	v_lshlrev_b64_e32 v[32:33], 2, v[29:30]
	v_add_nc_u32_e32 v29, 16, v29
	v_add_co_u32 v32, vcc_lo, s6, v32
	s_wait_alu 0xfffd
	s_delay_alu instid0(VALU_DEP_3) | instskip(SKIP_3) | instid1(VALU_DEP_2)
	v_add_co_ci_u32_e64 v33, null, s7, v33, vcc_lo
	global_load_b32 v30, v[32:33], off
	v_lshlrev_b64_e32 v[32:33], 4, v[27:28]
	v_add_nc_u32_e32 v27, 0xc0, v27
	v_add_co_u32 v44, vcc_lo, s8, v32
	s_wait_alu 0xfffd
	s_delay_alu instid0(VALU_DEP_3)
	v_add_co_ci_u32_e64 v45, null, s9, v33, vcc_lo
	s_clause 0x3
	global_load_b128 v[32:35], v[44:45], off offset:48
	global_load_b128 v[36:39], v[44:45], off offset:32
	;; [unrolled: 1-line block ×3, first 2 shown]
	global_load_b128 v[44:47], v[44:45], off
	s_wait_loadcnt 0x4
	v_subrev_nc_u32_e32 v30, s12, v30
	s_delay_alu instid0(VALU_DEP_1) | instskip(SKIP_2) | instid1(VALU_DEP_3)
	v_lshl_add_u32 v88, v30, 1, v30
	v_mov_b32_e32 v53, v28
	v_mov_b32_e32 v73, v28
	v_lshlrev_b64_e32 v[48:49], 4, v[88:89]
	v_add_nc_u32_e32 v68, 1, v88
	s_delay_alu instid0(VALU_DEP_4) | instskip(SKIP_2) | instid1(VALU_DEP_4)
	v_lshlrev_b64_e32 v[52:53], 4, v[52:53]
	v_add_nc_u32_e32 v88, 2, v88
	v_lshlrev_b64_e32 v[72:73], 4, v[72:73]
	v_lshlrev_b64_e32 v[68:69], 4, v[68:69]
	v_add_co_u32 v48, vcc_lo, s10, v48
	s_wait_alu 0xfffd
	v_add_co_ci_u32_e64 v49, null, s11, v49, vcc_lo
	v_add_co_u32 v64, vcc_lo, s8, v52
	s_wait_alu 0xfffd
	v_add_co_ci_u32_e64 v65, null, s9, v53, vcc_lo
	global_load_b128 v[48:51], v[48:49], off
	v_add_co_u32 v68, vcc_lo, s10, v68
	s_wait_alu 0xfffd
	v_add_co_ci_u32_e64 v69, null, s11, v69, vcc_lo
	s_clause 0x3
	global_load_b128 v[52:55], v[64:65], off offset:48
	global_load_b128 v[56:59], v[64:65], off offset:32
	;; [unrolled: 1-line block ×3, first 2 shown]
	global_load_b128 v[64:67], v[64:65], off
	v_lshlrev_b64_e32 v[88:89], 4, v[88:89]
	v_add_co_u32 v84, vcc_lo, s8, v72
	global_load_b128 v[68:71], v[68:69], off
	s_wait_alu 0xfffd
	v_add_co_ci_u32_e64 v85, null, s9, v73, vcc_lo
	v_add_co_u32 v88, vcc_lo, s10, v88
	s_wait_alu 0xfffd
	v_add_co_ci_u32_e64 v89, null, s11, v89, vcc_lo
	s_clause 0x3
	global_load_b128 v[72:75], v[84:85], off offset:48
	global_load_b128 v[76:79], v[84:85], off offset:32
	;; [unrolled: 1-line block ×3, first 2 shown]
	global_load_b128 v[84:87], v[84:85], off
	v_cmp_ge_i32_e32 vcc_lo, v29, v31
	global_load_b128 v[88:91], v[88:89], off
	s_wait_alu 0xfffe
	s_or_b32 s4, vcc_lo, s4
	s_wait_loadcnt 0xa
	v_fma_f64 v[14:15], v[44:45], v[48:49], v[14:15]
	v_fma_f64 v[10:11], v[46:47], v[48:49], v[10:11]
	v_fma_f64 v[22:23], v[40:41], v[48:49], v[22:23]
	v_fma_f64 v[24:25], v[42:43], v[48:49], v[24:25]
	v_fma_f64 v[18:19], v[36:37], v[48:49], v[18:19]
	v_fma_f64 v[20:21], v[38:39], v[48:49], v[20:21]
	v_fma_f64 v[12:13], v[32:33], v[48:49], v[12:13]
	v_fma_f64 v[16:17], v[34:35], v[48:49], v[16:17]
	v_fma_f64 v[14:15], -v[46:47], v[50:51], v[14:15]
	v_fma_f64 v[10:11], v[44:45], v[50:51], v[10:11]
	v_fma_f64 v[22:23], -v[42:43], v[50:51], v[22:23]
	v_fma_f64 v[24:25], v[40:41], v[50:51], v[24:25]
	v_fma_f64 v[18:19], -v[38:39], v[50:51], v[18:19]
	v_fma_f64 v[20:21], v[36:37], v[50:51], v[20:21]
	v_fma_f64 v[12:13], -v[34:35], v[50:51], v[12:13]
	v_fma_f64 v[16:17], v[32:33], v[50:51], v[16:17]
	s_wait_loadcnt 0x5
	v_fma_f64 v[14:15], v[64:65], v[68:69], v[14:15]
	v_fma_f64 v[10:11], v[66:67], v[68:69], v[10:11]
	v_fma_f64 v[22:23], v[60:61], v[68:69], v[22:23]
	v_fma_f64 v[24:25], v[62:63], v[68:69], v[24:25]
	v_fma_f64 v[18:19], v[56:57], v[68:69], v[18:19]
	v_fma_f64 v[20:21], v[58:59], v[68:69], v[20:21]
	v_fma_f64 v[12:13], v[52:53], v[68:69], v[12:13]
	v_fma_f64 v[16:17], v[54:55], v[68:69], v[16:17]
	v_fma_f64 v[14:15], -v[66:67], v[70:71], v[14:15]
	v_fma_f64 v[10:11], v[64:65], v[70:71], v[10:11]
	v_fma_f64 v[22:23], -v[62:63], v[70:71], v[22:23]
	v_fma_f64 v[24:25], v[60:61], v[70:71], v[24:25]
	v_fma_f64 v[18:19], -v[58:59], v[70:71], v[18:19]
	v_fma_f64 v[20:21], v[56:57], v[70:71], v[20:21]
	v_fma_f64 v[12:13], -v[54:55], v[70:71], v[12:13]
	v_fma_f64 v[16:17], v[52:53], v[70:71], v[16:17]
	s_wait_loadcnt 0x0
	v_fma_f64 v[14:15], v[84:85], v[88:89], v[14:15]
	v_fma_f64 v[10:11], v[86:87], v[88:89], v[10:11]
	v_fma_f64 v[22:23], v[80:81], v[88:89], v[22:23]
	v_fma_f64 v[24:25], v[82:83], v[88:89], v[24:25]
	v_fma_f64 v[18:19], v[76:77], v[88:89], v[18:19]
	v_fma_f64 v[20:21], v[78:79], v[88:89], v[20:21]
	v_fma_f64 v[12:13], v[72:73], v[88:89], v[12:13]
	v_fma_f64 v[16:17], v[74:75], v[88:89], v[16:17]
	v_fma_f64 v[14:15], -v[86:87], v[90:91], v[14:15]
	v_fma_f64 v[10:11], v[84:85], v[90:91], v[10:11]
	v_fma_f64 v[22:23], -v[82:83], v[90:91], v[22:23]
	v_fma_f64 v[24:25], v[80:81], v[90:91], v[24:25]
	v_fma_f64 v[18:19], -v[78:79], v[90:91], v[18:19]
	v_fma_f64 v[20:21], v[76:77], v[90:91], v[20:21]
	v_fma_f64 v[12:13], -v[74:75], v[90:91], v[12:13]
	v_fma_f64 v[16:17], v[72:73], v[90:91], v[16:17]
	s_wait_alu 0xfffe
	s_and_not1_b32 exec_lo, exec_lo, s4
	s_cbranch_execnz .LBB123_7
; %bb.8:
	s_or_b32 exec_lo, exec_lo, s4
.LBB123_9:
	s_wait_alu 0xfffe
	s_or_b32 exec_lo, exec_lo, s3
	s_cbranch_execz .LBB123_11
	s_branch .LBB123_16
.LBB123_10:
                                        ; implicit-def: $vgpr10_vgpr11
                                        ; implicit-def: $vgpr14_vgpr15
                                        ; implicit-def: $vgpr12_vgpr13
                                        ; implicit-def: $vgpr16_vgpr17
                                        ; implicit-def: $vgpr18_vgpr19
                                        ; implicit-def: $vgpr20_vgpr21
                                        ; implicit-def: $vgpr22_vgpr23
                                        ; implicit-def: $vgpr24_vgpr25
.LBB123_11:
	v_mov_b32_e32 v10, 0
	v_mov_b32_e32 v12, 0
	;; [unrolled: 1-line block ×3, first 2 shown]
	v_dual_mov_b32 v22, 0 :: v_dual_mov_b32 v11, 0
	v_dual_mov_b32 v14, 0 :: v_dual_mov_b32 v13, 0
	;; [unrolled: 1-line block ×5, first 2 shown]
	v_mov_b32_e32 v17, 0
	v_mov_b32_e32 v21, 0
	;; [unrolled: 1-line block ×3, first 2 shown]
	s_and_saveexec_b32 s3, s2
	s_cbranch_execz .LBB123_15
; %bb.12:
	v_mad_co_u64_u32 v[28:29], null, v26, 12, 11
	v_mov_b32_e32 v10, 0
	v_mov_b32_e32 v12, 0
	;; [unrolled: 1-line block ×3, first 2 shown]
	v_dual_mov_b32 v22, 0 :: v_dual_mov_b32 v11, 0
	v_dual_mov_b32 v14, 0 :: v_dual_mov_b32 v13, 0
	;; [unrolled: 1-line block ×5, first 2 shown]
	v_mov_b32_e32 v17, 0
	v_mov_b32_e32 v21, 0
	v_dual_mov_b32 v25, 0 :: v_dual_mov_b32 v30, 0
	s_mov_b32 s2, 0
.LBB123_13:                             ; =>This Inner Loop Header: Depth=1
	v_ashrrev_i32_e32 v27, 31, v26
	v_add_nc_u32_e32 v29, -11, v28
	s_delay_alu instid0(VALU_DEP_3) | instskip(SKIP_1) | instid1(VALU_DEP_4)
	v_dual_mov_b32 v35, v30 :: v_dual_add_nc_u32 v34, -2, v28
	v_mov_b32_e32 v81, v30
	v_lshlrev_b64_e32 v[32:33], 2, v[26:27]
	s_delay_alu instid0(VALU_DEP_4) | instskip(SKIP_1) | instid1(VALU_DEP_3)
	v_lshlrev_b64_e32 v[36:37], 4, v[29:30]
	v_add_nc_u32_e32 v26, 16, v26
	v_add_co_u32 v32, vcc_lo, s6, v32
	s_wait_alu 0xfffd
	s_delay_alu instid0(VALU_DEP_4) | instskip(NEXT) | instid1(VALU_DEP_4)
	v_add_co_ci_u32_e64 v33, null, s7, v33, vcc_lo
	v_add_co_u32 v72, vcc_lo, s8, v36
	s_wait_alu 0xfffd
	v_add_co_ci_u32_e64 v73, null, s9, v37, vcc_lo
	global_load_b32 v27, v[32:33], off
	v_dual_mov_b32 v33, v30 :: v_dual_add_nc_u32 v32, -5, v28
	v_lshlrev_b64_e32 v[34:35], 4, v[34:35]
	s_delay_alu instid0(VALU_DEP_2) | instskip(NEXT) | instid1(VALU_DEP_1)
	v_lshlrev_b64_e32 v[32:33], 4, v[32:33]
	v_add_co_u32 v44, vcc_lo, s8, v32
	s_wait_alu 0xfffd
	s_delay_alu instid0(VALU_DEP_2) | instskip(NEXT) | instid1(VALU_DEP_4)
	v_add_co_ci_u32_e64 v45, null, s9, v33, vcc_lo
	v_add_co_u32 v48, vcc_lo, s8, v34
	s_wait_alu 0xfffd
	v_add_co_ci_u32_e64 v49, null, s9, v35, vcc_lo
	s_clause 0x4
	global_load_b128 v[32:35], v[72:73], off offset:48
	global_load_b128 v[36:39], v[72:73], off offset:16
	global_load_b128 v[40:43], v[72:73], off
	global_load_b128 v[44:47], v[44:45], off
	;; [unrolled: 1-line block ×3, first 2 shown]
	s_wait_loadcnt 0x5
	v_subrev_nc_u32_e32 v27, s12, v27
	s_delay_alu instid0(VALU_DEP_1) | instskip(NEXT) | instid1(VALU_DEP_1)
	v_lshl_add_u32 v80, v27, 1, v27
	v_lshlrev_b64_e32 v[52:53], 4, v[80:81]
	v_add_nc_u32_e32 v29, 1, v80
	s_delay_alu instid0(VALU_DEP_1) | instskip(NEXT) | instid1(VALU_DEP_3)
	v_lshlrev_b64_e32 v[56:57], 4, v[29:30]
	v_add_co_u32 v52, vcc_lo, s10, v52
	s_wait_alu 0xfffd
	s_delay_alu instid0(VALU_DEP_4) | instskip(SKIP_1) | instid1(VALU_DEP_4)
	v_add_co_ci_u32_e64 v53, null, s11, v53, vcc_lo
	v_add_nc_u32_e32 v29, -7, v28
	v_add_co_u32 v56, vcc_lo, s10, v56
	global_load_b128 v[52:55], v[52:53], off
	s_wait_alu 0xfffd
	v_add_co_ci_u32_e64 v57, null, s11, v57, vcc_lo
	v_lshlrev_b64_e32 v[60:61], 4, v[29:30]
	v_add_nc_u32_e32 v29, -4, v28
	global_load_b128 v[56:59], v[56:57], off
	v_lshlrev_b64_e32 v[62:63], 4, v[29:30]
	v_add_nc_u32_e32 v29, -1, v28
	v_add_co_u32 v60, vcc_lo, s8, v60
	s_wait_alu 0xfffd
	v_add_co_ci_u32_e64 v61, null, s9, v61, vcc_lo
	s_delay_alu instid0(VALU_DEP_3) | instskip(SKIP_4) | instid1(VALU_DEP_4)
	v_lshlrev_b64_e32 v[64:65], 4, v[29:30]
	v_add_co_u32 v66, vcc_lo, s8, v62
	s_wait_alu 0xfffd
	v_add_co_ci_u32_e64 v67, null, s9, v63, vcc_lo
	v_mov_b32_e32 v29, v30
	v_add_co_u32 v68, vcc_lo, s8, v64
	s_wait_alu 0xfffd
	v_add_co_ci_u32_e64 v69, null, s9, v65, vcc_lo
	s_clause 0x2
	global_load_b128 v[60:63], v[60:61], off
	global_load_b128 v[64:67], v[66:67], off
	;; [unrolled: 1-line block ×3, first 2 shown]
	v_lshlrev_b64_e32 v[74:75], 4, v[28:29]
	v_add_nc_u32_e32 v29, 2, v80
	s_delay_alu instid0(VALU_DEP_1) | instskip(SKIP_1) | instid1(VALU_DEP_4)
	v_lshlrev_b64_e32 v[80:81], 4, v[29:30]
	v_add_nc_u32_e32 v29, -6, v28
	v_add_co_u32 v76, vcc_lo, s8, v74
	s_wait_alu 0xfffd
	v_add_co_ci_u32_e64 v77, null, s9, v75, vcc_lo
	s_delay_alu instid0(VALU_DEP_3) | instskip(SKIP_4) | instid1(VALU_DEP_3)
	v_lshlrev_b64_e32 v[84:85], 4, v[29:30]
	v_add_nc_u32_e32 v29, -3, v28
	v_add_co_u32 v80, vcc_lo, s10, v80
	s_wait_alu 0xfffd
	v_add_co_ci_u32_e64 v81, null, s11, v81, vcc_lo
	v_lshlrev_b64_e32 v[86:87], 4, v[29:30]
	v_add_co_u32 v84, vcc_lo, s8, v84
	s_wait_alu 0xfffd
	v_add_co_ci_u32_e64 v85, null, s9, v85, vcc_lo
	s_clause 0x1
	global_load_b128 v[72:75], v[72:73], off offset:32
	global_load_b128 v[76:79], v[76:77], off
	v_add_co_u32 v88, vcc_lo, s8, v86
	s_wait_alu 0xfffd
	v_add_co_ci_u32_e64 v89, null, s9, v87, vcc_lo
	global_load_b128 v[80:83], v[80:81], off
	s_clause 0x1
	global_load_b128 v[84:87], v[84:85], off
	global_load_b128 v[88:91], v[88:89], off
	v_cmp_ge_i32_e32 vcc_lo, v26, v31
	v_add_nc_u32_e32 v28, 0xc0, v28
	s_wait_alu 0xfffe
	s_or_b32 s2, vcc_lo, s2
	s_wait_loadcnt 0x9
	v_fma_f64 v[14:15], v[40:41], v[52:53], v[14:15]
	v_fma_f64 v[10:11], v[42:43], v[52:53], v[10:11]
	;; [unrolled: 1-line block ×8, first 2 shown]
	v_fma_f64 v[14:15], -v[42:43], v[54:55], v[14:15]
	v_fma_f64 v[10:11], v[40:41], v[54:55], v[10:11]
	v_fma_f64 v[22:23], -v[34:35], v[54:55], v[22:23]
	v_fma_f64 v[24:25], v[32:33], v[54:55], v[24:25]
	;; [unrolled: 2-line block ×4, first 2 shown]
	s_wait_loadcnt 0x8
	v_fma_f64 v[14:15], v[36:37], v[56:57], v[14:15]
	v_fma_f64 v[10:11], v[38:39], v[56:57], v[10:11]
	s_wait_loadcnt 0x7
	v_fma_f64 v[22:23], v[60:61], v[56:57], v[22:23]
	v_fma_f64 v[24:25], v[62:63], v[56:57], v[24:25]
	;; [unrolled: 3-line block ×4, first 2 shown]
	v_fma_f64 v[14:15], -v[38:39], v[58:59], v[14:15]
	v_fma_f64 v[10:11], v[36:37], v[58:59], v[10:11]
	v_fma_f64 v[22:23], -v[62:63], v[58:59], v[22:23]
	v_fma_f64 v[24:25], v[60:61], v[58:59], v[24:25]
	v_fma_f64 v[18:19], -v[66:67], v[58:59], v[18:19]
	v_fma_f64 v[20:21], v[64:65], v[58:59], v[20:21]
	v_fma_f64 v[12:13], -v[70:71], v[58:59], v[12:13]
	v_fma_f64 v[16:17], v[68:69], v[58:59], v[16:17]
	s_wait_loadcnt 0x2
	v_fma_f64 v[14:15], v[72:73], v[80:81], v[14:15]
	v_fma_f64 v[10:11], v[74:75], v[80:81], v[10:11]
	s_wait_loadcnt 0x1
	v_fma_f64 v[22:23], v[84:85], v[80:81], v[22:23]
	v_fma_f64 v[24:25], v[86:87], v[80:81], v[24:25]
	;; [unrolled: 3-line block ×3, first 2 shown]
	v_fma_f64 v[12:13], v[76:77], v[80:81], v[12:13]
	v_fma_f64 v[16:17], v[78:79], v[80:81], v[16:17]
	v_fma_f64 v[14:15], -v[74:75], v[82:83], v[14:15]
	v_fma_f64 v[10:11], v[72:73], v[82:83], v[10:11]
	v_fma_f64 v[22:23], -v[86:87], v[82:83], v[22:23]
	;; [unrolled: 2-line block ×4, first 2 shown]
	v_fma_f64 v[16:17], v[76:77], v[82:83], v[16:17]
	s_wait_alu 0xfffe
	s_and_not1_b32 exec_lo, exec_lo, s2
	s_cbranch_execnz .LBB123_13
; %bb.14:
	s_or_b32 exec_lo, exec_lo, s2
.LBB123_15:
	s_wait_alu 0xfffe
	s_or_b32 exec_lo, exec_lo, s3
.LBB123_16:
	v_mbcnt_lo_u32_b32 v44, -1, 0
	s_delay_alu instid0(VALU_DEP_1) | instskip(NEXT) | instid1(VALU_DEP_1)
	v_xor_b32_e32 v26, 8, v44
	v_cmp_gt_i32_e32 vcc_lo, 32, v26
	s_wait_alu 0xfffd
	v_cndmask_b32_e32 v26, v44, v26, vcc_lo
	s_delay_alu instid0(VALU_DEP_1)
	v_lshlrev_b32_e32 v41, 2, v26
	ds_bpermute_b32 v26, v41, v14
	ds_bpermute_b32 v27, v41, v15
	;; [unrolled: 1-line block ×16, first 2 shown]
	s_wait_dscnt 0xe
	v_add_f64_e32 v[14:15], v[14:15], v[26:27]
	v_xor_b32_e32 v26, 4, v44
	s_wait_dscnt 0xc
	v_add_f64_e32 v[10:11], v[10:11], v[28:29]
	s_wait_dscnt 0xa
	v_add_f64_e32 v[22:23], v[22:23], v[30:31]
	;; [unrolled: 2-line block ×3, first 2 shown]
	v_cmp_gt_i32_e32 vcc_lo, 32, v26
	s_wait_dscnt 0x6
	v_add_f64_e32 v[18:19], v[18:19], v[34:35]
	s_wait_dscnt 0x4
	v_add_f64_e32 v[20:21], v[20:21], v[36:37]
	;; [unrolled: 2-line block ×3, first 2 shown]
	s_wait_alu 0xfffd
	v_cndmask_b32_e32 v26, v44, v26, vcc_lo
	s_wait_dscnt 0x0
	v_add_f64_e32 v[16:17], v[16:17], v[40:41]
	s_delay_alu instid0(VALU_DEP_2)
	v_lshlrev_b32_e32 v41, 2, v26
	ds_bpermute_b32 v26, v41, v14
	ds_bpermute_b32 v27, v41, v15
	;; [unrolled: 1-line block ×16, first 2 shown]
	s_wait_dscnt 0xe
	v_add_f64_e32 v[14:15], v[14:15], v[26:27]
	s_wait_dscnt 0xc
	v_add_f64_e32 v[26:27], v[10:11], v[28:29]
	v_xor_b32_e32 v10, 2, v44
	s_wait_dscnt 0xa
	v_add_f64_e32 v[22:23], v[22:23], v[30:31]
	s_wait_dscnt 0x8
	v_add_f64_e32 v[28:29], v[24:25], v[32:33]
	;; [unrolled: 2-line block ×3, first 2 shown]
	v_cmp_gt_i32_e32 vcc_lo, 32, v10
	s_wait_dscnt 0x4
	v_add_f64_e32 v[20:21], v[20:21], v[36:37]
	s_wait_dscnt 0x2
	v_add_f64_e32 v[30:31], v[12:13], v[38:39]
	;; [unrolled: 2-line block ×3, first 2 shown]
	s_wait_alu 0xfffd
	v_cndmask_b32_e32 v10, v44, v10, vcc_lo
	s_delay_alu instid0(VALU_DEP_1)
	v_lshlrev_b32_e32 v24, 2, v10
	ds_bpermute_b32 v10, v24, v14
	ds_bpermute_b32 v11, v24, v15
	ds_bpermute_b32 v12, v24, v26
	ds_bpermute_b32 v13, v24, v27
	ds_bpermute_b32 v16, v24, v22
	ds_bpermute_b32 v17, v24, v23
	ds_bpermute_b32 v34, v24, v28
	ds_bpermute_b32 v35, v24, v29
	ds_bpermute_b32 v36, v24, v18
	ds_bpermute_b32 v37, v24, v19
	ds_bpermute_b32 v38, v24, v20
	ds_bpermute_b32 v39, v24, v21
	ds_bpermute_b32 v40, v24, v30
	ds_bpermute_b32 v41, v24, v31
	ds_bpermute_b32 v42, v24, v32
	ds_bpermute_b32 v43, v24, v33
	s_wait_dscnt 0xe
	v_add_f64_e32 v[10:11], v[14:15], v[10:11]
	s_wait_dscnt 0xc
	v_add_f64_e32 v[24:25], v[26:27], v[12:13]
	v_xor_b32_e32 v26, 1, v44
	s_wait_dscnt 0xa
	v_add_f64_e32 v[12:13], v[22:23], v[16:17]
	s_wait_dscnt 0x8
	v_add_f64_e32 v[22:23], v[28:29], v[34:35]
	;; [unrolled: 2-line block ×3, first 2 shown]
	v_cmp_gt_i32_e32 vcc_lo, 32, v26
	s_wait_dscnt 0x4
	v_add_f64_e32 v[20:21], v[20:21], v[38:39]
	s_wait_dscnt 0x2
	v_add_f64_e32 v[16:17], v[30:31], v[40:41]
	;; [unrolled: 2-line block ×3, first 2 shown]
	s_wait_alu 0xfffd
	v_cndmask_b32_e32 v26, v44, v26, vcc_lo
	v_cmp_eq_u32_e32 vcc_lo, 15, v0
	s_delay_alu instid0(VALU_DEP_2)
	v_lshlrev_b32_e32 v29, 2, v26
	ds_bpermute_b32 v40, v29, v10
	ds_bpermute_b32 v41, v29, v11
	;; [unrolled: 1-line block ×16, first 2 shown]
	s_and_b32 exec_lo, exec_lo, vcc_lo
	s_cbranch_execz .LBB123_21
; %bb.17:
	v_cmp_eq_f64_e32 vcc_lo, 0, v[5:6]
	v_cmp_eq_f64_e64 s2, 0, v[7:8]
	s_wait_dscnt 0xe
	v_add_f64_e32 v[10:11], v[10:11], v[40:41]
	s_wait_dscnt 0xc
	v_add_f64_e32 v[24:25], v[24:25], v[38:39]
	;; [unrolled: 2-line block ×8, first 2 shown]
	s_load_b64 s[0:1], s[0:1], 0x48
	s_and_b32 s2, vcc_lo, s2
	s_wait_alu 0xfffe
	s_and_saveexec_b32 s3, s2
	s_wait_alu 0xfffe
	s_xor_b32 s2, exec_lo, s3
	s_cbranch_execz .LBB123_19
; %bb.18:
	v_mul_f64_e64 v[5:6], v[24:25], -v[3:4]
	v_mul_f64_e32 v[7:8], v[1:2], v[24:25]
	v_mul_f64_e64 v[24:25], v[22:23], -v[3:4]
	v_mul_f64_e32 v[22:23], v[1:2], v[22:23]
	;; [unrolled: 2-line block ×4, first 2 shown]
	v_fma_f64 v[5:6], v[1:2], v[10:11], v[5:6]
	v_fma_f64 v[7:8], v[3:4], v[10:11], v[7:8]
	;; [unrolled: 1-line block ×8, first 2 shown]
	v_lshlrev_b32_e32 v14, 2, v9
                                        ; implicit-def: $vgpr9
                                        ; implicit-def: $vgpr24_vgpr25
                                        ; implicit-def: $vgpr22_vgpr23
                                        ; implicit-def: $vgpr16_vgpr17
	s_delay_alu instid0(VALU_DEP_1) | instskip(NEXT) | instid1(VALU_DEP_1)
	v_ashrrev_i32_e32 v15, 31, v14
	v_lshlrev_b64_e32 v[14:15], 4, v[14:15]
	s_wait_kmcnt 0x0
	s_delay_alu instid0(VALU_DEP_1) | instskip(SKIP_1) | instid1(VALU_DEP_2)
	v_add_co_u32 v14, vcc_lo, s0, v14
	s_wait_alu 0xfffd
	v_add_co_ci_u32_e64 v15, null, s1, v15, vcc_lo
	s_clause 0x3
	global_store_b128 v[14:15], v[5:8], off
	global_store_b128 v[14:15], v[10:13], off offset:16
	global_store_b128 v[14:15], v[18:21], off offset:32
	;; [unrolled: 1-line block ×3, first 2 shown]
                                        ; implicit-def: $vgpr10_vgpr11
                                        ; implicit-def: $vgpr12_vgpr13
                                        ; implicit-def: $vgpr14_vgpr15
                                        ; implicit-def: $vgpr20_vgpr21
                                        ; implicit-def: $vgpr18_vgpr19
                                        ; implicit-def: $vgpr7_vgpr8
                                        ; implicit-def: $vgpr3_vgpr4
.LBB123_19:
	s_wait_alu 0xfffe
	s_and_not1_saveexec_b32 s2, s2
	s_cbranch_execz .LBB123_21
; %bb.20:
	v_lshlrev_b32_e32 v26, 2, v9
	v_mul_f64_e64 v[44:45], v[24:25], -v[3:4]
	v_mul_f64_e32 v[24:25], v[1:2], v[24:25]
	v_mul_f64_e64 v[46:47], v[22:23], -v[3:4]
	v_mul_f64_e32 v[22:23], v[1:2], v[22:23]
	v_ashrrev_i32_e32 v27, 31, v26
	v_mul_f64_e64 v[48:49], v[20:21], -v[3:4]
	v_mul_f64_e32 v[20:21], v[1:2], v[20:21]
	v_mul_f64_e64 v[50:51], v[18:19], -v[3:4]
	v_mul_f64_e32 v[18:19], v[1:2], v[18:19]
	v_lshlrev_b64_e32 v[26:27], 4, v[26:27]
	s_wait_kmcnt 0x0
	s_delay_alu instid0(VALU_DEP_1) | instskip(SKIP_1) | instid1(VALU_DEP_2)
	v_add_co_u32 v42, vcc_lo, s0, v26
	s_wait_alu 0xfffd
	v_add_co_ci_u32_e64 v43, null, s1, v27, vcc_lo
	s_clause 0x3
	global_load_b128 v[26:29], v[42:43], off
	global_load_b128 v[30:33], v[42:43], off offset:16
	global_load_b128 v[34:37], v[42:43], off offset:32
	global_load_b128 v[38:41], v[42:43], off offset:48
	v_fma_f64 v[44:45], v[1:2], v[10:11], v[44:45]
	v_fma_f64 v[9:10], v[3:4], v[10:11], v[24:25]
	;; [unrolled: 1-line block ×8, first 2 shown]
	s_wait_loadcnt 0x3
	v_fma_f64 v[15:16], v[5:6], v[26:27], v[44:45]
	v_fma_f64 v[9:10], v[7:8], v[26:27], v[9:10]
	s_wait_loadcnt 0x2
	v_fma_f64 v[17:18], v[5:6], v[30:31], v[24:25]
	v_fma_f64 v[11:12], v[7:8], v[30:31], v[11:12]
	;; [unrolled: 3-line block ×4, first 2 shown]
	v_fma_f64 v[0:1], -v[7:8], v[28:29], v[15:16]
	v_fma_f64 v[2:3], v[5:6], v[28:29], v[9:10]
	v_fma_f64 v[9:10], -v[7:8], v[32:33], v[17:18]
	v_fma_f64 v[11:12], v[5:6], v[32:33], v[11:12]
	;; [unrolled: 2-line block ×4, first 2 shown]
	s_clause 0x3
	global_store_b128 v[42:43], v[0:3], off
	global_store_b128 v[42:43], v[9:12], off offset:16
	global_store_b128 v[42:43], v[13:16], off offset:32
	;; [unrolled: 1-line block ×3, first 2 shown]
.LBB123_21:
	s_endpgm
	.section	.rodata,"a",@progbits
	.p2align	6, 0x0
	.amdhsa_kernel _ZN9rocsparseL19gebsrmvn_4xn_kernelILj128ELj3ELj16E21rocsparse_complex_numIdEEEvi20rocsparse_direction_NS_24const_host_device_scalarIT2_EEPKiS8_PKS5_SA_S6_PS5_21rocsparse_index_base_b
		.amdhsa_group_segment_fixed_size 0
		.amdhsa_private_segment_fixed_size 0
		.amdhsa_kernarg_size 88
		.amdhsa_user_sgpr_count 2
		.amdhsa_user_sgpr_dispatch_ptr 0
		.amdhsa_user_sgpr_queue_ptr 0
		.amdhsa_user_sgpr_kernarg_segment_ptr 1
		.amdhsa_user_sgpr_dispatch_id 0
		.amdhsa_user_sgpr_private_segment_size 0
		.amdhsa_wavefront_size32 1
		.amdhsa_uses_dynamic_stack 0
		.amdhsa_enable_private_segment 0
		.amdhsa_system_sgpr_workgroup_id_x 1
		.amdhsa_system_sgpr_workgroup_id_y 0
		.amdhsa_system_sgpr_workgroup_id_z 0
		.amdhsa_system_sgpr_workgroup_info 0
		.amdhsa_system_vgpr_workitem_id 0
		.amdhsa_next_free_vgpr 92
		.amdhsa_next_free_sgpr 14
		.amdhsa_reserve_vcc 1
		.amdhsa_float_round_mode_32 0
		.amdhsa_float_round_mode_16_64 0
		.amdhsa_float_denorm_mode_32 3
		.amdhsa_float_denorm_mode_16_64 3
		.amdhsa_fp16_overflow 0
		.amdhsa_workgroup_processor_mode 1
		.amdhsa_memory_ordered 1
		.amdhsa_forward_progress 1
		.amdhsa_inst_pref_size 33
		.amdhsa_round_robin_scheduling 0
		.amdhsa_exception_fp_ieee_invalid_op 0
		.amdhsa_exception_fp_denorm_src 0
		.amdhsa_exception_fp_ieee_div_zero 0
		.amdhsa_exception_fp_ieee_overflow 0
		.amdhsa_exception_fp_ieee_underflow 0
		.amdhsa_exception_fp_ieee_inexact 0
		.amdhsa_exception_int_div_zero 0
	.end_amdhsa_kernel
	.section	.text._ZN9rocsparseL19gebsrmvn_4xn_kernelILj128ELj3ELj16E21rocsparse_complex_numIdEEEvi20rocsparse_direction_NS_24const_host_device_scalarIT2_EEPKiS8_PKS5_SA_S6_PS5_21rocsparse_index_base_b,"axG",@progbits,_ZN9rocsparseL19gebsrmvn_4xn_kernelILj128ELj3ELj16E21rocsparse_complex_numIdEEEvi20rocsparse_direction_NS_24const_host_device_scalarIT2_EEPKiS8_PKS5_SA_S6_PS5_21rocsparse_index_base_b,comdat
.Lfunc_end123:
	.size	_ZN9rocsparseL19gebsrmvn_4xn_kernelILj128ELj3ELj16E21rocsparse_complex_numIdEEEvi20rocsparse_direction_NS_24const_host_device_scalarIT2_EEPKiS8_PKS5_SA_S6_PS5_21rocsparse_index_base_b, .Lfunc_end123-_ZN9rocsparseL19gebsrmvn_4xn_kernelILj128ELj3ELj16E21rocsparse_complex_numIdEEEvi20rocsparse_direction_NS_24const_host_device_scalarIT2_EEPKiS8_PKS5_SA_S6_PS5_21rocsparse_index_base_b
                                        ; -- End function
	.set _ZN9rocsparseL19gebsrmvn_4xn_kernelILj128ELj3ELj16E21rocsparse_complex_numIdEEEvi20rocsparse_direction_NS_24const_host_device_scalarIT2_EEPKiS8_PKS5_SA_S6_PS5_21rocsparse_index_base_b.num_vgpr, 92
	.set _ZN9rocsparseL19gebsrmvn_4xn_kernelILj128ELj3ELj16E21rocsparse_complex_numIdEEEvi20rocsparse_direction_NS_24const_host_device_scalarIT2_EEPKiS8_PKS5_SA_S6_PS5_21rocsparse_index_base_b.num_agpr, 0
	.set _ZN9rocsparseL19gebsrmvn_4xn_kernelILj128ELj3ELj16E21rocsparse_complex_numIdEEEvi20rocsparse_direction_NS_24const_host_device_scalarIT2_EEPKiS8_PKS5_SA_S6_PS5_21rocsparse_index_base_b.numbered_sgpr, 14
	.set _ZN9rocsparseL19gebsrmvn_4xn_kernelILj128ELj3ELj16E21rocsparse_complex_numIdEEEvi20rocsparse_direction_NS_24const_host_device_scalarIT2_EEPKiS8_PKS5_SA_S6_PS5_21rocsparse_index_base_b.num_named_barrier, 0
	.set _ZN9rocsparseL19gebsrmvn_4xn_kernelILj128ELj3ELj16E21rocsparse_complex_numIdEEEvi20rocsparse_direction_NS_24const_host_device_scalarIT2_EEPKiS8_PKS5_SA_S6_PS5_21rocsparse_index_base_b.private_seg_size, 0
	.set _ZN9rocsparseL19gebsrmvn_4xn_kernelILj128ELj3ELj16E21rocsparse_complex_numIdEEEvi20rocsparse_direction_NS_24const_host_device_scalarIT2_EEPKiS8_PKS5_SA_S6_PS5_21rocsparse_index_base_b.uses_vcc, 1
	.set _ZN9rocsparseL19gebsrmvn_4xn_kernelILj128ELj3ELj16E21rocsparse_complex_numIdEEEvi20rocsparse_direction_NS_24const_host_device_scalarIT2_EEPKiS8_PKS5_SA_S6_PS5_21rocsparse_index_base_b.uses_flat_scratch, 0
	.set _ZN9rocsparseL19gebsrmvn_4xn_kernelILj128ELj3ELj16E21rocsparse_complex_numIdEEEvi20rocsparse_direction_NS_24const_host_device_scalarIT2_EEPKiS8_PKS5_SA_S6_PS5_21rocsparse_index_base_b.has_dyn_sized_stack, 0
	.set _ZN9rocsparseL19gebsrmvn_4xn_kernelILj128ELj3ELj16E21rocsparse_complex_numIdEEEvi20rocsparse_direction_NS_24const_host_device_scalarIT2_EEPKiS8_PKS5_SA_S6_PS5_21rocsparse_index_base_b.has_recursion, 0
	.set _ZN9rocsparseL19gebsrmvn_4xn_kernelILj128ELj3ELj16E21rocsparse_complex_numIdEEEvi20rocsparse_direction_NS_24const_host_device_scalarIT2_EEPKiS8_PKS5_SA_S6_PS5_21rocsparse_index_base_b.has_indirect_call, 0
	.section	.AMDGPU.csdata,"",@progbits
; Kernel info:
; codeLenInByte = 4192
; TotalNumSgprs: 16
; NumVgprs: 92
; ScratchSize: 0
; MemoryBound: 0
; FloatMode: 240
; IeeeMode: 1
; LDSByteSize: 0 bytes/workgroup (compile time only)
; SGPRBlocks: 0
; VGPRBlocks: 11
; NumSGPRsForWavesPerEU: 16
; NumVGPRsForWavesPerEU: 92
; Occupancy: 16
; WaveLimiterHint : 1
; COMPUTE_PGM_RSRC2:SCRATCH_EN: 0
; COMPUTE_PGM_RSRC2:USER_SGPR: 2
; COMPUTE_PGM_RSRC2:TRAP_HANDLER: 0
; COMPUTE_PGM_RSRC2:TGID_X_EN: 1
; COMPUTE_PGM_RSRC2:TGID_Y_EN: 0
; COMPUTE_PGM_RSRC2:TGID_Z_EN: 0
; COMPUTE_PGM_RSRC2:TIDIG_COMP_CNT: 0
	.section	.text._ZN9rocsparseL19gebsrmvn_4xn_kernelILj128ELj3ELj32E21rocsparse_complex_numIdEEEvi20rocsparse_direction_NS_24const_host_device_scalarIT2_EEPKiS8_PKS5_SA_S6_PS5_21rocsparse_index_base_b,"axG",@progbits,_ZN9rocsparseL19gebsrmvn_4xn_kernelILj128ELj3ELj32E21rocsparse_complex_numIdEEEvi20rocsparse_direction_NS_24const_host_device_scalarIT2_EEPKiS8_PKS5_SA_S6_PS5_21rocsparse_index_base_b,comdat
	.globl	_ZN9rocsparseL19gebsrmvn_4xn_kernelILj128ELj3ELj32E21rocsparse_complex_numIdEEEvi20rocsparse_direction_NS_24const_host_device_scalarIT2_EEPKiS8_PKS5_SA_S6_PS5_21rocsparse_index_base_b ; -- Begin function _ZN9rocsparseL19gebsrmvn_4xn_kernelILj128ELj3ELj32E21rocsparse_complex_numIdEEEvi20rocsparse_direction_NS_24const_host_device_scalarIT2_EEPKiS8_PKS5_SA_S6_PS5_21rocsparse_index_base_b
	.p2align	8
	.type	_ZN9rocsparseL19gebsrmvn_4xn_kernelILj128ELj3ELj32E21rocsparse_complex_numIdEEEvi20rocsparse_direction_NS_24const_host_device_scalarIT2_EEPKiS8_PKS5_SA_S6_PS5_21rocsparse_index_base_b,@function
_ZN9rocsparseL19gebsrmvn_4xn_kernelILj128ELj3ELj32E21rocsparse_complex_numIdEEEvi20rocsparse_direction_NS_24const_host_device_scalarIT2_EEPKiS8_PKS5_SA_S6_PS5_21rocsparse_index_base_b: ; @_ZN9rocsparseL19gebsrmvn_4xn_kernelILj128ELj3ELj32E21rocsparse_complex_numIdEEEvi20rocsparse_direction_NS_24const_host_device_scalarIT2_EEPKiS8_PKS5_SA_S6_PS5_21rocsparse_index_base_b
; %bb.0:
	s_clause 0x1
	s_load_b64 s[12:13], s[0:1], 0x50
	s_load_b64 s[2:3], s[0:1], 0x8
	s_add_nc_u64 s[4:5], s[0:1], 8
	s_load_b64 s[6:7], s[0:1], 0x38
	s_wait_kmcnt 0x0
	s_bitcmp1_b32 s13, 0
	s_cselect_b32 s2, s4, s2
	s_cselect_b32 s3, s5, s3
	s_delay_alu instid0(SALU_CYCLE_1)
	v_dual_mov_b32 v1, s2 :: v_dual_mov_b32 v2, s3
	s_add_nc_u64 s[2:3], s[0:1], 56
	s_wait_alu 0xfffe
	s_cselect_b32 s2, s2, s6
	s_cselect_b32 s3, s3, s7
	flat_load_b128 v[1:4], v[1:2]
	s_wait_alu 0xfffe
	v_dual_mov_b32 v5, s2 :: v_dual_mov_b32 v6, s3
	flat_load_b128 v[5:8], v[5:6]
	s_wait_loadcnt_dscnt 0x101
	v_cmp_eq_f64_e32 vcc_lo, 0, v[1:2]
	v_cmp_eq_f64_e64 s2, 0, v[3:4]
	s_and_b32 s4, vcc_lo, s2
	s_mov_b32 s2, -1
	s_and_saveexec_b32 s3, s4
	s_cbranch_execz .LBB124_2
; %bb.1:
	s_wait_loadcnt_dscnt 0x0
	v_cmp_neq_f64_e32 vcc_lo, 1.0, v[5:6]
	v_cmp_neq_f64_e64 s2, 0, v[7:8]
	s_wait_alu 0xfffe
	s_or_b32 s2, vcc_lo, s2
	s_wait_alu 0xfffe
	s_or_not1_b32 s2, s2, exec_lo
.LBB124_2:
	s_wait_alu 0xfffe
	s_or_b32 exec_lo, exec_lo, s3
	s_and_saveexec_b32 s3, s2
	s_cbranch_execz .LBB124_21
; %bb.3:
	s_load_b64 s[2:3], s[0:1], 0x0
	v_lshrrev_b32_e32 v9, 5, v0
	s_delay_alu instid0(VALU_DEP_1) | instskip(SKIP_1) | instid1(VALU_DEP_1)
	v_lshl_or_b32 v9, ttmp9, 2, v9
	s_wait_kmcnt 0x0
	v_cmp_gt_i32_e32 vcc_lo, s2, v9
	s_and_b32 exec_lo, exec_lo, vcc_lo
	s_cbranch_execz .LBB124_21
; %bb.4:
	s_load_b256 s[4:11], s[0:1], 0x18
	v_ashrrev_i32_e32 v10, 31, v9
	v_and_b32_e32 v0, 31, v0
	s_cmp_lg_u32 s3, 0
	s_delay_alu instid0(VALU_DEP_2) | instskip(SKIP_1) | instid1(VALU_DEP_1)
	v_lshlrev_b64_e32 v[10:11], 2, v[9:10]
	s_wait_kmcnt 0x0
	v_add_co_u32 v10, vcc_lo, s4, v10
	s_delay_alu instid0(VALU_DEP_1) | instskip(SKIP_4) | instid1(VALU_DEP_2)
	v_add_co_ci_u32_e64 v11, null, s5, v11, vcc_lo
	global_load_b64 v[10:11], v[10:11], off
	s_wait_loadcnt 0x0
	v_subrev_nc_u32_e32 v10, s12, v10
	v_subrev_nc_u32_e32 v31, s12, v11
	v_add_nc_u32_e32 v26, v10, v0
	s_delay_alu instid0(VALU_DEP_1)
	v_cmp_lt_i32_e64 s2, v26, v31
	s_cbranch_scc0 .LBB124_10
; %bb.5:
	v_mov_b32_e32 v10, 0
	v_mov_b32_e32 v12, 0
	;; [unrolled: 1-line block ×3, first 2 shown]
	v_dual_mov_b32 v22, 0 :: v_dual_mov_b32 v11, 0
	v_dual_mov_b32 v14, 0 :: v_dual_mov_b32 v13, 0
	v_dual_mov_b32 v16, 0 :: v_dual_mov_b32 v19, 0
	v_dual_mov_b32 v20, 0 :: v_dual_mov_b32 v23, 0
	v_dual_mov_b32 v24, 0 :: v_dual_mov_b32 v15, 0
	v_mov_b32_e32 v17, 0
	v_mov_b32_e32 v21, 0
	;; [unrolled: 1-line block ×3, first 2 shown]
	s_and_saveexec_b32 s3, s2
	s_cbranch_execz .LBB124_9
; %bb.6:
	v_mul_lo_u32 v27, v26, 12
	v_mov_b32_e32 v10, 0
	v_mov_b32_e32 v14, 0
	;; [unrolled: 1-line block ×7, first 2 shown]
	v_dual_mov_b32 v24, 0 :: v_dual_mov_b32 v29, v26
	v_dual_mov_b32 v11, 0 :: v_dual_mov_b32 v28, 0
	v_mov_b32_e32 v15, 0
	v_mov_b32_e32 v13, 0
	;; [unrolled: 1-line block ×7, first 2 shown]
	s_mov_b32 s4, 0
.LBB124_7:                              ; =>This Inner Loop Header: Depth=1
	v_ashrrev_i32_e32 v30, 31, v29
	v_dual_mov_b32 v89, v28 :: v_dual_add_nc_u32 v52, 4, v27
	v_dual_mov_b32 v69, v28 :: v_dual_add_nc_u32 v72, 8, v27
	s_delay_alu instid0(VALU_DEP_3) | instskip(SKIP_1) | instid1(VALU_DEP_2)
	v_lshlrev_b64_e32 v[32:33], 2, v[29:30]
	v_add_nc_u32_e32 v29, 32, v29
	v_add_co_u32 v32, vcc_lo, s6, v32
	s_wait_alu 0xfffd
	s_delay_alu instid0(VALU_DEP_3) | instskip(SKIP_3) | instid1(VALU_DEP_2)
	v_add_co_ci_u32_e64 v33, null, s7, v33, vcc_lo
	global_load_b32 v30, v[32:33], off
	v_lshlrev_b64_e32 v[32:33], 4, v[27:28]
	v_add_nc_u32_e32 v27, 0x180, v27
	v_add_co_u32 v44, vcc_lo, s8, v32
	s_wait_alu 0xfffd
	s_delay_alu instid0(VALU_DEP_3)
	v_add_co_ci_u32_e64 v45, null, s9, v33, vcc_lo
	s_clause 0x3
	global_load_b128 v[32:35], v[44:45], off offset:48
	global_load_b128 v[36:39], v[44:45], off offset:32
	global_load_b128 v[40:43], v[44:45], off offset:16
	global_load_b128 v[44:47], v[44:45], off
	s_wait_loadcnt 0x4
	v_subrev_nc_u32_e32 v30, s12, v30
	s_delay_alu instid0(VALU_DEP_1) | instskip(SKIP_2) | instid1(VALU_DEP_3)
	v_lshl_add_u32 v88, v30, 1, v30
	v_mov_b32_e32 v53, v28
	v_mov_b32_e32 v73, v28
	v_lshlrev_b64_e32 v[48:49], 4, v[88:89]
	v_add_nc_u32_e32 v68, 1, v88
	s_delay_alu instid0(VALU_DEP_4) | instskip(SKIP_2) | instid1(VALU_DEP_4)
	v_lshlrev_b64_e32 v[52:53], 4, v[52:53]
	v_add_nc_u32_e32 v88, 2, v88
	v_lshlrev_b64_e32 v[72:73], 4, v[72:73]
	v_lshlrev_b64_e32 v[68:69], 4, v[68:69]
	v_add_co_u32 v48, vcc_lo, s10, v48
	s_wait_alu 0xfffd
	v_add_co_ci_u32_e64 v49, null, s11, v49, vcc_lo
	v_add_co_u32 v64, vcc_lo, s8, v52
	s_wait_alu 0xfffd
	v_add_co_ci_u32_e64 v65, null, s9, v53, vcc_lo
	global_load_b128 v[48:51], v[48:49], off
	v_add_co_u32 v68, vcc_lo, s10, v68
	s_wait_alu 0xfffd
	v_add_co_ci_u32_e64 v69, null, s11, v69, vcc_lo
	s_clause 0x3
	global_load_b128 v[52:55], v[64:65], off offset:48
	global_load_b128 v[56:59], v[64:65], off offset:32
	;; [unrolled: 1-line block ×3, first 2 shown]
	global_load_b128 v[64:67], v[64:65], off
	v_lshlrev_b64_e32 v[88:89], 4, v[88:89]
	v_add_co_u32 v84, vcc_lo, s8, v72
	global_load_b128 v[68:71], v[68:69], off
	s_wait_alu 0xfffd
	v_add_co_ci_u32_e64 v85, null, s9, v73, vcc_lo
	v_add_co_u32 v88, vcc_lo, s10, v88
	s_wait_alu 0xfffd
	v_add_co_ci_u32_e64 v89, null, s11, v89, vcc_lo
	s_clause 0x3
	global_load_b128 v[72:75], v[84:85], off offset:48
	global_load_b128 v[76:79], v[84:85], off offset:32
	;; [unrolled: 1-line block ×3, first 2 shown]
	global_load_b128 v[84:87], v[84:85], off
	v_cmp_ge_i32_e32 vcc_lo, v29, v31
	global_load_b128 v[88:91], v[88:89], off
	s_wait_alu 0xfffe
	s_or_b32 s4, vcc_lo, s4
	s_wait_loadcnt 0xa
	v_fma_f64 v[14:15], v[44:45], v[48:49], v[14:15]
	v_fma_f64 v[10:11], v[46:47], v[48:49], v[10:11]
	v_fma_f64 v[22:23], v[40:41], v[48:49], v[22:23]
	v_fma_f64 v[24:25], v[42:43], v[48:49], v[24:25]
	v_fma_f64 v[18:19], v[36:37], v[48:49], v[18:19]
	v_fma_f64 v[20:21], v[38:39], v[48:49], v[20:21]
	v_fma_f64 v[12:13], v[32:33], v[48:49], v[12:13]
	v_fma_f64 v[16:17], v[34:35], v[48:49], v[16:17]
	v_fma_f64 v[14:15], -v[46:47], v[50:51], v[14:15]
	v_fma_f64 v[10:11], v[44:45], v[50:51], v[10:11]
	v_fma_f64 v[22:23], -v[42:43], v[50:51], v[22:23]
	v_fma_f64 v[24:25], v[40:41], v[50:51], v[24:25]
	v_fma_f64 v[18:19], -v[38:39], v[50:51], v[18:19]
	v_fma_f64 v[20:21], v[36:37], v[50:51], v[20:21]
	v_fma_f64 v[12:13], -v[34:35], v[50:51], v[12:13]
	v_fma_f64 v[16:17], v[32:33], v[50:51], v[16:17]
	s_wait_loadcnt 0x5
	v_fma_f64 v[14:15], v[64:65], v[68:69], v[14:15]
	v_fma_f64 v[10:11], v[66:67], v[68:69], v[10:11]
	v_fma_f64 v[22:23], v[60:61], v[68:69], v[22:23]
	v_fma_f64 v[24:25], v[62:63], v[68:69], v[24:25]
	v_fma_f64 v[18:19], v[56:57], v[68:69], v[18:19]
	v_fma_f64 v[20:21], v[58:59], v[68:69], v[20:21]
	v_fma_f64 v[12:13], v[52:53], v[68:69], v[12:13]
	v_fma_f64 v[16:17], v[54:55], v[68:69], v[16:17]
	v_fma_f64 v[14:15], -v[66:67], v[70:71], v[14:15]
	v_fma_f64 v[10:11], v[64:65], v[70:71], v[10:11]
	v_fma_f64 v[22:23], -v[62:63], v[70:71], v[22:23]
	v_fma_f64 v[24:25], v[60:61], v[70:71], v[24:25]
	v_fma_f64 v[18:19], -v[58:59], v[70:71], v[18:19]
	v_fma_f64 v[20:21], v[56:57], v[70:71], v[20:21]
	v_fma_f64 v[12:13], -v[54:55], v[70:71], v[12:13]
	v_fma_f64 v[16:17], v[52:53], v[70:71], v[16:17]
	;; [unrolled: 17-line block ×3, first 2 shown]
	s_wait_alu 0xfffe
	s_and_not1_b32 exec_lo, exec_lo, s4
	s_cbranch_execnz .LBB124_7
; %bb.8:
	s_or_b32 exec_lo, exec_lo, s4
.LBB124_9:
	s_wait_alu 0xfffe
	s_or_b32 exec_lo, exec_lo, s3
	s_cbranch_execz .LBB124_11
	s_branch .LBB124_16
.LBB124_10:
                                        ; implicit-def: $vgpr10_vgpr11
                                        ; implicit-def: $vgpr14_vgpr15
                                        ; implicit-def: $vgpr12_vgpr13
                                        ; implicit-def: $vgpr16_vgpr17
                                        ; implicit-def: $vgpr18_vgpr19
                                        ; implicit-def: $vgpr20_vgpr21
                                        ; implicit-def: $vgpr22_vgpr23
                                        ; implicit-def: $vgpr24_vgpr25
.LBB124_11:
	v_mov_b32_e32 v10, 0
	v_mov_b32_e32 v12, 0
	;; [unrolled: 1-line block ×3, first 2 shown]
	v_dual_mov_b32 v22, 0 :: v_dual_mov_b32 v11, 0
	v_dual_mov_b32 v14, 0 :: v_dual_mov_b32 v13, 0
	;; [unrolled: 1-line block ×5, first 2 shown]
	v_mov_b32_e32 v17, 0
	v_mov_b32_e32 v21, 0
	;; [unrolled: 1-line block ×3, first 2 shown]
	s_and_saveexec_b32 s3, s2
	s_cbranch_execz .LBB124_15
; %bb.12:
	v_mad_co_u64_u32 v[28:29], null, v26, 12, 11
	v_mov_b32_e32 v10, 0
	v_mov_b32_e32 v12, 0
	;; [unrolled: 1-line block ×3, first 2 shown]
	v_dual_mov_b32 v22, 0 :: v_dual_mov_b32 v11, 0
	v_dual_mov_b32 v14, 0 :: v_dual_mov_b32 v13, 0
	;; [unrolled: 1-line block ×5, first 2 shown]
	v_mov_b32_e32 v17, 0
	v_mov_b32_e32 v21, 0
	v_dual_mov_b32 v25, 0 :: v_dual_mov_b32 v30, 0
	s_mov_b32 s2, 0
.LBB124_13:                             ; =>This Inner Loop Header: Depth=1
	v_ashrrev_i32_e32 v27, 31, v26
	v_add_nc_u32_e32 v29, -11, v28
	s_delay_alu instid0(VALU_DEP_3) | instskip(SKIP_1) | instid1(VALU_DEP_4)
	v_dual_mov_b32 v35, v30 :: v_dual_add_nc_u32 v34, -2, v28
	v_mov_b32_e32 v81, v30
	v_lshlrev_b64_e32 v[32:33], 2, v[26:27]
	s_delay_alu instid0(VALU_DEP_4) | instskip(SKIP_1) | instid1(VALU_DEP_3)
	v_lshlrev_b64_e32 v[36:37], 4, v[29:30]
	v_add_nc_u32_e32 v26, 32, v26
	v_add_co_u32 v32, vcc_lo, s6, v32
	s_wait_alu 0xfffd
	s_delay_alu instid0(VALU_DEP_4) | instskip(NEXT) | instid1(VALU_DEP_4)
	v_add_co_ci_u32_e64 v33, null, s7, v33, vcc_lo
	v_add_co_u32 v72, vcc_lo, s8, v36
	s_wait_alu 0xfffd
	v_add_co_ci_u32_e64 v73, null, s9, v37, vcc_lo
	global_load_b32 v27, v[32:33], off
	v_dual_mov_b32 v33, v30 :: v_dual_add_nc_u32 v32, -5, v28
	v_lshlrev_b64_e32 v[34:35], 4, v[34:35]
	s_delay_alu instid0(VALU_DEP_2) | instskip(NEXT) | instid1(VALU_DEP_1)
	v_lshlrev_b64_e32 v[32:33], 4, v[32:33]
	v_add_co_u32 v44, vcc_lo, s8, v32
	s_wait_alu 0xfffd
	s_delay_alu instid0(VALU_DEP_2) | instskip(NEXT) | instid1(VALU_DEP_4)
	v_add_co_ci_u32_e64 v45, null, s9, v33, vcc_lo
	v_add_co_u32 v48, vcc_lo, s8, v34
	s_wait_alu 0xfffd
	v_add_co_ci_u32_e64 v49, null, s9, v35, vcc_lo
	s_clause 0x4
	global_load_b128 v[32:35], v[72:73], off offset:48
	global_load_b128 v[36:39], v[72:73], off offset:16
	global_load_b128 v[40:43], v[72:73], off
	global_load_b128 v[44:47], v[44:45], off
	;; [unrolled: 1-line block ×3, first 2 shown]
	s_wait_loadcnt 0x5
	v_subrev_nc_u32_e32 v27, s12, v27
	s_delay_alu instid0(VALU_DEP_1) | instskip(NEXT) | instid1(VALU_DEP_1)
	v_lshl_add_u32 v80, v27, 1, v27
	v_lshlrev_b64_e32 v[52:53], 4, v[80:81]
	v_add_nc_u32_e32 v29, 1, v80
	s_delay_alu instid0(VALU_DEP_1) | instskip(NEXT) | instid1(VALU_DEP_3)
	v_lshlrev_b64_e32 v[56:57], 4, v[29:30]
	v_add_co_u32 v52, vcc_lo, s10, v52
	s_wait_alu 0xfffd
	s_delay_alu instid0(VALU_DEP_4) | instskip(SKIP_1) | instid1(VALU_DEP_4)
	v_add_co_ci_u32_e64 v53, null, s11, v53, vcc_lo
	v_add_nc_u32_e32 v29, -7, v28
	v_add_co_u32 v56, vcc_lo, s10, v56
	global_load_b128 v[52:55], v[52:53], off
	s_wait_alu 0xfffd
	v_add_co_ci_u32_e64 v57, null, s11, v57, vcc_lo
	v_lshlrev_b64_e32 v[60:61], 4, v[29:30]
	v_add_nc_u32_e32 v29, -4, v28
	global_load_b128 v[56:59], v[56:57], off
	v_lshlrev_b64_e32 v[62:63], 4, v[29:30]
	v_add_nc_u32_e32 v29, -1, v28
	v_add_co_u32 v60, vcc_lo, s8, v60
	s_wait_alu 0xfffd
	v_add_co_ci_u32_e64 v61, null, s9, v61, vcc_lo
	s_delay_alu instid0(VALU_DEP_3) | instskip(SKIP_4) | instid1(VALU_DEP_4)
	v_lshlrev_b64_e32 v[64:65], 4, v[29:30]
	v_add_co_u32 v66, vcc_lo, s8, v62
	s_wait_alu 0xfffd
	v_add_co_ci_u32_e64 v67, null, s9, v63, vcc_lo
	v_mov_b32_e32 v29, v30
	v_add_co_u32 v68, vcc_lo, s8, v64
	s_wait_alu 0xfffd
	v_add_co_ci_u32_e64 v69, null, s9, v65, vcc_lo
	s_clause 0x2
	global_load_b128 v[60:63], v[60:61], off
	global_load_b128 v[64:67], v[66:67], off
	;; [unrolled: 1-line block ×3, first 2 shown]
	v_lshlrev_b64_e32 v[74:75], 4, v[28:29]
	v_add_nc_u32_e32 v29, 2, v80
	s_delay_alu instid0(VALU_DEP_1) | instskip(SKIP_1) | instid1(VALU_DEP_4)
	v_lshlrev_b64_e32 v[80:81], 4, v[29:30]
	v_add_nc_u32_e32 v29, -6, v28
	v_add_co_u32 v76, vcc_lo, s8, v74
	s_wait_alu 0xfffd
	v_add_co_ci_u32_e64 v77, null, s9, v75, vcc_lo
	s_delay_alu instid0(VALU_DEP_3) | instskip(SKIP_4) | instid1(VALU_DEP_3)
	v_lshlrev_b64_e32 v[84:85], 4, v[29:30]
	v_add_nc_u32_e32 v29, -3, v28
	v_add_co_u32 v80, vcc_lo, s10, v80
	s_wait_alu 0xfffd
	v_add_co_ci_u32_e64 v81, null, s11, v81, vcc_lo
	v_lshlrev_b64_e32 v[86:87], 4, v[29:30]
	v_add_co_u32 v84, vcc_lo, s8, v84
	s_wait_alu 0xfffd
	v_add_co_ci_u32_e64 v85, null, s9, v85, vcc_lo
	s_clause 0x1
	global_load_b128 v[72:75], v[72:73], off offset:32
	global_load_b128 v[76:79], v[76:77], off
	v_add_co_u32 v88, vcc_lo, s8, v86
	s_wait_alu 0xfffd
	v_add_co_ci_u32_e64 v89, null, s9, v87, vcc_lo
	global_load_b128 v[80:83], v[80:81], off
	s_clause 0x1
	global_load_b128 v[84:87], v[84:85], off
	global_load_b128 v[88:91], v[88:89], off
	v_cmp_ge_i32_e32 vcc_lo, v26, v31
	v_add_nc_u32_e32 v28, 0x180, v28
	s_wait_alu 0xfffe
	s_or_b32 s2, vcc_lo, s2
	s_wait_loadcnt 0x9
	v_fma_f64 v[14:15], v[40:41], v[52:53], v[14:15]
	v_fma_f64 v[10:11], v[42:43], v[52:53], v[10:11]
	v_fma_f64 v[22:23], v[32:33], v[52:53], v[22:23]
	v_fma_f64 v[24:25], v[34:35], v[52:53], v[24:25]
	v_fma_f64 v[18:19], v[44:45], v[52:53], v[18:19]
	v_fma_f64 v[20:21], v[46:47], v[52:53], v[20:21]
	v_fma_f64 v[12:13], v[48:49], v[52:53], v[12:13]
	v_fma_f64 v[16:17], v[50:51], v[52:53], v[16:17]
	v_fma_f64 v[14:15], -v[42:43], v[54:55], v[14:15]
	v_fma_f64 v[10:11], v[40:41], v[54:55], v[10:11]
	v_fma_f64 v[22:23], -v[34:35], v[54:55], v[22:23]
	v_fma_f64 v[24:25], v[32:33], v[54:55], v[24:25]
	;; [unrolled: 2-line block ×4, first 2 shown]
	s_wait_loadcnt 0x8
	v_fma_f64 v[14:15], v[36:37], v[56:57], v[14:15]
	v_fma_f64 v[10:11], v[38:39], v[56:57], v[10:11]
	s_wait_loadcnt 0x7
	v_fma_f64 v[22:23], v[60:61], v[56:57], v[22:23]
	v_fma_f64 v[24:25], v[62:63], v[56:57], v[24:25]
	;; [unrolled: 3-line block ×4, first 2 shown]
	v_fma_f64 v[14:15], -v[38:39], v[58:59], v[14:15]
	v_fma_f64 v[10:11], v[36:37], v[58:59], v[10:11]
	v_fma_f64 v[22:23], -v[62:63], v[58:59], v[22:23]
	v_fma_f64 v[24:25], v[60:61], v[58:59], v[24:25]
	;; [unrolled: 2-line block ×4, first 2 shown]
	s_wait_loadcnt 0x2
	v_fma_f64 v[14:15], v[72:73], v[80:81], v[14:15]
	v_fma_f64 v[10:11], v[74:75], v[80:81], v[10:11]
	s_wait_loadcnt 0x1
	v_fma_f64 v[22:23], v[84:85], v[80:81], v[22:23]
	v_fma_f64 v[24:25], v[86:87], v[80:81], v[24:25]
	;; [unrolled: 3-line block ×3, first 2 shown]
	v_fma_f64 v[12:13], v[76:77], v[80:81], v[12:13]
	v_fma_f64 v[16:17], v[78:79], v[80:81], v[16:17]
	v_fma_f64 v[14:15], -v[74:75], v[82:83], v[14:15]
	v_fma_f64 v[10:11], v[72:73], v[82:83], v[10:11]
	v_fma_f64 v[22:23], -v[86:87], v[82:83], v[22:23]
	;; [unrolled: 2-line block ×4, first 2 shown]
	v_fma_f64 v[16:17], v[76:77], v[82:83], v[16:17]
	s_wait_alu 0xfffe
	s_and_not1_b32 exec_lo, exec_lo, s2
	s_cbranch_execnz .LBB124_13
; %bb.14:
	s_or_b32 exec_lo, exec_lo, s2
.LBB124_15:
	s_wait_alu 0xfffe
	s_or_b32 exec_lo, exec_lo, s3
.LBB124_16:
	v_mbcnt_lo_u32_b32 v44, -1, 0
	s_delay_alu instid0(VALU_DEP_1) | instskip(NEXT) | instid1(VALU_DEP_1)
	v_xor_b32_e32 v26, 16, v44
	v_cmp_gt_i32_e32 vcc_lo, 32, v26
	s_wait_alu 0xfffd
	v_cndmask_b32_e32 v26, v44, v26, vcc_lo
	s_delay_alu instid0(VALU_DEP_1)
	v_lshlrev_b32_e32 v41, 2, v26
	ds_bpermute_b32 v26, v41, v14
	ds_bpermute_b32 v27, v41, v15
	;; [unrolled: 1-line block ×16, first 2 shown]
	s_wait_dscnt 0xe
	v_add_f64_e32 v[14:15], v[14:15], v[26:27]
	v_xor_b32_e32 v26, 8, v44
	s_wait_dscnt 0xc
	v_add_f64_e32 v[10:11], v[10:11], v[28:29]
	s_wait_dscnt 0xa
	v_add_f64_e32 v[22:23], v[22:23], v[30:31]
	;; [unrolled: 2-line block ×3, first 2 shown]
	v_cmp_gt_i32_e32 vcc_lo, 32, v26
	s_wait_dscnt 0x6
	v_add_f64_e32 v[18:19], v[18:19], v[34:35]
	s_wait_dscnt 0x4
	v_add_f64_e32 v[20:21], v[20:21], v[36:37]
	;; [unrolled: 2-line block ×3, first 2 shown]
	s_wait_alu 0xfffd
	v_cndmask_b32_e32 v26, v44, v26, vcc_lo
	s_wait_dscnt 0x0
	v_add_f64_e32 v[16:17], v[16:17], v[40:41]
	s_delay_alu instid0(VALU_DEP_2)
	v_lshlrev_b32_e32 v41, 2, v26
	ds_bpermute_b32 v26, v41, v14
	ds_bpermute_b32 v27, v41, v15
	;; [unrolled: 1-line block ×16, first 2 shown]
	s_wait_dscnt 0xe
	v_add_f64_e32 v[14:15], v[14:15], v[26:27]
	v_xor_b32_e32 v26, 4, v44
	s_wait_dscnt 0xc
	v_add_f64_e32 v[10:11], v[10:11], v[28:29]
	s_wait_dscnt 0xa
	v_add_f64_e32 v[22:23], v[22:23], v[30:31]
	;; [unrolled: 2-line block ×3, first 2 shown]
	v_cmp_gt_i32_e32 vcc_lo, 32, v26
	s_wait_dscnt 0x6
	v_add_f64_e32 v[18:19], v[18:19], v[34:35]
	s_wait_dscnt 0x4
	v_add_f64_e32 v[20:21], v[20:21], v[36:37]
	;; [unrolled: 2-line block ×3, first 2 shown]
	s_wait_alu 0xfffd
	v_cndmask_b32_e32 v26, v44, v26, vcc_lo
	s_wait_dscnt 0x0
	v_add_f64_e32 v[16:17], v[16:17], v[40:41]
	s_delay_alu instid0(VALU_DEP_2)
	v_lshlrev_b32_e32 v41, 2, v26
	ds_bpermute_b32 v26, v41, v14
	ds_bpermute_b32 v27, v41, v15
	;; [unrolled: 1-line block ×16, first 2 shown]
	s_wait_dscnt 0xe
	v_add_f64_e32 v[14:15], v[14:15], v[26:27]
	s_wait_dscnt 0xc
	v_add_f64_e32 v[26:27], v[10:11], v[28:29]
	v_xor_b32_e32 v10, 2, v44
	s_wait_dscnt 0xa
	v_add_f64_e32 v[22:23], v[22:23], v[30:31]
	s_wait_dscnt 0x8
	v_add_f64_e32 v[28:29], v[24:25], v[32:33]
	;; [unrolled: 2-line block ×3, first 2 shown]
	v_cmp_gt_i32_e32 vcc_lo, 32, v10
	s_wait_dscnt 0x4
	v_add_f64_e32 v[20:21], v[20:21], v[36:37]
	s_wait_dscnt 0x2
	v_add_f64_e32 v[30:31], v[12:13], v[38:39]
	;; [unrolled: 2-line block ×3, first 2 shown]
	s_wait_alu 0xfffd
	v_cndmask_b32_e32 v10, v44, v10, vcc_lo
	s_delay_alu instid0(VALU_DEP_1)
	v_lshlrev_b32_e32 v24, 2, v10
	ds_bpermute_b32 v10, v24, v14
	ds_bpermute_b32 v11, v24, v15
	;; [unrolled: 1-line block ×16, first 2 shown]
	s_wait_dscnt 0xe
	v_add_f64_e32 v[10:11], v[14:15], v[10:11]
	s_wait_dscnt 0xc
	v_add_f64_e32 v[24:25], v[26:27], v[12:13]
	v_xor_b32_e32 v26, 1, v44
	s_wait_dscnt 0xa
	v_add_f64_e32 v[12:13], v[22:23], v[16:17]
	s_wait_dscnt 0x8
	v_add_f64_e32 v[22:23], v[28:29], v[34:35]
	s_wait_dscnt 0x6
	v_add_f64_e32 v[14:15], v[18:19], v[36:37]
	v_cmp_gt_i32_e32 vcc_lo, 32, v26
	s_wait_dscnt 0x4
	v_add_f64_e32 v[20:21], v[20:21], v[38:39]
	s_wait_dscnt 0x2
	v_add_f64_e32 v[16:17], v[30:31], v[40:41]
	s_wait_dscnt 0x0
	v_add_f64_e32 v[18:19], v[32:33], v[42:43]
	s_wait_alu 0xfffd
	v_cndmask_b32_e32 v26, v44, v26, vcc_lo
	v_cmp_eq_u32_e32 vcc_lo, 31, v0
	s_delay_alu instid0(VALU_DEP_2)
	v_lshlrev_b32_e32 v29, 2, v26
	ds_bpermute_b32 v40, v29, v10
	ds_bpermute_b32 v41, v29, v11
	;; [unrolled: 1-line block ×16, first 2 shown]
	s_and_b32 exec_lo, exec_lo, vcc_lo
	s_cbranch_execz .LBB124_21
; %bb.17:
	v_cmp_eq_f64_e32 vcc_lo, 0, v[5:6]
	v_cmp_eq_f64_e64 s2, 0, v[7:8]
	s_wait_dscnt 0xe
	v_add_f64_e32 v[10:11], v[10:11], v[40:41]
	s_wait_dscnt 0xc
	v_add_f64_e32 v[24:25], v[24:25], v[38:39]
	;; [unrolled: 2-line block ×8, first 2 shown]
	s_load_b64 s[0:1], s[0:1], 0x48
	s_and_b32 s2, vcc_lo, s2
	s_wait_alu 0xfffe
	s_and_saveexec_b32 s3, s2
	s_wait_alu 0xfffe
	s_xor_b32 s2, exec_lo, s3
	s_cbranch_execz .LBB124_19
; %bb.18:
	v_mul_f64_e64 v[5:6], v[24:25], -v[3:4]
	v_mul_f64_e32 v[7:8], v[1:2], v[24:25]
	v_mul_f64_e64 v[24:25], v[22:23], -v[3:4]
	v_mul_f64_e32 v[22:23], v[1:2], v[22:23]
	;; [unrolled: 2-line block ×4, first 2 shown]
	v_fma_f64 v[5:6], v[1:2], v[10:11], v[5:6]
	v_fma_f64 v[7:8], v[3:4], v[10:11], v[7:8]
	;; [unrolled: 1-line block ×8, first 2 shown]
	v_lshlrev_b32_e32 v14, 2, v9
                                        ; implicit-def: $vgpr9
                                        ; implicit-def: $vgpr24_vgpr25
                                        ; implicit-def: $vgpr22_vgpr23
                                        ; implicit-def: $vgpr16_vgpr17
	s_delay_alu instid0(VALU_DEP_1) | instskip(NEXT) | instid1(VALU_DEP_1)
	v_ashrrev_i32_e32 v15, 31, v14
	v_lshlrev_b64_e32 v[14:15], 4, v[14:15]
	s_wait_kmcnt 0x0
	s_delay_alu instid0(VALU_DEP_1) | instskip(SKIP_1) | instid1(VALU_DEP_2)
	v_add_co_u32 v14, vcc_lo, s0, v14
	s_wait_alu 0xfffd
	v_add_co_ci_u32_e64 v15, null, s1, v15, vcc_lo
	s_clause 0x3
	global_store_b128 v[14:15], v[5:8], off
	global_store_b128 v[14:15], v[10:13], off offset:16
	global_store_b128 v[14:15], v[18:21], off offset:32
	;; [unrolled: 1-line block ×3, first 2 shown]
                                        ; implicit-def: $vgpr10_vgpr11
                                        ; implicit-def: $vgpr12_vgpr13
                                        ; implicit-def: $vgpr14_vgpr15
                                        ; implicit-def: $vgpr20_vgpr21
                                        ; implicit-def: $vgpr18_vgpr19
                                        ; implicit-def: $vgpr7_vgpr8
                                        ; implicit-def: $vgpr3_vgpr4
.LBB124_19:
	s_wait_alu 0xfffe
	s_and_not1_saveexec_b32 s2, s2
	s_cbranch_execz .LBB124_21
; %bb.20:
	v_lshlrev_b32_e32 v26, 2, v9
	v_mul_f64_e64 v[44:45], v[24:25], -v[3:4]
	v_mul_f64_e32 v[24:25], v[1:2], v[24:25]
	v_mul_f64_e64 v[46:47], v[22:23], -v[3:4]
	v_mul_f64_e32 v[22:23], v[1:2], v[22:23]
	v_ashrrev_i32_e32 v27, 31, v26
	v_mul_f64_e64 v[48:49], v[20:21], -v[3:4]
	v_mul_f64_e32 v[20:21], v[1:2], v[20:21]
	v_mul_f64_e64 v[50:51], v[18:19], -v[3:4]
	v_mul_f64_e32 v[18:19], v[1:2], v[18:19]
	v_lshlrev_b64_e32 v[26:27], 4, v[26:27]
	s_wait_kmcnt 0x0
	s_delay_alu instid0(VALU_DEP_1) | instskip(SKIP_1) | instid1(VALU_DEP_2)
	v_add_co_u32 v42, vcc_lo, s0, v26
	s_wait_alu 0xfffd
	v_add_co_ci_u32_e64 v43, null, s1, v27, vcc_lo
	s_clause 0x3
	global_load_b128 v[26:29], v[42:43], off
	global_load_b128 v[30:33], v[42:43], off offset:16
	global_load_b128 v[34:37], v[42:43], off offset:32
	;; [unrolled: 1-line block ×3, first 2 shown]
	v_fma_f64 v[44:45], v[1:2], v[10:11], v[44:45]
	v_fma_f64 v[9:10], v[3:4], v[10:11], v[24:25]
	;; [unrolled: 1-line block ×8, first 2 shown]
	s_wait_loadcnt 0x3
	v_fma_f64 v[15:16], v[5:6], v[26:27], v[44:45]
	v_fma_f64 v[9:10], v[7:8], v[26:27], v[9:10]
	s_wait_loadcnt 0x2
	v_fma_f64 v[17:18], v[5:6], v[30:31], v[24:25]
	v_fma_f64 v[11:12], v[7:8], v[30:31], v[11:12]
	;; [unrolled: 3-line block ×4, first 2 shown]
	v_fma_f64 v[0:1], -v[7:8], v[28:29], v[15:16]
	v_fma_f64 v[2:3], v[5:6], v[28:29], v[9:10]
	v_fma_f64 v[9:10], -v[7:8], v[32:33], v[17:18]
	v_fma_f64 v[11:12], v[5:6], v[32:33], v[11:12]
	;; [unrolled: 2-line block ×4, first 2 shown]
	s_clause 0x3
	global_store_b128 v[42:43], v[0:3], off
	global_store_b128 v[42:43], v[9:12], off offset:16
	global_store_b128 v[42:43], v[13:16], off offset:32
	;; [unrolled: 1-line block ×3, first 2 shown]
.LBB124_21:
	s_endpgm
	.section	.rodata,"a",@progbits
	.p2align	6, 0x0
	.amdhsa_kernel _ZN9rocsparseL19gebsrmvn_4xn_kernelILj128ELj3ELj32E21rocsparse_complex_numIdEEEvi20rocsparse_direction_NS_24const_host_device_scalarIT2_EEPKiS8_PKS5_SA_S6_PS5_21rocsparse_index_base_b
		.amdhsa_group_segment_fixed_size 0
		.amdhsa_private_segment_fixed_size 0
		.amdhsa_kernarg_size 88
		.amdhsa_user_sgpr_count 2
		.amdhsa_user_sgpr_dispatch_ptr 0
		.amdhsa_user_sgpr_queue_ptr 0
		.amdhsa_user_sgpr_kernarg_segment_ptr 1
		.amdhsa_user_sgpr_dispatch_id 0
		.amdhsa_user_sgpr_private_segment_size 0
		.amdhsa_wavefront_size32 1
		.amdhsa_uses_dynamic_stack 0
		.amdhsa_enable_private_segment 0
		.amdhsa_system_sgpr_workgroup_id_x 1
		.amdhsa_system_sgpr_workgroup_id_y 0
		.amdhsa_system_sgpr_workgroup_id_z 0
		.amdhsa_system_sgpr_workgroup_info 0
		.amdhsa_system_vgpr_workitem_id 0
		.amdhsa_next_free_vgpr 92
		.amdhsa_next_free_sgpr 14
		.amdhsa_reserve_vcc 1
		.amdhsa_float_round_mode_32 0
		.amdhsa_float_round_mode_16_64 0
		.amdhsa_float_denorm_mode_32 3
		.amdhsa_float_denorm_mode_16_64 3
		.amdhsa_fp16_overflow 0
		.amdhsa_workgroup_processor_mode 1
		.amdhsa_memory_ordered 1
		.amdhsa_forward_progress 1
		.amdhsa_inst_pref_size 35
		.amdhsa_round_robin_scheduling 0
		.amdhsa_exception_fp_ieee_invalid_op 0
		.amdhsa_exception_fp_denorm_src 0
		.amdhsa_exception_fp_ieee_div_zero 0
		.amdhsa_exception_fp_ieee_overflow 0
		.amdhsa_exception_fp_ieee_underflow 0
		.amdhsa_exception_fp_ieee_inexact 0
		.amdhsa_exception_int_div_zero 0
	.end_amdhsa_kernel
	.section	.text._ZN9rocsparseL19gebsrmvn_4xn_kernelILj128ELj3ELj32E21rocsparse_complex_numIdEEEvi20rocsparse_direction_NS_24const_host_device_scalarIT2_EEPKiS8_PKS5_SA_S6_PS5_21rocsparse_index_base_b,"axG",@progbits,_ZN9rocsparseL19gebsrmvn_4xn_kernelILj128ELj3ELj32E21rocsparse_complex_numIdEEEvi20rocsparse_direction_NS_24const_host_device_scalarIT2_EEPKiS8_PKS5_SA_S6_PS5_21rocsparse_index_base_b,comdat
.Lfunc_end124:
	.size	_ZN9rocsparseL19gebsrmvn_4xn_kernelILj128ELj3ELj32E21rocsparse_complex_numIdEEEvi20rocsparse_direction_NS_24const_host_device_scalarIT2_EEPKiS8_PKS5_SA_S6_PS5_21rocsparse_index_base_b, .Lfunc_end124-_ZN9rocsparseL19gebsrmvn_4xn_kernelILj128ELj3ELj32E21rocsparse_complex_numIdEEEvi20rocsparse_direction_NS_24const_host_device_scalarIT2_EEPKiS8_PKS5_SA_S6_PS5_21rocsparse_index_base_b
                                        ; -- End function
	.set _ZN9rocsparseL19gebsrmvn_4xn_kernelILj128ELj3ELj32E21rocsparse_complex_numIdEEEvi20rocsparse_direction_NS_24const_host_device_scalarIT2_EEPKiS8_PKS5_SA_S6_PS5_21rocsparse_index_base_b.num_vgpr, 92
	.set _ZN9rocsparseL19gebsrmvn_4xn_kernelILj128ELj3ELj32E21rocsparse_complex_numIdEEEvi20rocsparse_direction_NS_24const_host_device_scalarIT2_EEPKiS8_PKS5_SA_S6_PS5_21rocsparse_index_base_b.num_agpr, 0
	.set _ZN9rocsparseL19gebsrmvn_4xn_kernelILj128ELj3ELj32E21rocsparse_complex_numIdEEEvi20rocsparse_direction_NS_24const_host_device_scalarIT2_EEPKiS8_PKS5_SA_S6_PS5_21rocsparse_index_base_b.numbered_sgpr, 14
	.set _ZN9rocsparseL19gebsrmvn_4xn_kernelILj128ELj3ELj32E21rocsparse_complex_numIdEEEvi20rocsparse_direction_NS_24const_host_device_scalarIT2_EEPKiS8_PKS5_SA_S6_PS5_21rocsparse_index_base_b.num_named_barrier, 0
	.set _ZN9rocsparseL19gebsrmvn_4xn_kernelILj128ELj3ELj32E21rocsparse_complex_numIdEEEvi20rocsparse_direction_NS_24const_host_device_scalarIT2_EEPKiS8_PKS5_SA_S6_PS5_21rocsparse_index_base_b.private_seg_size, 0
	.set _ZN9rocsparseL19gebsrmvn_4xn_kernelILj128ELj3ELj32E21rocsparse_complex_numIdEEEvi20rocsparse_direction_NS_24const_host_device_scalarIT2_EEPKiS8_PKS5_SA_S6_PS5_21rocsparse_index_base_b.uses_vcc, 1
	.set _ZN9rocsparseL19gebsrmvn_4xn_kernelILj128ELj3ELj32E21rocsparse_complex_numIdEEEvi20rocsparse_direction_NS_24const_host_device_scalarIT2_EEPKiS8_PKS5_SA_S6_PS5_21rocsparse_index_base_b.uses_flat_scratch, 0
	.set _ZN9rocsparseL19gebsrmvn_4xn_kernelILj128ELj3ELj32E21rocsparse_complex_numIdEEEvi20rocsparse_direction_NS_24const_host_device_scalarIT2_EEPKiS8_PKS5_SA_S6_PS5_21rocsparse_index_base_b.has_dyn_sized_stack, 0
	.set _ZN9rocsparseL19gebsrmvn_4xn_kernelILj128ELj3ELj32E21rocsparse_complex_numIdEEEvi20rocsparse_direction_NS_24const_host_device_scalarIT2_EEPKiS8_PKS5_SA_S6_PS5_21rocsparse_index_base_b.has_recursion, 0
	.set _ZN9rocsparseL19gebsrmvn_4xn_kernelILj128ELj3ELj32E21rocsparse_complex_numIdEEEvi20rocsparse_direction_NS_24const_host_device_scalarIT2_EEPKiS8_PKS5_SA_S6_PS5_21rocsparse_index_base_b.has_indirect_call, 0
	.section	.AMDGPU.csdata,"",@progbits
; Kernel info:
; codeLenInByte = 4408
; TotalNumSgprs: 16
; NumVgprs: 92
; ScratchSize: 0
; MemoryBound: 0
; FloatMode: 240
; IeeeMode: 1
; LDSByteSize: 0 bytes/workgroup (compile time only)
; SGPRBlocks: 0
; VGPRBlocks: 11
; NumSGPRsForWavesPerEU: 16
; NumVGPRsForWavesPerEU: 92
; Occupancy: 16
; WaveLimiterHint : 1
; COMPUTE_PGM_RSRC2:SCRATCH_EN: 0
; COMPUTE_PGM_RSRC2:USER_SGPR: 2
; COMPUTE_PGM_RSRC2:TRAP_HANDLER: 0
; COMPUTE_PGM_RSRC2:TGID_X_EN: 1
; COMPUTE_PGM_RSRC2:TGID_Y_EN: 0
; COMPUTE_PGM_RSRC2:TGID_Z_EN: 0
; COMPUTE_PGM_RSRC2:TIDIG_COMP_CNT: 0
	.section	.text._ZN9rocsparseL19gebsrmvn_4xn_kernelILj128ELj3ELj64E21rocsparse_complex_numIdEEEvi20rocsparse_direction_NS_24const_host_device_scalarIT2_EEPKiS8_PKS5_SA_S6_PS5_21rocsparse_index_base_b,"axG",@progbits,_ZN9rocsparseL19gebsrmvn_4xn_kernelILj128ELj3ELj64E21rocsparse_complex_numIdEEEvi20rocsparse_direction_NS_24const_host_device_scalarIT2_EEPKiS8_PKS5_SA_S6_PS5_21rocsparse_index_base_b,comdat
	.globl	_ZN9rocsparseL19gebsrmvn_4xn_kernelILj128ELj3ELj64E21rocsparse_complex_numIdEEEvi20rocsparse_direction_NS_24const_host_device_scalarIT2_EEPKiS8_PKS5_SA_S6_PS5_21rocsparse_index_base_b ; -- Begin function _ZN9rocsparseL19gebsrmvn_4xn_kernelILj128ELj3ELj64E21rocsparse_complex_numIdEEEvi20rocsparse_direction_NS_24const_host_device_scalarIT2_EEPKiS8_PKS5_SA_S6_PS5_21rocsparse_index_base_b
	.p2align	8
	.type	_ZN9rocsparseL19gebsrmvn_4xn_kernelILj128ELj3ELj64E21rocsparse_complex_numIdEEEvi20rocsparse_direction_NS_24const_host_device_scalarIT2_EEPKiS8_PKS5_SA_S6_PS5_21rocsparse_index_base_b,@function
_ZN9rocsparseL19gebsrmvn_4xn_kernelILj128ELj3ELj64E21rocsparse_complex_numIdEEEvi20rocsparse_direction_NS_24const_host_device_scalarIT2_EEPKiS8_PKS5_SA_S6_PS5_21rocsparse_index_base_b: ; @_ZN9rocsparseL19gebsrmvn_4xn_kernelILj128ELj3ELj64E21rocsparse_complex_numIdEEEvi20rocsparse_direction_NS_24const_host_device_scalarIT2_EEPKiS8_PKS5_SA_S6_PS5_21rocsparse_index_base_b
; %bb.0:
	s_clause 0x1
	s_load_b64 s[12:13], s[0:1], 0x50
	s_load_b64 s[2:3], s[0:1], 0x8
	s_add_nc_u64 s[4:5], s[0:1], 8
	s_load_b64 s[6:7], s[0:1], 0x38
	s_wait_kmcnt 0x0
	s_bitcmp1_b32 s13, 0
	s_cselect_b32 s2, s4, s2
	s_cselect_b32 s3, s5, s3
	s_delay_alu instid0(SALU_CYCLE_1)
	v_dual_mov_b32 v1, s2 :: v_dual_mov_b32 v2, s3
	s_add_nc_u64 s[2:3], s[0:1], 56
	s_wait_alu 0xfffe
	s_cselect_b32 s2, s2, s6
	s_cselect_b32 s3, s3, s7
	flat_load_b128 v[1:4], v[1:2]
	s_wait_alu 0xfffe
	v_dual_mov_b32 v5, s2 :: v_dual_mov_b32 v6, s3
	flat_load_b128 v[5:8], v[5:6]
	s_wait_loadcnt_dscnt 0x101
	v_cmp_eq_f64_e32 vcc_lo, 0, v[1:2]
	v_cmp_eq_f64_e64 s2, 0, v[3:4]
	s_and_b32 s4, vcc_lo, s2
	s_mov_b32 s2, -1
	s_and_saveexec_b32 s3, s4
	s_cbranch_execz .LBB125_2
; %bb.1:
	s_wait_loadcnt_dscnt 0x0
	v_cmp_neq_f64_e32 vcc_lo, 1.0, v[5:6]
	v_cmp_neq_f64_e64 s2, 0, v[7:8]
	s_wait_alu 0xfffe
	s_or_b32 s2, vcc_lo, s2
	s_wait_alu 0xfffe
	s_or_not1_b32 s2, s2, exec_lo
.LBB125_2:
	s_wait_alu 0xfffe
	s_or_b32 exec_lo, exec_lo, s3
	s_and_saveexec_b32 s3, s2
	s_cbranch_execz .LBB125_21
; %bb.3:
	s_load_b64 s[2:3], s[0:1], 0x0
	v_lshrrev_b32_e32 v9, 6, v0
	s_delay_alu instid0(VALU_DEP_1) | instskip(SKIP_1) | instid1(VALU_DEP_1)
	v_lshl_or_b32 v9, ttmp9, 1, v9
	s_wait_kmcnt 0x0
	v_cmp_gt_i32_e32 vcc_lo, s2, v9
	s_and_b32 exec_lo, exec_lo, vcc_lo
	s_cbranch_execz .LBB125_21
; %bb.4:
	s_load_b256 s[4:11], s[0:1], 0x18
	v_ashrrev_i32_e32 v10, 31, v9
	v_and_b32_e32 v0, 63, v0
	s_cmp_lg_u32 s3, 0
	s_delay_alu instid0(VALU_DEP_2) | instskip(SKIP_1) | instid1(VALU_DEP_1)
	v_lshlrev_b64_e32 v[10:11], 2, v[9:10]
	s_wait_kmcnt 0x0
	v_add_co_u32 v10, vcc_lo, s4, v10
	s_delay_alu instid0(VALU_DEP_1) | instskip(SKIP_4) | instid1(VALU_DEP_2)
	v_add_co_ci_u32_e64 v11, null, s5, v11, vcc_lo
	global_load_b64 v[10:11], v[10:11], off
	s_wait_loadcnt 0x0
	v_subrev_nc_u32_e32 v10, s12, v10
	v_subrev_nc_u32_e32 v31, s12, v11
	v_add_nc_u32_e32 v26, v10, v0
	s_delay_alu instid0(VALU_DEP_1)
	v_cmp_lt_i32_e64 s2, v26, v31
	s_cbranch_scc0 .LBB125_10
; %bb.5:
	v_mov_b32_e32 v10, 0
	v_mov_b32_e32 v12, 0
	v_mov_b32_e32 v18, 0
	v_dual_mov_b32 v22, 0 :: v_dual_mov_b32 v11, 0
	v_dual_mov_b32 v14, 0 :: v_dual_mov_b32 v13, 0
	;; [unrolled: 1-line block ×5, first 2 shown]
	v_mov_b32_e32 v17, 0
	v_mov_b32_e32 v21, 0
	;; [unrolled: 1-line block ×3, first 2 shown]
	s_and_saveexec_b32 s3, s2
	s_cbranch_execz .LBB125_9
; %bb.6:
	v_mul_lo_u32 v27, v26, 12
	v_mov_b32_e32 v10, 0
	v_mov_b32_e32 v14, 0
	;; [unrolled: 1-line block ×7, first 2 shown]
	v_dual_mov_b32 v24, 0 :: v_dual_mov_b32 v29, v26
	v_dual_mov_b32 v11, 0 :: v_dual_mov_b32 v28, 0
	v_mov_b32_e32 v15, 0
	v_mov_b32_e32 v13, 0
	;; [unrolled: 1-line block ×7, first 2 shown]
	s_mov_b32 s4, 0
.LBB125_7:                              ; =>This Inner Loop Header: Depth=1
	v_ashrrev_i32_e32 v30, 31, v29
	v_dual_mov_b32 v89, v28 :: v_dual_add_nc_u32 v52, 4, v27
	v_dual_mov_b32 v69, v28 :: v_dual_add_nc_u32 v72, 8, v27
	s_delay_alu instid0(VALU_DEP_3) | instskip(SKIP_1) | instid1(VALU_DEP_2)
	v_lshlrev_b64_e32 v[32:33], 2, v[29:30]
	v_add_nc_u32_e32 v29, 64, v29
	v_add_co_u32 v32, vcc_lo, s6, v32
	s_wait_alu 0xfffd
	s_delay_alu instid0(VALU_DEP_3) | instskip(SKIP_3) | instid1(VALU_DEP_2)
	v_add_co_ci_u32_e64 v33, null, s7, v33, vcc_lo
	global_load_b32 v30, v[32:33], off
	v_lshlrev_b64_e32 v[32:33], 4, v[27:28]
	v_add_nc_u32_e32 v27, 0x300, v27
	v_add_co_u32 v44, vcc_lo, s8, v32
	s_wait_alu 0xfffd
	s_delay_alu instid0(VALU_DEP_3)
	v_add_co_ci_u32_e64 v45, null, s9, v33, vcc_lo
	s_clause 0x3
	global_load_b128 v[32:35], v[44:45], off offset:48
	global_load_b128 v[36:39], v[44:45], off offset:32
	;; [unrolled: 1-line block ×3, first 2 shown]
	global_load_b128 v[44:47], v[44:45], off
	s_wait_loadcnt 0x4
	v_subrev_nc_u32_e32 v30, s12, v30
	s_delay_alu instid0(VALU_DEP_1) | instskip(SKIP_2) | instid1(VALU_DEP_3)
	v_lshl_add_u32 v88, v30, 1, v30
	v_mov_b32_e32 v53, v28
	v_mov_b32_e32 v73, v28
	v_lshlrev_b64_e32 v[48:49], 4, v[88:89]
	v_add_nc_u32_e32 v68, 1, v88
	s_delay_alu instid0(VALU_DEP_4) | instskip(SKIP_2) | instid1(VALU_DEP_4)
	v_lshlrev_b64_e32 v[52:53], 4, v[52:53]
	v_add_nc_u32_e32 v88, 2, v88
	v_lshlrev_b64_e32 v[72:73], 4, v[72:73]
	v_lshlrev_b64_e32 v[68:69], 4, v[68:69]
	v_add_co_u32 v48, vcc_lo, s10, v48
	s_wait_alu 0xfffd
	v_add_co_ci_u32_e64 v49, null, s11, v49, vcc_lo
	v_add_co_u32 v64, vcc_lo, s8, v52
	s_wait_alu 0xfffd
	v_add_co_ci_u32_e64 v65, null, s9, v53, vcc_lo
	global_load_b128 v[48:51], v[48:49], off
	v_add_co_u32 v68, vcc_lo, s10, v68
	s_wait_alu 0xfffd
	v_add_co_ci_u32_e64 v69, null, s11, v69, vcc_lo
	s_clause 0x3
	global_load_b128 v[52:55], v[64:65], off offset:48
	global_load_b128 v[56:59], v[64:65], off offset:32
	global_load_b128 v[60:63], v[64:65], off offset:16
	global_load_b128 v[64:67], v[64:65], off
	v_lshlrev_b64_e32 v[88:89], 4, v[88:89]
	v_add_co_u32 v84, vcc_lo, s8, v72
	global_load_b128 v[68:71], v[68:69], off
	s_wait_alu 0xfffd
	v_add_co_ci_u32_e64 v85, null, s9, v73, vcc_lo
	v_add_co_u32 v88, vcc_lo, s10, v88
	s_wait_alu 0xfffd
	v_add_co_ci_u32_e64 v89, null, s11, v89, vcc_lo
	s_clause 0x3
	global_load_b128 v[72:75], v[84:85], off offset:48
	global_load_b128 v[76:79], v[84:85], off offset:32
	;; [unrolled: 1-line block ×3, first 2 shown]
	global_load_b128 v[84:87], v[84:85], off
	v_cmp_ge_i32_e32 vcc_lo, v29, v31
	global_load_b128 v[88:91], v[88:89], off
	s_wait_alu 0xfffe
	s_or_b32 s4, vcc_lo, s4
	s_wait_loadcnt 0xa
	v_fma_f64 v[14:15], v[44:45], v[48:49], v[14:15]
	v_fma_f64 v[10:11], v[46:47], v[48:49], v[10:11]
	v_fma_f64 v[22:23], v[40:41], v[48:49], v[22:23]
	v_fma_f64 v[24:25], v[42:43], v[48:49], v[24:25]
	v_fma_f64 v[18:19], v[36:37], v[48:49], v[18:19]
	v_fma_f64 v[20:21], v[38:39], v[48:49], v[20:21]
	v_fma_f64 v[12:13], v[32:33], v[48:49], v[12:13]
	v_fma_f64 v[16:17], v[34:35], v[48:49], v[16:17]
	v_fma_f64 v[14:15], -v[46:47], v[50:51], v[14:15]
	v_fma_f64 v[10:11], v[44:45], v[50:51], v[10:11]
	v_fma_f64 v[22:23], -v[42:43], v[50:51], v[22:23]
	v_fma_f64 v[24:25], v[40:41], v[50:51], v[24:25]
	v_fma_f64 v[18:19], -v[38:39], v[50:51], v[18:19]
	v_fma_f64 v[20:21], v[36:37], v[50:51], v[20:21]
	v_fma_f64 v[12:13], -v[34:35], v[50:51], v[12:13]
	v_fma_f64 v[16:17], v[32:33], v[50:51], v[16:17]
	s_wait_loadcnt 0x5
	v_fma_f64 v[14:15], v[64:65], v[68:69], v[14:15]
	v_fma_f64 v[10:11], v[66:67], v[68:69], v[10:11]
	v_fma_f64 v[22:23], v[60:61], v[68:69], v[22:23]
	v_fma_f64 v[24:25], v[62:63], v[68:69], v[24:25]
	v_fma_f64 v[18:19], v[56:57], v[68:69], v[18:19]
	v_fma_f64 v[20:21], v[58:59], v[68:69], v[20:21]
	v_fma_f64 v[12:13], v[52:53], v[68:69], v[12:13]
	v_fma_f64 v[16:17], v[54:55], v[68:69], v[16:17]
	v_fma_f64 v[14:15], -v[66:67], v[70:71], v[14:15]
	v_fma_f64 v[10:11], v[64:65], v[70:71], v[10:11]
	v_fma_f64 v[22:23], -v[62:63], v[70:71], v[22:23]
	v_fma_f64 v[24:25], v[60:61], v[70:71], v[24:25]
	v_fma_f64 v[18:19], -v[58:59], v[70:71], v[18:19]
	v_fma_f64 v[20:21], v[56:57], v[70:71], v[20:21]
	v_fma_f64 v[12:13], -v[54:55], v[70:71], v[12:13]
	v_fma_f64 v[16:17], v[52:53], v[70:71], v[16:17]
	;; [unrolled: 17-line block ×3, first 2 shown]
	s_wait_alu 0xfffe
	s_and_not1_b32 exec_lo, exec_lo, s4
	s_cbranch_execnz .LBB125_7
; %bb.8:
	s_or_b32 exec_lo, exec_lo, s4
.LBB125_9:
	s_wait_alu 0xfffe
	s_or_b32 exec_lo, exec_lo, s3
	s_cbranch_execz .LBB125_11
	s_branch .LBB125_16
.LBB125_10:
                                        ; implicit-def: $vgpr10_vgpr11
                                        ; implicit-def: $vgpr14_vgpr15
                                        ; implicit-def: $vgpr12_vgpr13
                                        ; implicit-def: $vgpr16_vgpr17
                                        ; implicit-def: $vgpr18_vgpr19
                                        ; implicit-def: $vgpr20_vgpr21
                                        ; implicit-def: $vgpr22_vgpr23
                                        ; implicit-def: $vgpr24_vgpr25
.LBB125_11:
	v_mov_b32_e32 v10, 0
	v_mov_b32_e32 v12, 0
	;; [unrolled: 1-line block ×3, first 2 shown]
	v_dual_mov_b32 v22, 0 :: v_dual_mov_b32 v11, 0
	v_dual_mov_b32 v14, 0 :: v_dual_mov_b32 v13, 0
	;; [unrolled: 1-line block ×5, first 2 shown]
	v_mov_b32_e32 v17, 0
	v_mov_b32_e32 v21, 0
	;; [unrolled: 1-line block ×3, first 2 shown]
	s_and_saveexec_b32 s3, s2
	s_cbranch_execz .LBB125_15
; %bb.12:
	v_mad_co_u64_u32 v[28:29], null, v26, 12, 11
	v_mov_b32_e32 v10, 0
	v_mov_b32_e32 v12, 0
	;; [unrolled: 1-line block ×3, first 2 shown]
	v_dual_mov_b32 v22, 0 :: v_dual_mov_b32 v11, 0
	v_dual_mov_b32 v14, 0 :: v_dual_mov_b32 v13, 0
	;; [unrolled: 1-line block ×5, first 2 shown]
	v_mov_b32_e32 v17, 0
	v_mov_b32_e32 v21, 0
	v_dual_mov_b32 v25, 0 :: v_dual_mov_b32 v30, 0
	s_mov_b32 s2, 0
.LBB125_13:                             ; =>This Inner Loop Header: Depth=1
	v_ashrrev_i32_e32 v27, 31, v26
	v_add_nc_u32_e32 v29, -11, v28
	s_delay_alu instid0(VALU_DEP_3) | instskip(SKIP_1) | instid1(VALU_DEP_4)
	v_dual_mov_b32 v35, v30 :: v_dual_add_nc_u32 v34, -2, v28
	v_mov_b32_e32 v81, v30
	v_lshlrev_b64_e32 v[32:33], 2, v[26:27]
	s_delay_alu instid0(VALU_DEP_4) | instskip(SKIP_1) | instid1(VALU_DEP_3)
	v_lshlrev_b64_e32 v[36:37], 4, v[29:30]
	v_add_nc_u32_e32 v26, 64, v26
	v_add_co_u32 v32, vcc_lo, s6, v32
	s_wait_alu 0xfffd
	s_delay_alu instid0(VALU_DEP_4) | instskip(NEXT) | instid1(VALU_DEP_4)
	v_add_co_ci_u32_e64 v33, null, s7, v33, vcc_lo
	v_add_co_u32 v72, vcc_lo, s8, v36
	s_wait_alu 0xfffd
	v_add_co_ci_u32_e64 v73, null, s9, v37, vcc_lo
	global_load_b32 v27, v[32:33], off
	v_dual_mov_b32 v33, v30 :: v_dual_add_nc_u32 v32, -5, v28
	v_lshlrev_b64_e32 v[34:35], 4, v[34:35]
	s_delay_alu instid0(VALU_DEP_2) | instskip(NEXT) | instid1(VALU_DEP_1)
	v_lshlrev_b64_e32 v[32:33], 4, v[32:33]
	v_add_co_u32 v44, vcc_lo, s8, v32
	s_wait_alu 0xfffd
	s_delay_alu instid0(VALU_DEP_2) | instskip(NEXT) | instid1(VALU_DEP_4)
	v_add_co_ci_u32_e64 v45, null, s9, v33, vcc_lo
	v_add_co_u32 v48, vcc_lo, s8, v34
	s_wait_alu 0xfffd
	v_add_co_ci_u32_e64 v49, null, s9, v35, vcc_lo
	s_clause 0x4
	global_load_b128 v[32:35], v[72:73], off offset:48
	global_load_b128 v[36:39], v[72:73], off offset:16
	global_load_b128 v[40:43], v[72:73], off
	global_load_b128 v[44:47], v[44:45], off
	;; [unrolled: 1-line block ×3, first 2 shown]
	s_wait_loadcnt 0x5
	v_subrev_nc_u32_e32 v27, s12, v27
	s_delay_alu instid0(VALU_DEP_1) | instskip(NEXT) | instid1(VALU_DEP_1)
	v_lshl_add_u32 v80, v27, 1, v27
	v_lshlrev_b64_e32 v[52:53], 4, v[80:81]
	v_add_nc_u32_e32 v29, 1, v80
	s_delay_alu instid0(VALU_DEP_1) | instskip(NEXT) | instid1(VALU_DEP_3)
	v_lshlrev_b64_e32 v[56:57], 4, v[29:30]
	v_add_co_u32 v52, vcc_lo, s10, v52
	s_wait_alu 0xfffd
	s_delay_alu instid0(VALU_DEP_4) | instskip(SKIP_1) | instid1(VALU_DEP_4)
	v_add_co_ci_u32_e64 v53, null, s11, v53, vcc_lo
	v_add_nc_u32_e32 v29, -7, v28
	v_add_co_u32 v56, vcc_lo, s10, v56
	global_load_b128 v[52:55], v[52:53], off
	s_wait_alu 0xfffd
	v_add_co_ci_u32_e64 v57, null, s11, v57, vcc_lo
	v_lshlrev_b64_e32 v[60:61], 4, v[29:30]
	v_add_nc_u32_e32 v29, -4, v28
	global_load_b128 v[56:59], v[56:57], off
	v_lshlrev_b64_e32 v[62:63], 4, v[29:30]
	v_add_nc_u32_e32 v29, -1, v28
	v_add_co_u32 v60, vcc_lo, s8, v60
	s_wait_alu 0xfffd
	v_add_co_ci_u32_e64 v61, null, s9, v61, vcc_lo
	s_delay_alu instid0(VALU_DEP_3) | instskip(SKIP_4) | instid1(VALU_DEP_4)
	v_lshlrev_b64_e32 v[64:65], 4, v[29:30]
	v_add_co_u32 v66, vcc_lo, s8, v62
	s_wait_alu 0xfffd
	v_add_co_ci_u32_e64 v67, null, s9, v63, vcc_lo
	v_mov_b32_e32 v29, v30
	v_add_co_u32 v68, vcc_lo, s8, v64
	s_wait_alu 0xfffd
	v_add_co_ci_u32_e64 v69, null, s9, v65, vcc_lo
	s_clause 0x2
	global_load_b128 v[60:63], v[60:61], off
	global_load_b128 v[64:67], v[66:67], off
	;; [unrolled: 1-line block ×3, first 2 shown]
	v_lshlrev_b64_e32 v[74:75], 4, v[28:29]
	v_add_nc_u32_e32 v29, 2, v80
	s_delay_alu instid0(VALU_DEP_1) | instskip(SKIP_1) | instid1(VALU_DEP_4)
	v_lshlrev_b64_e32 v[80:81], 4, v[29:30]
	v_add_nc_u32_e32 v29, -6, v28
	v_add_co_u32 v76, vcc_lo, s8, v74
	s_wait_alu 0xfffd
	v_add_co_ci_u32_e64 v77, null, s9, v75, vcc_lo
	s_delay_alu instid0(VALU_DEP_3) | instskip(SKIP_4) | instid1(VALU_DEP_3)
	v_lshlrev_b64_e32 v[84:85], 4, v[29:30]
	v_add_nc_u32_e32 v29, -3, v28
	v_add_co_u32 v80, vcc_lo, s10, v80
	s_wait_alu 0xfffd
	v_add_co_ci_u32_e64 v81, null, s11, v81, vcc_lo
	v_lshlrev_b64_e32 v[86:87], 4, v[29:30]
	v_add_co_u32 v84, vcc_lo, s8, v84
	s_wait_alu 0xfffd
	v_add_co_ci_u32_e64 v85, null, s9, v85, vcc_lo
	s_clause 0x1
	global_load_b128 v[72:75], v[72:73], off offset:32
	global_load_b128 v[76:79], v[76:77], off
	v_add_co_u32 v88, vcc_lo, s8, v86
	s_wait_alu 0xfffd
	v_add_co_ci_u32_e64 v89, null, s9, v87, vcc_lo
	global_load_b128 v[80:83], v[80:81], off
	s_clause 0x1
	global_load_b128 v[84:87], v[84:85], off
	global_load_b128 v[88:91], v[88:89], off
	v_cmp_ge_i32_e32 vcc_lo, v26, v31
	v_add_nc_u32_e32 v28, 0x300, v28
	s_wait_alu 0xfffe
	s_or_b32 s2, vcc_lo, s2
	s_wait_loadcnt 0x9
	v_fma_f64 v[14:15], v[40:41], v[52:53], v[14:15]
	v_fma_f64 v[10:11], v[42:43], v[52:53], v[10:11]
	;; [unrolled: 1-line block ×8, first 2 shown]
	v_fma_f64 v[14:15], -v[42:43], v[54:55], v[14:15]
	v_fma_f64 v[10:11], v[40:41], v[54:55], v[10:11]
	v_fma_f64 v[22:23], -v[34:35], v[54:55], v[22:23]
	v_fma_f64 v[24:25], v[32:33], v[54:55], v[24:25]
	;; [unrolled: 2-line block ×4, first 2 shown]
	s_wait_loadcnt 0x8
	v_fma_f64 v[14:15], v[36:37], v[56:57], v[14:15]
	v_fma_f64 v[10:11], v[38:39], v[56:57], v[10:11]
	s_wait_loadcnt 0x7
	v_fma_f64 v[22:23], v[60:61], v[56:57], v[22:23]
	v_fma_f64 v[24:25], v[62:63], v[56:57], v[24:25]
	;; [unrolled: 3-line block ×4, first 2 shown]
	v_fma_f64 v[14:15], -v[38:39], v[58:59], v[14:15]
	v_fma_f64 v[10:11], v[36:37], v[58:59], v[10:11]
	v_fma_f64 v[22:23], -v[62:63], v[58:59], v[22:23]
	v_fma_f64 v[24:25], v[60:61], v[58:59], v[24:25]
	;; [unrolled: 2-line block ×4, first 2 shown]
	s_wait_loadcnt 0x2
	v_fma_f64 v[14:15], v[72:73], v[80:81], v[14:15]
	v_fma_f64 v[10:11], v[74:75], v[80:81], v[10:11]
	s_wait_loadcnt 0x1
	v_fma_f64 v[22:23], v[84:85], v[80:81], v[22:23]
	v_fma_f64 v[24:25], v[86:87], v[80:81], v[24:25]
	;; [unrolled: 3-line block ×3, first 2 shown]
	v_fma_f64 v[12:13], v[76:77], v[80:81], v[12:13]
	v_fma_f64 v[16:17], v[78:79], v[80:81], v[16:17]
	v_fma_f64 v[14:15], -v[74:75], v[82:83], v[14:15]
	v_fma_f64 v[10:11], v[72:73], v[82:83], v[10:11]
	v_fma_f64 v[22:23], -v[86:87], v[82:83], v[22:23]
	;; [unrolled: 2-line block ×4, first 2 shown]
	v_fma_f64 v[16:17], v[76:77], v[82:83], v[16:17]
	s_wait_alu 0xfffe
	s_and_not1_b32 exec_lo, exec_lo, s2
	s_cbranch_execnz .LBB125_13
; %bb.14:
	s_or_b32 exec_lo, exec_lo, s2
.LBB125_15:
	s_wait_alu 0xfffe
	s_or_b32 exec_lo, exec_lo, s3
.LBB125_16:
	v_mbcnt_lo_u32_b32 v44, -1, 0
	s_delay_alu instid0(VALU_DEP_1) | instskip(NEXT) | instid1(VALU_DEP_1)
	v_or_b32_e32 v26, 32, v44
	v_cmp_gt_i32_e32 vcc_lo, 32, v26
	s_wait_alu 0xfffd
	v_cndmask_b32_e32 v26, v44, v26, vcc_lo
	s_delay_alu instid0(VALU_DEP_1)
	v_lshlrev_b32_e32 v41, 2, v26
	ds_bpermute_b32 v26, v41, v14
	ds_bpermute_b32 v27, v41, v15
	ds_bpermute_b32 v28, v41, v10
	ds_bpermute_b32 v29, v41, v11
	ds_bpermute_b32 v30, v41, v22
	ds_bpermute_b32 v31, v41, v23
	ds_bpermute_b32 v32, v41, v24
	ds_bpermute_b32 v33, v41, v25
	ds_bpermute_b32 v34, v41, v18
	ds_bpermute_b32 v35, v41, v19
	ds_bpermute_b32 v36, v41, v20
	ds_bpermute_b32 v37, v41, v21
	ds_bpermute_b32 v38, v41, v12
	ds_bpermute_b32 v39, v41, v13
	ds_bpermute_b32 v40, v41, v16
	ds_bpermute_b32 v41, v41, v17
	s_wait_dscnt 0xe
	v_add_f64_e32 v[14:15], v[14:15], v[26:27]
	v_xor_b32_e32 v26, 16, v44
	s_wait_dscnt 0xc
	v_add_f64_e32 v[10:11], v[10:11], v[28:29]
	s_wait_dscnt 0xa
	v_add_f64_e32 v[22:23], v[22:23], v[30:31]
	s_wait_dscnt 0x8
	v_add_f64_e32 v[24:25], v[24:25], v[32:33]
	v_cmp_gt_i32_e32 vcc_lo, 32, v26
	s_wait_dscnt 0x6
	v_add_f64_e32 v[18:19], v[18:19], v[34:35]
	s_wait_dscnt 0x4
	v_add_f64_e32 v[20:21], v[20:21], v[36:37]
	s_wait_dscnt 0x2
	v_add_f64_e32 v[12:13], v[12:13], v[38:39]
	s_wait_alu 0xfffd
	v_cndmask_b32_e32 v26, v44, v26, vcc_lo
	s_wait_dscnt 0x0
	v_add_f64_e32 v[16:17], v[16:17], v[40:41]
	s_delay_alu instid0(VALU_DEP_2)
	v_lshlrev_b32_e32 v41, 2, v26
	ds_bpermute_b32 v26, v41, v14
	ds_bpermute_b32 v27, v41, v15
	ds_bpermute_b32 v28, v41, v10
	ds_bpermute_b32 v29, v41, v11
	ds_bpermute_b32 v30, v41, v22
	ds_bpermute_b32 v31, v41, v23
	ds_bpermute_b32 v32, v41, v24
	ds_bpermute_b32 v33, v41, v25
	ds_bpermute_b32 v34, v41, v18
	ds_bpermute_b32 v35, v41, v19
	ds_bpermute_b32 v36, v41, v20
	ds_bpermute_b32 v37, v41, v21
	ds_bpermute_b32 v38, v41, v12
	ds_bpermute_b32 v39, v41, v13
	ds_bpermute_b32 v40, v41, v16
	ds_bpermute_b32 v41, v41, v17
	s_wait_dscnt 0xe
	v_add_f64_e32 v[14:15], v[14:15], v[26:27]
	v_xor_b32_e32 v26, 8, v44
	s_wait_dscnt 0xc
	v_add_f64_e32 v[10:11], v[10:11], v[28:29]
	s_wait_dscnt 0xa
	v_add_f64_e32 v[22:23], v[22:23], v[30:31]
	s_wait_dscnt 0x8
	v_add_f64_e32 v[24:25], v[24:25], v[32:33]
	v_cmp_gt_i32_e32 vcc_lo, 32, v26
	s_wait_dscnt 0x6
	v_add_f64_e32 v[18:19], v[18:19], v[34:35]
	s_wait_dscnt 0x4
	v_add_f64_e32 v[20:21], v[20:21], v[36:37]
	s_wait_dscnt 0x2
	v_add_f64_e32 v[12:13], v[12:13], v[38:39]
	s_wait_alu 0xfffd
	v_cndmask_b32_e32 v26, v44, v26, vcc_lo
	s_wait_dscnt 0x0
	v_add_f64_e32 v[16:17], v[16:17], v[40:41]
	s_delay_alu instid0(VALU_DEP_2)
	;; [unrolled: 38-line block ×3, first 2 shown]
	v_lshlrev_b32_e32 v41, 2, v26
	ds_bpermute_b32 v26, v41, v14
	ds_bpermute_b32 v27, v41, v15
	;; [unrolled: 1-line block ×16, first 2 shown]
	s_wait_dscnt 0xe
	v_add_f64_e32 v[14:15], v[14:15], v[26:27]
	s_wait_dscnt 0xc
	v_add_f64_e32 v[26:27], v[10:11], v[28:29]
	v_xor_b32_e32 v10, 2, v44
	s_wait_dscnt 0xa
	v_add_f64_e32 v[22:23], v[22:23], v[30:31]
	s_wait_dscnt 0x8
	v_add_f64_e32 v[28:29], v[24:25], v[32:33]
	s_wait_dscnt 0x6
	v_add_f64_e32 v[18:19], v[18:19], v[34:35]
	v_cmp_gt_i32_e32 vcc_lo, 32, v10
	s_wait_dscnt 0x4
	v_add_f64_e32 v[20:21], v[20:21], v[36:37]
	s_wait_dscnt 0x2
	v_add_f64_e32 v[30:31], v[12:13], v[38:39]
	;; [unrolled: 2-line block ×3, first 2 shown]
	s_wait_alu 0xfffd
	v_cndmask_b32_e32 v10, v44, v10, vcc_lo
	s_delay_alu instid0(VALU_DEP_1)
	v_lshlrev_b32_e32 v24, 2, v10
	ds_bpermute_b32 v10, v24, v14
	ds_bpermute_b32 v11, v24, v15
	;; [unrolled: 1-line block ×16, first 2 shown]
	s_wait_dscnt 0xe
	v_add_f64_e32 v[10:11], v[14:15], v[10:11]
	s_wait_dscnt 0xc
	v_add_f64_e32 v[24:25], v[26:27], v[12:13]
	v_xor_b32_e32 v26, 1, v44
	s_wait_dscnt 0xa
	v_add_f64_e32 v[12:13], v[22:23], v[16:17]
	s_wait_dscnt 0x8
	v_add_f64_e32 v[22:23], v[28:29], v[34:35]
	;; [unrolled: 2-line block ×3, first 2 shown]
	v_cmp_gt_i32_e32 vcc_lo, 32, v26
	s_wait_dscnt 0x4
	v_add_f64_e32 v[20:21], v[20:21], v[38:39]
	s_wait_dscnt 0x2
	v_add_f64_e32 v[16:17], v[30:31], v[40:41]
	;; [unrolled: 2-line block ×3, first 2 shown]
	s_wait_alu 0xfffd
	v_cndmask_b32_e32 v26, v44, v26, vcc_lo
	v_cmp_eq_u32_e32 vcc_lo, 63, v0
	s_delay_alu instid0(VALU_DEP_2)
	v_lshlrev_b32_e32 v29, 2, v26
	ds_bpermute_b32 v40, v29, v10
	ds_bpermute_b32 v41, v29, v11
	;; [unrolled: 1-line block ×16, first 2 shown]
	s_and_b32 exec_lo, exec_lo, vcc_lo
	s_cbranch_execz .LBB125_21
; %bb.17:
	v_cmp_eq_f64_e32 vcc_lo, 0, v[5:6]
	v_cmp_eq_f64_e64 s2, 0, v[7:8]
	s_wait_dscnt 0xe
	v_add_f64_e32 v[10:11], v[10:11], v[40:41]
	s_wait_dscnt 0xc
	v_add_f64_e32 v[24:25], v[24:25], v[38:39]
	;; [unrolled: 2-line block ×8, first 2 shown]
	s_load_b64 s[0:1], s[0:1], 0x48
	s_and_b32 s2, vcc_lo, s2
	s_wait_alu 0xfffe
	s_and_saveexec_b32 s3, s2
	s_wait_alu 0xfffe
	s_xor_b32 s2, exec_lo, s3
	s_cbranch_execz .LBB125_19
; %bb.18:
	v_mul_f64_e64 v[5:6], v[24:25], -v[3:4]
	v_mul_f64_e32 v[7:8], v[1:2], v[24:25]
	v_mul_f64_e64 v[24:25], v[22:23], -v[3:4]
	v_mul_f64_e32 v[22:23], v[1:2], v[22:23]
	;; [unrolled: 2-line block ×4, first 2 shown]
	v_fma_f64 v[5:6], v[1:2], v[10:11], v[5:6]
	v_fma_f64 v[7:8], v[3:4], v[10:11], v[7:8]
	;; [unrolled: 1-line block ×8, first 2 shown]
	v_lshlrev_b32_e32 v14, 2, v9
                                        ; implicit-def: $vgpr9
                                        ; implicit-def: $vgpr24_vgpr25
                                        ; implicit-def: $vgpr22_vgpr23
                                        ; implicit-def: $vgpr16_vgpr17
	s_delay_alu instid0(VALU_DEP_1) | instskip(NEXT) | instid1(VALU_DEP_1)
	v_ashrrev_i32_e32 v15, 31, v14
	v_lshlrev_b64_e32 v[14:15], 4, v[14:15]
	s_wait_kmcnt 0x0
	s_delay_alu instid0(VALU_DEP_1) | instskip(SKIP_1) | instid1(VALU_DEP_2)
	v_add_co_u32 v14, vcc_lo, s0, v14
	s_wait_alu 0xfffd
	v_add_co_ci_u32_e64 v15, null, s1, v15, vcc_lo
	s_clause 0x3
	global_store_b128 v[14:15], v[5:8], off
	global_store_b128 v[14:15], v[10:13], off offset:16
	global_store_b128 v[14:15], v[18:21], off offset:32
	;; [unrolled: 1-line block ×3, first 2 shown]
                                        ; implicit-def: $vgpr10_vgpr11
                                        ; implicit-def: $vgpr12_vgpr13
                                        ; implicit-def: $vgpr14_vgpr15
                                        ; implicit-def: $vgpr20_vgpr21
                                        ; implicit-def: $vgpr18_vgpr19
                                        ; implicit-def: $vgpr7_vgpr8
                                        ; implicit-def: $vgpr3_vgpr4
.LBB125_19:
	s_wait_alu 0xfffe
	s_and_not1_saveexec_b32 s2, s2
	s_cbranch_execz .LBB125_21
; %bb.20:
	v_lshlrev_b32_e32 v26, 2, v9
	v_mul_f64_e64 v[44:45], v[24:25], -v[3:4]
	v_mul_f64_e32 v[24:25], v[1:2], v[24:25]
	v_mul_f64_e64 v[46:47], v[22:23], -v[3:4]
	v_mul_f64_e32 v[22:23], v[1:2], v[22:23]
	v_ashrrev_i32_e32 v27, 31, v26
	v_mul_f64_e64 v[48:49], v[20:21], -v[3:4]
	v_mul_f64_e32 v[20:21], v[1:2], v[20:21]
	v_mul_f64_e64 v[50:51], v[18:19], -v[3:4]
	v_mul_f64_e32 v[18:19], v[1:2], v[18:19]
	v_lshlrev_b64_e32 v[26:27], 4, v[26:27]
	s_wait_kmcnt 0x0
	s_delay_alu instid0(VALU_DEP_1) | instskip(SKIP_1) | instid1(VALU_DEP_2)
	v_add_co_u32 v42, vcc_lo, s0, v26
	s_wait_alu 0xfffd
	v_add_co_ci_u32_e64 v43, null, s1, v27, vcc_lo
	s_clause 0x3
	global_load_b128 v[26:29], v[42:43], off
	global_load_b128 v[30:33], v[42:43], off offset:16
	global_load_b128 v[34:37], v[42:43], off offset:32
	;; [unrolled: 1-line block ×3, first 2 shown]
	v_fma_f64 v[44:45], v[1:2], v[10:11], v[44:45]
	v_fma_f64 v[9:10], v[3:4], v[10:11], v[24:25]
	;; [unrolled: 1-line block ×8, first 2 shown]
	s_wait_loadcnt 0x3
	v_fma_f64 v[15:16], v[5:6], v[26:27], v[44:45]
	v_fma_f64 v[9:10], v[7:8], v[26:27], v[9:10]
	s_wait_loadcnt 0x2
	v_fma_f64 v[17:18], v[5:6], v[30:31], v[24:25]
	v_fma_f64 v[11:12], v[7:8], v[30:31], v[11:12]
	;; [unrolled: 3-line block ×4, first 2 shown]
	v_fma_f64 v[0:1], -v[7:8], v[28:29], v[15:16]
	v_fma_f64 v[2:3], v[5:6], v[28:29], v[9:10]
	v_fma_f64 v[9:10], -v[7:8], v[32:33], v[17:18]
	v_fma_f64 v[11:12], v[5:6], v[32:33], v[11:12]
	;; [unrolled: 2-line block ×4, first 2 shown]
	s_clause 0x3
	global_store_b128 v[42:43], v[0:3], off
	global_store_b128 v[42:43], v[9:12], off offset:16
	global_store_b128 v[42:43], v[13:16], off offset:32
	;; [unrolled: 1-line block ×3, first 2 shown]
.LBB125_21:
	s_endpgm
	.section	.rodata,"a",@progbits
	.p2align	6, 0x0
	.amdhsa_kernel _ZN9rocsparseL19gebsrmvn_4xn_kernelILj128ELj3ELj64E21rocsparse_complex_numIdEEEvi20rocsparse_direction_NS_24const_host_device_scalarIT2_EEPKiS8_PKS5_SA_S6_PS5_21rocsparse_index_base_b
		.amdhsa_group_segment_fixed_size 0
		.amdhsa_private_segment_fixed_size 0
		.amdhsa_kernarg_size 88
		.amdhsa_user_sgpr_count 2
		.amdhsa_user_sgpr_dispatch_ptr 0
		.amdhsa_user_sgpr_queue_ptr 0
		.amdhsa_user_sgpr_kernarg_segment_ptr 1
		.amdhsa_user_sgpr_dispatch_id 0
		.amdhsa_user_sgpr_private_segment_size 0
		.amdhsa_wavefront_size32 1
		.amdhsa_uses_dynamic_stack 0
		.amdhsa_enable_private_segment 0
		.amdhsa_system_sgpr_workgroup_id_x 1
		.amdhsa_system_sgpr_workgroup_id_y 0
		.amdhsa_system_sgpr_workgroup_id_z 0
		.amdhsa_system_sgpr_workgroup_info 0
		.amdhsa_system_vgpr_workitem_id 0
		.amdhsa_next_free_vgpr 92
		.amdhsa_next_free_sgpr 14
		.amdhsa_reserve_vcc 1
		.amdhsa_float_round_mode_32 0
		.amdhsa_float_round_mode_16_64 0
		.amdhsa_float_denorm_mode_32 3
		.amdhsa_float_denorm_mode_16_64 3
		.amdhsa_fp16_overflow 0
		.amdhsa_workgroup_processor_mode 1
		.amdhsa_memory_ordered 1
		.amdhsa_forward_progress 1
		.amdhsa_inst_pref_size 37
		.amdhsa_round_robin_scheduling 0
		.amdhsa_exception_fp_ieee_invalid_op 0
		.amdhsa_exception_fp_denorm_src 0
		.amdhsa_exception_fp_ieee_div_zero 0
		.amdhsa_exception_fp_ieee_overflow 0
		.amdhsa_exception_fp_ieee_underflow 0
		.amdhsa_exception_fp_ieee_inexact 0
		.amdhsa_exception_int_div_zero 0
	.end_amdhsa_kernel
	.section	.text._ZN9rocsparseL19gebsrmvn_4xn_kernelILj128ELj3ELj64E21rocsparse_complex_numIdEEEvi20rocsparse_direction_NS_24const_host_device_scalarIT2_EEPKiS8_PKS5_SA_S6_PS5_21rocsparse_index_base_b,"axG",@progbits,_ZN9rocsparseL19gebsrmvn_4xn_kernelILj128ELj3ELj64E21rocsparse_complex_numIdEEEvi20rocsparse_direction_NS_24const_host_device_scalarIT2_EEPKiS8_PKS5_SA_S6_PS5_21rocsparse_index_base_b,comdat
.Lfunc_end125:
	.size	_ZN9rocsparseL19gebsrmvn_4xn_kernelILj128ELj3ELj64E21rocsparse_complex_numIdEEEvi20rocsparse_direction_NS_24const_host_device_scalarIT2_EEPKiS8_PKS5_SA_S6_PS5_21rocsparse_index_base_b, .Lfunc_end125-_ZN9rocsparseL19gebsrmvn_4xn_kernelILj128ELj3ELj64E21rocsparse_complex_numIdEEEvi20rocsparse_direction_NS_24const_host_device_scalarIT2_EEPKiS8_PKS5_SA_S6_PS5_21rocsparse_index_base_b
                                        ; -- End function
	.set _ZN9rocsparseL19gebsrmvn_4xn_kernelILj128ELj3ELj64E21rocsparse_complex_numIdEEEvi20rocsparse_direction_NS_24const_host_device_scalarIT2_EEPKiS8_PKS5_SA_S6_PS5_21rocsparse_index_base_b.num_vgpr, 92
	.set _ZN9rocsparseL19gebsrmvn_4xn_kernelILj128ELj3ELj64E21rocsparse_complex_numIdEEEvi20rocsparse_direction_NS_24const_host_device_scalarIT2_EEPKiS8_PKS5_SA_S6_PS5_21rocsparse_index_base_b.num_agpr, 0
	.set _ZN9rocsparseL19gebsrmvn_4xn_kernelILj128ELj3ELj64E21rocsparse_complex_numIdEEEvi20rocsparse_direction_NS_24const_host_device_scalarIT2_EEPKiS8_PKS5_SA_S6_PS5_21rocsparse_index_base_b.numbered_sgpr, 14
	.set _ZN9rocsparseL19gebsrmvn_4xn_kernelILj128ELj3ELj64E21rocsparse_complex_numIdEEEvi20rocsparse_direction_NS_24const_host_device_scalarIT2_EEPKiS8_PKS5_SA_S6_PS5_21rocsparse_index_base_b.num_named_barrier, 0
	.set _ZN9rocsparseL19gebsrmvn_4xn_kernelILj128ELj3ELj64E21rocsparse_complex_numIdEEEvi20rocsparse_direction_NS_24const_host_device_scalarIT2_EEPKiS8_PKS5_SA_S6_PS5_21rocsparse_index_base_b.private_seg_size, 0
	.set _ZN9rocsparseL19gebsrmvn_4xn_kernelILj128ELj3ELj64E21rocsparse_complex_numIdEEEvi20rocsparse_direction_NS_24const_host_device_scalarIT2_EEPKiS8_PKS5_SA_S6_PS5_21rocsparse_index_base_b.uses_vcc, 1
	.set _ZN9rocsparseL19gebsrmvn_4xn_kernelILj128ELj3ELj64E21rocsparse_complex_numIdEEEvi20rocsparse_direction_NS_24const_host_device_scalarIT2_EEPKiS8_PKS5_SA_S6_PS5_21rocsparse_index_base_b.uses_flat_scratch, 0
	.set _ZN9rocsparseL19gebsrmvn_4xn_kernelILj128ELj3ELj64E21rocsparse_complex_numIdEEEvi20rocsparse_direction_NS_24const_host_device_scalarIT2_EEPKiS8_PKS5_SA_S6_PS5_21rocsparse_index_base_b.has_dyn_sized_stack, 0
	.set _ZN9rocsparseL19gebsrmvn_4xn_kernelILj128ELj3ELj64E21rocsparse_complex_numIdEEEvi20rocsparse_direction_NS_24const_host_device_scalarIT2_EEPKiS8_PKS5_SA_S6_PS5_21rocsparse_index_base_b.has_recursion, 0
	.set _ZN9rocsparseL19gebsrmvn_4xn_kernelILj128ELj3ELj64E21rocsparse_complex_numIdEEEvi20rocsparse_direction_NS_24const_host_device_scalarIT2_EEPKiS8_PKS5_SA_S6_PS5_21rocsparse_index_base_b.has_indirect_call, 0
	.section	.AMDGPU.csdata,"",@progbits
; Kernel info:
; codeLenInByte = 4624
; TotalNumSgprs: 16
; NumVgprs: 92
; ScratchSize: 0
; MemoryBound: 0
; FloatMode: 240
; IeeeMode: 1
; LDSByteSize: 0 bytes/workgroup (compile time only)
; SGPRBlocks: 0
; VGPRBlocks: 11
; NumSGPRsForWavesPerEU: 16
; NumVGPRsForWavesPerEU: 92
; Occupancy: 16
; WaveLimiterHint : 1
; COMPUTE_PGM_RSRC2:SCRATCH_EN: 0
; COMPUTE_PGM_RSRC2:USER_SGPR: 2
; COMPUTE_PGM_RSRC2:TRAP_HANDLER: 0
; COMPUTE_PGM_RSRC2:TGID_X_EN: 1
; COMPUTE_PGM_RSRC2:TGID_Y_EN: 0
; COMPUTE_PGM_RSRC2:TGID_Z_EN: 0
; COMPUTE_PGM_RSRC2:TIDIG_COMP_CNT: 0
	.section	.text._ZN9rocsparseL19gebsrmvn_4xn_kernelILj128ELj5ELj4E21rocsparse_complex_numIdEEEvi20rocsparse_direction_NS_24const_host_device_scalarIT2_EEPKiS8_PKS5_SA_S6_PS5_21rocsparse_index_base_b,"axG",@progbits,_ZN9rocsparseL19gebsrmvn_4xn_kernelILj128ELj5ELj4E21rocsparse_complex_numIdEEEvi20rocsparse_direction_NS_24const_host_device_scalarIT2_EEPKiS8_PKS5_SA_S6_PS5_21rocsparse_index_base_b,comdat
	.globl	_ZN9rocsparseL19gebsrmvn_4xn_kernelILj128ELj5ELj4E21rocsparse_complex_numIdEEEvi20rocsparse_direction_NS_24const_host_device_scalarIT2_EEPKiS8_PKS5_SA_S6_PS5_21rocsparse_index_base_b ; -- Begin function _ZN9rocsparseL19gebsrmvn_4xn_kernelILj128ELj5ELj4E21rocsparse_complex_numIdEEEvi20rocsparse_direction_NS_24const_host_device_scalarIT2_EEPKiS8_PKS5_SA_S6_PS5_21rocsparse_index_base_b
	.p2align	8
	.type	_ZN9rocsparseL19gebsrmvn_4xn_kernelILj128ELj5ELj4E21rocsparse_complex_numIdEEEvi20rocsparse_direction_NS_24const_host_device_scalarIT2_EEPKiS8_PKS5_SA_S6_PS5_21rocsparse_index_base_b,@function
_ZN9rocsparseL19gebsrmvn_4xn_kernelILj128ELj5ELj4E21rocsparse_complex_numIdEEEvi20rocsparse_direction_NS_24const_host_device_scalarIT2_EEPKiS8_PKS5_SA_S6_PS5_21rocsparse_index_base_b: ; @_ZN9rocsparseL19gebsrmvn_4xn_kernelILj128ELj5ELj4E21rocsparse_complex_numIdEEEvi20rocsparse_direction_NS_24const_host_device_scalarIT2_EEPKiS8_PKS5_SA_S6_PS5_21rocsparse_index_base_b
; %bb.0:
	s_clause 0x1
	s_load_b64 s[12:13], s[0:1], 0x50
	s_load_b64 s[2:3], s[0:1], 0x8
	s_add_nc_u64 s[4:5], s[0:1], 8
	s_load_b64 s[6:7], s[0:1], 0x38
	s_wait_kmcnt 0x0
	s_bitcmp1_b32 s13, 0
	s_cselect_b32 s2, s4, s2
	s_cselect_b32 s3, s5, s3
	s_delay_alu instid0(SALU_CYCLE_1)
	v_dual_mov_b32 v1, s2 :: v_dual_mov_b32 v2, s3
	s_add_nc_u64 s[2:3], s[0:1], 56
	s_wait_alu 0xfffe
	s_cselect_b32 s2, s2, s6
	s_cselect_b32 s3, s3, s7
	flat_load_b128 v[1:4], v[1:2]
	s_wait_alu 0xfffe
	v_dual_mov_b32 v5, s2 :: v_dual_mov_b32 v6, s3
	flat_load_b128 v[5:8], v[5:6]
	s_wait_loadcnt_dscnt 0x101
	v_cmp_eq_f64_e32 vcc_lo, 0, v[1:2]
	v_cmp_eq_f64_e64 s2, 0, v[3:4]
	s_and_b32 s4, vcc_lo, s2
	s_mov_b32 s2, -1
	s_and_saveexec_b32 s3, s4
	s_cbranch_execz .LBB126_2
; %bb.1:
	s_wait_loadcnt_dscnt 0x0
	v_cmp_neq_f64_e32 vcc_lo, 1.0, v[5:6]
	v_cmp_neq_f64_e64 s2, 0, v[7:8]
	s_wait_alu 0xfffe
	s_or_b32 s2, vcc_lo, s2
	s_wait_alu 0xfffe
	s_or_not1_b32 s2, s2, exec_lo
.LBB126_2:
	s_wait_alu 0xfffe
	s_or_b32 exec_lo, exec_lo, s3
	s_and_saveexec_b32 s3, s2
	s_cbranch_execz .LBB126_21
; %bb.3:
	s_load_b64 s[2:3], s[0:1], 0x0
	v_lshrrev_b32_e32 v9, 2, v0
	s_delay_alu instid0(VALU_DEP_1) | instskip(SKIP_1) | instid1(VALU_DEP_1)
	v_lshl_or_b32 v9, ttmp9, 5, v9
	s_wait_kmcnt 0x0
	v_cmp_gt_i32_e32 vcc_lo, s2, v9
	s_and_b32 exec_lo, exec_lo, vcc_lo
	s_cbranch_execz .LBB126_21
; %bb.4:
	s_load_b256 s[4:11], s[0:1], 0x18
	v_ashrrev_i32_e32 v10, 31, v9
	v_and_b32_e32 v0, 3, v0
	s_cmp_lg_u32 s3, 0
	s_delay_alu instid0(VALU_DEP_2) | instskip(SKIP_1) | instid1(VALU_DEP_1)
	v_lshlrev_b64_e32 v[10:11], 2, v[9:10]
	s_wait_kmcnt 0x0
	v_add_co_u32 v10, vcc_lo, s4, v10
	s_delay_alu instid0(VALU_DEP_1) | instskip(SKIP_4) | instid1(VALU_DEP_2)
	v_add_co_ci_u32_e64 v11, null, s5, v11, vcc_lo
	global_load_b64 v[10:11], v[10:11], off
	s_wait_loadcnt 0x0
	v_subrev_nc_u32_e32 v10, s12, v10
	v_subrev_nc_u32_e32 v33, s12, v11
	v_add_nc_u32_e32 v10, v10, v0
	s_delay_alu instid0(VALU_DEP_1)
	v_cmp_lt_i32_e64 s2, v10, v33
	s_cbranch_scc0 .LBB126_10
; %bb.5:
	v_mov_b32_e32 v14, 0
	v_mov_b32_e32 v12, 0
	;; [unrolled: 1-line block ×3, first 2 shown]
	v_dual_mov_b32 v24, 0 :: v_dual_mov_b32 v15, 0
	v_dual_mov_b32 v22, 0 :: v_dual_mov_b32 v13, 0
	;; [unrolled: 1-line block ×5, first 2 shown]
	v_mov_b32_e32 v17, 0
	v_mov_b32_e32 v21, 0
	;; [unrolled: 1-line block ×3, first 2 shown]
	s_and_saveexec_b32 s3, s2
	s_cbranch_execz .LBB126_9
; %bb.6:
	v_mad_co_u64_u32 v[28:29], null, v10, 20, 16
	v_mov_b32_e32 v14, 0
	v_mov_b32_e32 v22, 0
	v_mov_b32_e32 v12, 0
	v_mov_b32_e32 v16, 0
	v_mov_b32_e32 v18, 0
	v_mov_b32_e32 v20, 0
	v_mov_b32_e32 v24, 0
	v_dual_mov_b32 v26, 0 :: v_dual_mov_b32 v31, v10
	v_dual_mov_b32 v15, 0 :: v_dual_mov_b32 v30, 0
	v_mov_b32_e32 v23, 0
	v_mov_b32_e32 v13, 0
	;; [unrolled: 1-line block ×7, first 2 shown]
	s_mov_b32 s4, 0
.LBB126_7:                              ; =>This Inner Loop Header: Depth=1
	v_ashrrev_i32_e32 v32, 31, v31
	v_add_nc_u32_e32 v29, -16, v28
	v_mov_b32_e32 v131, v30
	s_delay_alu instid0(VALU_DEP_3) | instskip(SKIP_1) | instid1(VALU_DEP_2)
	v_lshlrev_b64_e32 v[34:35], 2, v[31:32]
	v_add_nc_u32_e32 v31, 4, v31
	v_add_co_u32 v34, vcc_lo, s6, v34
	s_wait_alu 0xfffd
	s_delay_alu instid0(VALU_DEP_3) | instskip(SKIP_3) | instid1(VALU_DEP_1)
	v_add_co_ci_u32_e64 v35, null, s7, v35, vcc_lo
	global_load_b32 v11, v[34:35], off
	v_lshlrev_b64_e32 v[34:35], 4, v[29:30]
	v_add_nc_u32_e32 v29, -12, v28
	v_lshlrev_b64_e32 v[54:55], 4, v[29:30]
	s_delay_alu instid0(VALU_DEP_3) | instskip(SKIP_1) | instid1(VALU_DEP_4)
	v_add_co_u32 v46, vcc_lo, s8, v34
	s_wait_alu 0xfffd
	v_add_co_ci_u32_e64 v47, null, s9, v35, vcc_lo
	s_clause 0x3
	global_load_b128 v[34:37], v[46:47], off offset:48
	global_load_b128 v[38:41], v[46:47], off offset:32
	;; [unrolled: 1-line block ×3, first 2 shown]
	global_load_b128 v[46:49], v[46:47], off
	s_wait_loadcnt 0x4
	v_subrev_nc_u32_e32 v11, s12, v11
	s_delay_alu instid0(VALU_DEP_1) | instskip(NEXT) | instid1(VALU_DEP_1)
	v_lshl_add_u32 v130, v11, 2, v11
	v_add_nc_u32_e32 v29, 1, v130
	s_delay_alu instid0(VALU_DEP_1) | instskip(SKIP_1) | instid1(VALU_DEP_1)
	v_lshlrev_b64_e32 v[70:71], 4, v[29:30]
	v_add_nc_u32_e32 v29, -8, v28
	v_lshlrev_b64_e32 v[74:75], 4, v[29:30]
	v_add_nc_u32_e32 v29, 2, v130
	s_delay_alu instid0(VALU_DEP_1) | instskip(SKIP_1) | instid1(VALU_DEP_1)
	v_lshlrev_b64_e32 v[76:77], 4, v[29:30]
	v_add_nc_u32_e32 v29, -4, v28
	v_lshlrev_b64_e32 v[94:95], 4, v[29:30]
	v_add_nc_u32_e32 v29, 3, v130
	s_delay_alu instid0(VALU_DEP_1) | instskip(SKIP_1) | instid1(VALU_DEP_1)
	v_lshlrev_b64_e32 v[96:97], 4, v[29:30]
	v_mov_b32_e32 v29, v30
	v_lshlrev_b64_e32 v[114:115], 4, v[28:29]
	v_add_nc_u32_e32 v28, 0x50, v28
	v_lshlrev_b64_e32 v[50:51], 4, v[130:131]
	v_add_nc_u32_e32 v29, 4, v130
	s_delay_alu instid0(VALU_DEP_2) | instskip(SKIP_1) | instid1(VALU_DEP_3)
	v_add_co_u32 v50, vcc_lo, s10, v50
	s_wait_alu 0xfffd
	v_add_co_ci_u32_e64 v51, null, s11, v51, vcc_lo
	v_add_co_u32 v66, vcc_lo, s8, v54
	s_wait_alu 0xfffd
	v_add_co_ci_u32_e64 v67, null, s9, v55, vcc_lo
	global_load_b128 v[50:53], v[50:51], off
	v_add_co_u32 v70, vcc_lo, s10, v70
	s_wait_alu 0xfffd
	v_add_co_ci_u32_e64 v71, null, s11, v71, vcc_lo
	s_clause 0x3
	global_load_b128 v[54:57], v[66:67], off offset:48
	global_load_b128 v[58:61], v[66:67], off offset:32
	;; [unrolled: 1-line block ×3, first 2 shown]
	global_load_b128 v[66:69], v[66:67], off
	v_add_co_u32 v86, vcc_lo, s8, v74
	global_load_b128 v[70:73], v[70:71], off
	s_wait_alu 0xfffd
	v_add_co_ci_u32_e64 v87, null, s9, v75, vcc_lo
	v_add_co_u32 v90, vcc_lo, s10, v76
	s_wait_alu 0xfffd
	v_add_co_ci_u32_e64 v91, null, s11, v77, vcc_lo
	s_clause 0x3
	global_load_b128 v[74:77], v[86:87], off offset:48
	global_load_b128 v[78:81], v[86:87], off offset:32
	;; [unrolled: 1-line block ×3, first 2 shown]
	global_load_b128 v[86:89], v[86:87], off
	global_load_b128 v[90:93], v[90:91], off
	v_add_co_u32 v106, vcc_lo, s8, v94
	s_wait_alu 0xfffd
	v_add_co_ci_u32_e64 v107, null, s9, v95, vcc_lo
	v_add_co_u32 v110, vcc_lo, s10, v96
	s_wait_alu 0xfffd
	v_add_co_ci_u32_e64 v111, null, s11, v97, vcc_lo
	s_clause 0x3
	global_load_b128 v[94:97], v[106:107], off offset:48
	global_load_b128 v[98:101], v[106:107], off offset:32
	;; [unrolled: 1-line block ×3, first 2 shown]
	global_load_b128 v[106:109], v[106:107], off
	global_load_b128 v[110:113], v[110:111], off
	v_lshlrev_b64_e32 v[130:131], 4, v[29:30]
	v_add_co_u32 v126, vcc_lo, s8, v114
	s_wait_alu 0xfffd
	v_add_co_ci_u32_e64 v127, null, s9, v115, vcc_lo
	s_clause 0x3
	global_load_b128 v[114:117], v[126:127], off offset:48
	global_load_b128 v[118:121], v[126:127], off offset:32
	;; [unrolled: 1-line block ×3, first 2 shown]
	global_load_b128 v[126:129], v[126:127], off
	v_add_co_u32 v130, vcc_lo, s10, v130
	s_wait_alu 0xfffd
	v_add_co_ci_u32_e64 v131, null, s11, v131, vcc_lo
	v_cmp_ge_i32_e32 vcc_lo, v31, v33
	global_load_b128 v[130:133], v[130:131], off
	s_wait_alu 0xfffe
	s_or_b32 s4, vcc_lo, s4
	s_wait_loadcnt 0x14
	v_fma_f64 v[22:23], v[46:47], v[50:51], v[22:23]
	v_fma_f64 v[14:15], v[48:49], v[50:51], v[14:15]
	v_fma_f64 v[24:25], v[42:43], v[50:51], v[24:25]
	v_fma_f64 v[26:27], v[44:45], v[50:51], v[26:27]
	v_fma_f64 v[18:19], v[38:39], v[50:51], v[18:19]
	v_fma_f64 v[20:21], v[40:41], v[50:51], v[20:21]
	v_fma_f64 v[11:12], v[34:35], v[50:51], v[12:13]
	v_fma_f64 v[16:17], v[36:37], v[50:51], v[16:17]
	v_fma_f64 v[22:23], -v[48:49], v[52:53], v[22:23]
	v_fma_f64 v[13:14], v[46:47], v[52:53], v[14:15]
	v_fma_f64 v[24:25], -v[44:45], v[52:53], v[24:25]
	v_fma_f64 v[26:27], v[42:43], v[52:53], v[26:27]
	v_fma_f64 v[18:19], -v[40:41], v[52:53], v[18:19]
	v_fma_f64 v[20:21], v[38:39], v[52:53], v[20:21]
	v_fma_f64 v[11:12], -v[36:37], v[52:53], v[11:12]
	v_fma_f64 v[15:16], v[34:35], v[52:53], v[16:17]
	s_wait_loadcnt 0xf
	v_fma_f64 v[22:23], v[66:67], v[70:71], v[22:23]
	v_fma_f64 v[13:14], v[68:69], v[70:71], v[13:14]
	v_fma_f64 v[24:25], v[62:63], v[70:71], v[24:25]
	v_fma_f64 v[26:27], v[64:65], v[70:71], v[26:27]
	v_fma_f64 v[17:18], v[58:59], v[70:71], v[18:19]
	v_fma_f64 v[19:20], v[60:61], v[70:71], v[20:21]
	v_fma_f64 v[11:12], v[54:55], v[70:71], v[11:12]
	v_fma_f64 v[15:16], v[56:57], v[70:71], v[15:16]
	v_fma_f64 v[21:22], -v[68:69], v[72:73], v[22:23]
	v_fma_f64 v[13:14], v[66:67], v[72:73], v[13:14]
	v_fma_f64 v[23:24], -v[64:65], v[72:73], v[24:25]
	v_fma_f64 v[25:26], v[62:63], v[72:73], v[26:27]
	v_fma_f64 v[17:18], -v[60:61], v[72:73], v[17:18]
	v_fma_f64 v[19:20], v[58:59], v[72:73], v[19:20]
	v_fma_f64 v[11:12], -v[56:57], v[72:73], v[11:12]
	v_fma_f64 v[15:16], v[54:55], v[72:73], v[15:16]
	;; [unrolled: 17-line block ×5, first 2 shown]
	s_wait_alu 0xfffe
	s_and_not1_b32 exec_lo, exec_lo, s4
	s_cbranch_execnz .LBB126_7
; %bb.8:
	s_or_b32 exec_lo, exec_lo, s4
.LBB126_9:
	s_wait_alu 0xfffe
	s_or_b32 exec_lo, exec_lo, s3
	s_cbranch_execz .LBB126_11
	s_branch .LBB126_16
.LBB126_10:
                                        ; implicit-def: $vgpr14_vgpr15
                                        ; implicit-def: $vgpr22_vgpr23
                                        ; implicit-def: $vgpr12_vgpr13
                                        ; implicit-def: $vgpr16_vgpr17
                                        ; implicit-def: $vgpr18_vgpr19
                                        ; implicit-def: $vgpr20_vgpr21
                                        ; implicit-def: $vgpr24_vgpr25
                                        ; implicit-def: $vgpr26_vgpr27
.LBB126_11:
	v_mov_b32_e32 v14, 0
	v_mov_b32_e32 v12, 0
	;; [unrolled: 1-line block ×3, first 2 shown]
	v_dual_mov_b32 v24, 0 :: v_dual_mov_b32 v15, 0
	v_dual_mov_b32 v22, 0 :: v_dual_mov_b32 v13, 0
	;; [unrolled: 1-line block ×5, first 2 shown]
	v_mov_b32_e32 v17, 0
	v_mov_b32_e32 v21, 0
	;; [unrolled: 1-line block ×3, first 2 shown]
	s_and_saveexec_b32 s3, s2
	s_cbranch_execz .LBB126_15
; %bb.12:
	v_mad_co_u64_u32 v[28:29], null, v10, 20, 19
	v_mov_b32_e32 v14, 0
	v_mov_b32_e32 v12, 0
	;; [unrolled: 1-line block ×3, first 2 shown]
	v_dual_mov_b32 v24, 0 :: v_dual_mov_b32 v15, 0
	v_dual_mov_b32 v22, 0 :: v_dual_mov_b32 v13, 0
	v_dual_mov_b32 v16, 0 :: v_dual_mov_b32 v19, 0
	v_dual_mov_b32 v20, 0 :: v_dual_mov_b32 v25, 0
	v_dual_mov_b32 v26, 0 :: v_dual_mov_b32 v23, 0
	v_mov_b32_e32 v17, 0
	v_mov_b32_e32 v21, 0
	v_dual_mov_b32 v27, 0 :: v_dual_mov_b32 v30, 0
	s_mov_b32 s2, 0
.LBB126_13:                             ; =>This Inner Loop Header: Depth=1
	v_ashrrev_i32_e32 v11, 31, v10
	v_subrev_nc_u32_e32 v29, 19, v28
	s_delay_alu instid0(VALU_DEP_3) | instskip(SKIP_1) | instid1(VALU_DEP_4)
	v_dual_mov_b32 v111, v30 :: v_dual_add_nc_u32 v34, -9, v28
	v_dual_mov_b32 v35, v30 :: v_dual_add_nc_u32 v36, -4, v28
	v_lshlrev_b64_e32 v[31:32], 2, v[10:11]
	s_delay_alu instid0(VALU_DEP_4) | instskip(SKIP_1) | instid1(VALU_DEP_4)
	v_lshlrev_b64_e32 v[38:39], 4, v[29:30]
	v_dual_mov_b32 v37, v30 :: v_dual_add_nc_u32 v10, 4, v10
	v_lshlrev_b64_e32 v[34:35], 4, v[34:35]
	s_delay_alu instid0(VALU_DEP_4)
	v_add_co_u32 v31, vcc_lo, s6, v31
	s_wait_alu 0xfffd
	v_add_co_ci_u32_e64 v32, null, s7, v32, vcc_lo
	v_lshlrev_b64_e32 v[36:37], 4, v[36:37]
	v_add_co_u32 v78, vcc_lo, s8, v38
	global_load_b32 v11, v[31:32], off
	v_dual_mov_b32 v32, v30 :: v_dual_add_nc_u32 v31, -14, v28
	s_wait_alu 0xfffd
	v_add_co_ci_u32_e64 v79, null, s9, v39, vcc_lo
	s_delay_alu instid0(VALU_DEP_2) | instskip(NEXT) | instid1(VALU_DEP_1)
	v_lshlrev_b64_e32 v[31:32], 4, v[31:32]
	v_add_co_u32 v31, vcc_lo, s8, v31
	s_wait_alu 0xfffd
	s_delay_alu instid0(VALU_DEP_2)
	v_add_co_ci_u32_e64 v32, null, s9, v32, vcc_lo
	v_add_co_u32 v46, vcc_lo, s8, v34
	s_wait_alu 0xfffd
	v_add_co_ci_u32_e64 v47, null, s9, v35, vcc_lo
	v_add_co_u32 v50, vcc_lo, s8, v36
	s_wait_alu 0xfffd
	v_add_co_ci_u32_e64 v51, null, s9, v37, vcc_lo
	s_clause 0x4
	global_load_b128 v[34:37], v[78:79], off offset:16
	global_load_b128 v[38:41], v[78:79], off
	global_load_b128 v[42:45], v[31:32], off
	;; [unrolled: 1-line block ×4, first 2 shown]
	s_wait_loadcnt 0x5
	v_subrev_nc_u32_e32 v11, s12, v11
	s_delay_alu instid0(VALU_DEP_1) | instskip(NEXT) | instid1(VALU_DEP_1)
	v_lshl_add_u32 v110, v11, 2, v11
	v_lshlrev_b64_e32 v[31:32], 4, v[110:111]
	v_add_nc_u32_e32 v29, 1, v110
	s_delay_alu instid0(VALU_DEP_2) | instskip(SKIP_1) | instid1(VALU_DEP_3)
	v_add_co_u32 v31, vcc_lo, s10, v31
	s_wait_alu 0xfffd
	v_add_co_ci_u32_e64 v32, null, s11, v32, vcc_lo
	global_load_b128 v[54:57], v[31:32], off
	v_lshlrev_b64_e32 v[31:32], 4, v[29:30]
	v_add_nc_u32_e32 v29, -13, v28
	s_delay_alu instid0(VALU_DEP_1) | instskip(SKIP_1) | instid1(VALU_DEP_4)
	v_lshlrev_b64_e32 v[62:63], 4, v[29:30]
	v_add_nc_u32_e32 v29, -8, v28
	v_add_co_u32 v31, vcc_lo, s10, v31
	s_wait_alu 0xfffd
	v_add_co_ci_u32_e64 v32, null, s11, v32, vcc_lo
	s_delay_alu instid0(VALU_DEP_3)
	v_lshlrev_b64_e32 v[64:65], 4, v[29:30]
	v_add_nc_u32_e32 v29, -3, v28
	global_load_b128 v[58:61], v[31:32], off
	v_add_co_u32 v31, vcc_lo, s8, v62
	s_wait_alu 0xfffd
	v_add_co_ci_u32_e64 v32, null, s9, v63, vcc_lo
	v_lshlrev_b64_e32 v[62:63], 4, v[29:30]
	v_add_co_u32 v66, vcc_lo, s8, v64
	s_wait_alu 0xfffd
	v_add_co_ci_u32_e64 v67, null, s9, v65, vcc_lo
	v_mov_b32_e32 v29, v30
	s_delay_alu instid0(VALU_DEP_4)
	v_add_co_u32 v70, vcc_lo, s8, v62
	s_wait_alu 0xfffd
	v_add_co_ci_u32_e64 v71, null, s9, v63, vcc_lo
	s_clause 0x2
	global_load_b128 v[62:65], v[31:32], off
	global_load_b128 v[66:69], v[66:67], off
	;; [unrolled: 1-line block ×3, first 2 shown]
	v_lshlrev_b64_e32 v[31:32], 4, v[28:29]
	v_add_nc_u32_e32 v29, 2, v110
	s_clause 0x1
	global_load_b128 v[74:77], v[78:79], off offset:48
	global_load_b128 v[78:81], v[78:79], off offset:32
	v_lshlrev_b64_e32 v[82:83], 4, v[29:30]
	v_add_nc_u32_e32 v29, -12, v28
	v_add_co_u32 v31, vcc_lo, s8, v31
	s_wait_alu 0xfffd
	v_add_co_ci_u32_e64 v32, null, s9, v32, vcc_lo
	s_delay_alu instid0(VALU_DEP_3) | instskip(SKIP_4) | instid1(VALU_DEP_3)
	v_lshlrev_b64_e32 v[84:85], 4, v[29:30]
	v_add_nc_u32_e32 v29, -7, v28
	v_add_co_u32 v82, vcc_lo, s10, v82
	s_wait_alu 0xfffd
	v_add_co_ci_u32_e64 v83, null, s11, v83, vcc_lo
	v_lshlrev_b64_e32 v[86:87], 4, v[29:30]
	v_add_nc_u32_e32 v29, -2, v28
	v_add_co_u32 v88, vcc_lo, s8, v84
	s_wait_alu 0xfffd
	v_add_co_ci_u32_e64 v89, null, s9, v85, vcc_lo
	s_delay_alu instid0(VALU_DEP_3)
	v_lshlrev_b64_e32 v[90:91], 4, v[29:30]
	v_add_co_u32 v92, vcc_lo, s8, v86
	s_wait_alu 0xfffd
	v_add_co_ci_u32_e64 v93, null, s9, v87, vcc_lo
	global_load_b128 v[82:85], v[82:83], off
	v_add_co_u32 v94, vcc_lo, s8, v90
	s_wait_alu 0xfffd
	v_add_co_ci_u32_e64 v95, null, s9, v91, vcc_lo
	s_clause 0x3
	global_load_b128 v[86:89], v[88:89], off
	global_load_b128 v[90:93], v[92:93], off
	;; [unrolled: 1-line block ×4, first 2 shown]
	v_add_nc_u32_e32 v29, 3, v110
	s_delay_alu instid0(VALU_DEP_1) | instskip(SKIP_1) | instid1(VALU_DEP_1)
	v_lshlrev_b64_e32 v[31:32], 4, v[29:30]
	v_add_nc_u32_e32 v29, -11, v28
	v_lshlrev_b64_e32 v[106:107], 4, v[29:30]
	v_add_nc_u32_e32 v29, -6, v28
	s_delay_alu instid0(VALU_DEP_4) | instskip(SKIP_2) | instid1(VALU_DEP_3)
	v_add_co_u32 v31, vcc_lo, s10, v31
	s_wait_alu 0xfffd
	v_add_co_ci_u32_e64 v32, null, s11, v32, vcc_lo
	v_lshlrev_b64_e32 v[108:109], 4, v[29:30]
	v_add_nc_u32_e32 v29, -1, v28
	global_load_b128 v[102:105], v[31:32], off
	v_add_co_u32 v31, vcc_lo, s8, v106
	v_lshlrev_b64_e32 v[114:115], 4, v[29:30]
	s_wait_alu 0xfffd
	v_add_co_ci_u32_e64 v32, null, s9, v107, vcc_lo
	v_add_co_u32 v111, vcc_lo, s8, v108
	s_wait_alu 0xfffd
	v_add_co_ci_u32_e64 v112, null, s9, v109, vcc_lo
	v_add_co_u32 v114, vcc_lo, s8, v114
	v_add_nc_u32_e32 v29, -15, v28
	s_wait_alu 0xfffd
	v_add_co_ci_u32_e64 v115, null, s9, v115, vcc_lo
	s_clause 0x1
	global_load_b128 v[106:109], v[31:32], off
	global_load_b128 v[114:117], v[114:115], off
	v_lshlrev_b64_e32 v[31:32], 4, v[29:30]
	v_add_nc_u32_e32 v29, 4, v110
	global_load_b128 v[110:113], v[111:112], off
	v_lshlrev_b64_e32 v[118:119], 4, v[29:30]
	v_add_nc_u32_e32 v29, -10, v28
	v_add_co_u32 v31, vcc_lo, s8, v31
	s_wait_alu 0xfffd
	v_add_co_ci_u32_e64 v32, null, s9, v32, vcc_lo
	s_delay_alu instid0(VALU_DEP_3)
	v_lshlrev_b64_e32 v[122:123], 4, v[29:30]
	v_add_nc_u32_e32 v29, -5, v28
	v_add_co_u32 v124, vcc_lo, s10, v118
	s_wait_alu 0xfffd
	v_add_co_ci_u32_e64 v125, null, s11, v119, vcc_lo
	global_load_b128 v[118:121], v[31:32], off
	v_lshlrev_b64_e32 v[31:32], 4, v[29:30]
	v_add_co_u32 v122, vcc_lo, s8, v122
	s_wait_alu 0xfffd
	v_add_co_ci_u32_e64 v123, null, s9, v123, vcc_lo
	v_add_nc_u32_e32 v28, 0x50, v28
	s_delay_alu instid0(VALU_DEP_4)
	v_add_co_u32 v31, vcc_lo, s8, v31
	s_wait_alu 0xfffd
	v_add_co_ci_u32_e64 v32, null, s9, v32, vcc_lo
	v_cmp_ge_i32_e32 vcc_lo, v10, v33
	s_wait_alu 0xfffe
	s_or_b32 s2, vcc_lo, s2
	s_wait_loadcnt 0x10
	v_fma_f64 v[22:23], v[38:39], v[54:55], v[22:23]
	v_fma_f64 v[14:15], v[40:41], v[54:55], v[14:15]
	;; [unrolled: 1-line block ×8, first 2 shown]
	v_fma_f64 v[22:23], -v[40:41], v[56:57], v[22:23]
	v_fma_f64 v[14:15], v[38:39], v[56:57], v[14:15]
	global_load_b128 v[38:41], v[124:125], off
	v_fma_f64 v[24:25], -v[44:45], v[56:57], v[24:25]
	v_fma_f64 v[26:27], v[42:43], v[56:57], v[26:27]
	s_clause 0x1
	global_load_b128 v[42:45], v[122:123], off
	global_load_b128 v[122:125], v[31:32], off
	v_fma_f64 v[18:19], -v[48:49], v[56:57], v[18:19]
	v_fma_f64 v[20:21], v[46:47], v[56:57], v[20:21]
	v_fma_f64 v[11:12], -v[52:53], v[56:57], v[11:12]
	v_fma_f64 v[16:17], v[50:51], v[56:57], v[16:17]
	s_wait_loadcnt 0x12
	v_fma_f64 v[22:23], v[34:35], v[58:59], v[22:23]
	v_fma_f64 v[13:14], v[36:37], v[58:59], v[14:15]
	s_wait_loadcnt 0x11
	v_fma_f64 v[24:25], v[62:63], v[58:59], v[24:25]
	;; [unrolled: 3-line block ×4, first 2 shown]
	v_fma_f64 v[15:16], v[72:73], v[58:59], v[16:17]
	v_fma_f64 v[22:23], -v[36:37], v[60:61], v[22:23]
	v_fma_f64 v[13:14], v[34:35], v[60:61], v[13:14]
	v_fma_f64 v[24:25], -v[64:65], v[60:61], v[24:25]
	;; [unrolled: 2-line block ×4, first 2 shown]
	v_fma_f64 v[15:16], v[70:71], v[60:61], v[15:16]
	s_wait_loadcnt 0xc
	v_fma_f64 v[21:22], v[78:79], v[82:83], v[22:23]
	v_fma_f64 v[13:14], v[80:81], v[82:83], v[13:14]
	s_wait_loadcnt 0xb
	v_fma_f64 v[23:24], v[86:87], v[82:83], v[24:25]
	;; [unrolled: 3-line block ×4, first 2 shown]
	v_fma_f64 v[15:16], v[96:97], v[82:83], v[15:16]
	v_fma_f64 v[21:22], -v[80:81], v[84:85], v[21:22]
	v_fma_f64 v[13:14], v[78:79], v[84:85], v[13:14]
	v_fma_f64 v[23:24], -v[88:89], v[84:85], v[23:24]
	;; [unrolled: 2-line block ×4, first 2 shown]
	v_fma_f64 v[15:16], v[94:95], v[84:85], v[15:16]
	s_wait_loadcnt 0x7
	v_fma_f64 v[21:22], v[74:75], v[102:103], v[21:22]
	v_fma_f64 v[13:14], v[76:77], v[102:103], v[13:14]
	s_wait_loadcnt 0x6
	v_fma_f64 v[23:24], v[106:107], v[102:103], v[23:24]
	;; [unrolled: 3-line block ×3, first 2 shown]
	v_fma_f64 v[19:20], v[112:113], v[102:103], v[19:20]
	v_fma_f64 v[11:12], v[114:115], v[102:103], v[11:12]
	;; [unrolled: 1-line block ×3, first 2 shown]
	v_fma_f64 v[21:22], -v[76:77], v[104:105], v[21:22]
	v_fma_f64 v[13:14], v[74:75], v[104:105], v[13:14]
	v_fma_f64 v[23:24], -v[108:109], v[104:105], v[23:24]
	v_fma_f64 v[25:26], v[106:107], v[104:105], v[25:26]
	;; [unrolled: 2-line block ×4, first 2 shown]
	s_wait_loadcnt 0x2
	v_fma_f64 v[21:22], v[118:119], v[38:39], v[21:22]
	v_fma_f64 v[13:14], v[120:121], v[38:39], v[13:14]
	s_wait_loadcnt 0x1
	v_fma_f64 v[31:32], v[42:43], v[38:39], v[23:24]
	v_fma_f64 v[26:27], v[44:45], v[38:39], v[25:26]
	;; [unrolled: 3-line block ×3, first 2 shown]
	v_fma_f64 v[11:12], v[98:99], v[38:39], v[11:12]
	v_fma_f64 v[36:37], v[100:101], v[38:39], v[15:16]
	v_fma_f64 v[22:23], -v[120:121], v[40:41], v[21:22]
	v_fma_f64 v[14:15], v[118:119], v[40:41], v[13:14]
	v_fma_f64 v[24:25], -v[44:45], v[40:41], v[31:32]
	;; [unrolled: 2-line block ×4, first 2 shown]
	v_fma_f64 v[16:17], v[98:99], v[40:41], v[36:37]
	s_wait_alu 0xfffe
	s_and_not1_b32 exec_lo, exec_lo, s2
	s_cbranch_execnz .LBB126_13
; %bb.14:
	s_or_b32 exec_lo, exec_lo, s2
.LBB126_15:
	s_wait_alu 0xfffe
	s_or_b32 exec_lo, exec_lo, s3
.LBB126_16:
	v_mbcnt_lo_u32_b32 v44, -1, 0
	s_delay_alu instid0(VALU_DEP_1) | instskip(NEXT) | instid1(VALU_DEP_1)
	v_xor_b32_e32 v10, 2, v44
	v_cmp_gt_i32_e32 vcc_lo, 32, v10
	s_wait_alu 0xfffd
	v_cndmask_b32_e32 v10, v44, v10, vcc_lo
	s_delay_alu instid0(VALU_DEP_1)
	v_lshlrev_b32_e32 v30, 2, v10
	ds_bpermute_b32 v10, v30, v22
	ds_bpermute_b32 v11, v30, v23
	;; [unrolled: 1-line block ×16, first 2 shown]
	s_wait_dscnt 0xe
	v_add_f64_e32 v[10:11], v[22:23], v[10:11]
	s_wait_dscnt 0xc
	v_add_f64_e32 v[30:31], v[14:15], v[28:29]
	s_wait_dscnt 0xa
	v_add_f64_e32 v[28:29], v[24:25], v[32:33]
	s_wait_dscnt 0x8
	v_add_f64_e32 v[22:23], v[26:27], v[34:35]
	s_wait_dscnt 0x6
	v_add_f64_e32 v[14:15], v[18:19], v[36:37]
	s_wait_dscnt 0x4
	v_add_f64_e32 v[20:21], v[20:21], v[38:39]
	s_wait_dscnt 0x2
	v_add_f64_e32 v[18:19], v[12:13], v[40:41]
	v_xor_b32_e32 v12, 1, v44
	s_wait_dscnt 0x0
	v_add_f64_e32 v[26:27], v[16:17], v[42:43]
	s_delay_alu instid0(VALU_DEP_2) | instskip(SKIP_3) | instid1(VALU_DEP_2)
	v_cmp_gt_i32_e32 vcc_lo, 32, v12
	s_wait_alu 0xfffd
	v_cndmask_b32_e32 v12, v44, v12, vcc_lo
	v_cmp_eq_u32_e32 vcc_lo, 3, v0
	v_lshlrev_b32_e32 v33, 2, v12
	ds_bpermute_b32 v40, v33, v10
	ds_bpermute_b32 v41, v33, v11
	;; [unrolled: 1-line block ×16, first 2 shown]
	s_and_b32 exec_lo, exec_lo, vcc_lo
	s_cbranch_execz .LBB126_21
; %bb.17:
	v_cmp_eq_f64_e32 vcc_lo, 0, v[5:6]
	v_cmp_eq_f64_e64 s2, 0, v[7:8]
	s_wait_dscnt 0xe
	v_add_f64_e32 v[10:11], v[10:11], v[40:41]
	s_wait_dscnt 0xc
	v_add_f64_e32 v[24:25], v[30:31], v[24:25]
	;; [unrolled: 2-line block ×8, first 2 shown]
	s_load_b64 s[0:1], s[0:1], 0x48
	s_and_b32 s2, vcc_lo, s2
	s_wait_alu 0xfffe
	s_and_saveexec_b32 s3, s2
	s_wait_alu 0xfffe
	s_xor_b32 s2, exec_lo, s3
	s_cbranch_execz .LBB126_19
; %bb.18:
	v_mul_f64_e64 v[5:6], v[24:25], -v[3:4]
	v_mul_f64_e32 v[7:8], v[1:2], v[24:25]
	v_mul_f64_e64 v[24:25], v[22:23], -v[3:4]
	v_mul_f64_e32 v[22:23], v[1:2], v[22:23]
	;; [unrolled: 2-line block ×4, first 2 shown]
	v_fma_f64 v[5:6], v[1:2], v[10:11], v[5:6]
	v_fma_f64 v[7:8], v[3:4], v[10:11], v[7:8]
	;; [unrolled: 1-line block ×8, first 2 shown]
	v_lshlrev_b32_e32 v14, 2, v9
                                        ; implicit-def: $vgpr9
                                        ; implicit-def: $vgpr24_vgpr25
                                        ; implicit-def: $vgpr22_vgpr23
                                        ; implicit-def: $vgpr16_vgpr17
	s_delay_alu instid0(VALU_DEP_1) | instskip(NEXT) | instid1(VALU_DEP_1)
	v_ashrrev_i32_e32 v15, 31, v14
	v_lshlrev_b64_e32 v[14:15], 4, v[14:15]
	s_wait_kmcnt 0x0
	s_delay_alu instid0(VALU_DEP_1) | instskip(SKIP_1) | instid1(VALU_DEP_2)
	v_add_co_u32 v14, vcc_lo, s0, v14
	s_wait_alu 0xfffd
	v_add_co_ci_u32_e64 v15, null, s1, v15, vcc_lo
	s_clause 0x3
	global_store_b128 v[14:15], v[5:8], off
	global_store_b128 v[14:15], v[10:13], off offset:16
	global_store_b128 v[14:15], v[18:21], off offset:32
	global_store_b128 v[14:15], v[0:3], off offset:48
                                        ; implicit-def: $vgpr10_vgpr11
                                        ; implicit-def: $vgpr12_vgpr13
                                        ; implicit-def: $vgpr14_vgpr15
                                        ; implicit-def: $vgpr20_vgpr21
                                        ; implicit-def: $vgpr18_vgpr19
                                        ; implicit-def: $vgpr7_vgpr8
                                        ; implicit-def: $vgpr3_vgpr4
.LBB126_19:
	s_wait_alu 0xfffe
	s_and_not1_saveexec_b32 s2, s2
	s_cbranch_execz .LBB126_21
; %bb.20:
	v_lshlrev_b32_e32 v26, 2, v9
	v_mul_f64_e64 v[44:45], v[24:25], -v[3:4]
	v_mul_f64_e32 v[24:25], v[1:2], v[24:25]
	v_mul_f64_e64 v[46:47], v[22:23], -v[3:4]
	v_mul_f64_e32 v[22:23], v[1:2], v[22:23]
	v_ashrrev_i32_e32 v27, 31, v26
	v_mul_f64_e64 v[48:49], v[20:21], -v[3:4]
	v_mul_f64_e32 v[20:21], v[1:2], v[20:21]
	v_mul_f64_e64 v[50:51], v[18:19], -v[3:4]
	v_mul_f64_e32 v[18:19], v[1:2], v[18:19]
	v_lshlrev_b64_e32 v[26:27], 4, v[26:27]
	s_wait_kmcnt 0x0
	s_delay_alu instid0(VALU_DEP_1) | instskip(SKIP_1) | instid1(VALU_DEP_2)
	v_add_co_u32 v42, vcc_lo, s0, v26
	s_wait_alu 0xfffd
	v_add_co_ci_u32_e64 v43, null, s1, v27, vcc_lo
	s_clause 0x3
	global_load_b128 v[26:29], v[42:43], off
	global_load_b128 v[30:33], v[42:43], off offset:16
	global_load_b128 v[34:37], v[42:43], off offset:32
	;; [unrolled: 1-line block ×3, first 2 shown]
	v_fma_f64 v[44:45], v[1:2], v[10:11], v[44:45]
	v_fma_f64 v[9:10], v[3:4], v[10:11], v[24:25]
	;; [unrolled: 1-line block ×8, first 2 shown]
	s_wait_loadcnt 0x3
	v_fma_f64 v[15:16], v[5:6], v[26:27], v[44:45]
	v_fma_f64 v[9:10], v[7:8], v[26:27], v[9:10]
	s_wait_loadcnt 0x2
	v_fma_f64 v[17:18], v[5:6], v[30:31], v[24:25]
	v_fma_f64 v[11:12], v[7:8], v[30:31], v[11:12]
	;; [unrolled: 3-line block ×4, first 2 shown]
	v_fma_f64 v[0:1], -v[7:8], v[28:29], v[15:16]
	v_fma_f64 v[2:3], v[5:6], v[28:29], v[9:10]
	v_fma_f64 v[9:10], -v[7:8], v[32:33], v[17:18]
	v_fma_f64 v[11:12], v[5:6], v[32:33], v[11:12]
	;; [unrolled: 2-line block ×4, first 2 shown]
	s_clause 0x3
	global_store_b128 v[42:43], v[0:3], off
	global_store_b128 v[42:43], v[9:12], off offset:16
	global_store_b128 v[42:43], v[13:16], off offset:32
	;; [unrolled: 1-line block ×3, first 2 shown]
.LBB126_21:
	s_nop 0
	s_sendmsg sendmsg(MSG_DEALLOC_VGPRS)
	s_endpgm
	.section	.rodata,"a",@progbits
	.p2align	6, 0x0
	.amdhsa_kernel _ZN9rocsparseL19gebsrmvn_4xn_kernelILj128ELj5ELj4E21rocsparse_complex_numIdEEEvi20rocsparse_direction_NS_24const_host_device_scalarIT2_EEPKiS8_PKS5_SA_S6_PS5_21rocsparse_index_base_b
		.amdhsa_group_segment_fixed_size 0
		.amdhsa_private_segment_fixed_size 0
		.amdhsa_kernarg_size 88
		.amdhsa_user_sgpr_count 2
		.amdhsa_user_sgpr_dispatch_ptr 0
		.amdhsa_user_sgpr_queue_ptr 0
		.amdhsa_user_sgpr_kernarg_segment_ptr 1
		.amdhsa_user_sgpr_dispatch_id 0
		.amdhsa_user_sgpr_private_segment_size 0
		.amdhsa_wavefront_size32 1
		.amdhsa_uses_dynamic_stack 0
		.amdhsa_enable_private_segment 0
		.amdhsa_system_sgpr_workgroup_id_x 1
		.amdhsa_system_sgpr_workgroup_id_y 0
		.amdhsa_system_sgpr_workgroup_id_z 0
		.amdhsa_system_sgpr_workgroup_info 0
		.amdhsa_system_vgpr_workitem_id 0
		.amdhsa_next_free_vgpr 134
		.amdhsa_next_free_sgpr 14
		.amdhsa_reserve_vcc 1
		.amdhsa_float_round_mode_32 0
		.amdhsa_float_round_mode_16_64 0
		.amdhsa_float_denorm_mode_32 3
		.amdhsa_float_denorm_mode_16_64 3
		.amdhsa_fp16_overflow 0
		.amdhsa_workgroup_processor_mode 1
		.amdhsa_memory_ordered 1
		.amdhsa_forward_progress 1
		.amdhsa_inst_pref_size 39
		.amdhsa_round_robin_scheduling 0
		.amdhsa_exception_fp_ieee_invalid_op 0
		.amdhsa_exception_fp_denorm_src 0
		.amdhsa_exception_fp_ieee_div_zero 0
		.amdhsa_exception_fp_ieee_overflow 0
		.amdhsa_exception_fp_ieee_underflow 0
		.amdhsa_exception_fp_ieee_inexact 0
		.amdhsa_exception_int_div_zero 0
	.end_amdhsa_kernel
	.section	.text._ZN9rocsparseL19gebsrmvn_4xn_kernelILj128ELj5ELj4E21rocsparse_complex_numIdEEEvi20rocsparse_direction_NS_24const_host_device_scalarIT2_EEPKiS8_PKS5_SA_S6_PS5_21rocsparse_index_base_b,"axG",@progbits,_ZN9rocsparseL19gebsrmvn_4xn_kernelILj128ELj5ELj4E21rocsparse_complex_numIdEEEvi20rocsparse_direction_NS_24const_host_device_scalarIT2_EEPKiS8_PKS5_SA_S6_PS5_21rocsparse_index_base_b,comdat
.Lfunc_end126:
	.size	_ZN9rocsparseL19gebsrmvn_4xn_kernelILj128ELj5ELj4E21rocsparse_complex_numIdEEEvi20rocsparse_direction_NS_24const_host_device_scalarIT2_EEPKiS8_PKS5_SA_S6_PS5_21rocsparse_index_base_b, .Lfunc_end126-_ZN9rocsparseL19gebsrmvn_4xn_kernelILj128ELj5ELj4E21rocsparse_complex_numIdEEEvi20rocsparse_direction_NS_24const_host_device_scalarIT2_EEPKiS8_PKS5_SA_S6_PS5_21rocsparse_index_base_b
                                        ; -- End function
	.set _ZN9rocsparseL19gebsrmvn_4xn_kernelILj128ELj5ELj4E21rocsparse_complex_numIdEEEvi20rocsparse_direction_NS_24const_host_device_scalarIT2_EEPKiS8_PKS5_SA_S6_PS5_21rocsparse_index_base_b.num_vgpr, 134
	.set _ZN9rocsparseL19gebsrmvn_4xn_kernelILj128ELj5ELj4E21rocsparse_complex_numIdEEEvi20rocsparse_direction_NS_24const_host_device_scalarIT2_EEPKiS8_PKS5_SA_S6_PS5_21rocsparse_index_base_b.num_agpr, 0
	.set _ZN9rocsparseL19gebsrmvn_4xn_kernelILj128ELj5ELj4E21rocsparse_complex_numIdEEEvi20rocsparse_direction_NS_24const_host_device_scalarIT2_EEPKiS8_PKS5_SA_S6_PS5_21rocsparse_index_base_b.numbered_sgpr, 14
	.set _ZN9rocsparseL19gebsrmvn_4xn_kernelILj128ELj5ELj4E21rocsparse_complex_numIdEEEvi20rocsparse_direction_NS_24const_host_device_scalarIT2_EEPKiS8_PKS5_SA_S6_PS5_21rocsparse_index_base_b.num_named_barrier, 0
	.set _ZN9rocsparseL19gebsrmvn_4xn_kernelILj128ELj5ELj4E21rocsparse_complex_numIdEEEvi20rocsparse_direction_NS_24const_host_device_scalarIT2_EEPKiS8_PKS5_SA_S6_PS5_21rocsparse_index_base_b.private_seg_size, 0
	.set _ZN9rocsparseL19gebsrmvn_4xn_kernelILj128ELj5ELj4E21rocsparse_complex_numIdEEEvi20rocsparse_direction_NS_24const_host_device_scalarIT2_EEPKiS8_PKS5_SA_S6_PS5_21rocsparse_index_base_b.uses_vcc, 1
	.set _ZN9rocsparseL19gebsrmvn_4xn_kernelILj128ELj5ELj4E21rocsparse_complex_numIdEEEvi20rocsparse_direction_NS_24const_host_device_scalarIT2_EEPKiS8_PKS5_SA_S6_PS5_21rocsparse_index_base_b.uses_flat_scratch, 0
	.set _ZN9rocsparseL19gebsrmvn_4xn_kernelILj128ELj5ELj4E21rocsparse_complex_numIdEEEvi20rocsparse_direction_NS_24const_host_device_scalarIT2_EEPKiS8_PKS5_SA_S6_PS5_21rocsparse_index_base_b.has_dyn_sized_stack, 0
	.set _ZN9rocsparseL19gebsrmvn_4xn_kernelILj128ELj5ELj4E21rocsparse_complex_numIdEEEvi20rocsparse_direction_NS_24const_host_device_scalarIT2_EEPKiS8_PKS5_SA_S6_PS5_21rocsparse_index_base_b.has_recursion, 0
	.set _ZN9rocsparseL19gebsrmvn_4xn_kernelILj128ELj5ELj4E21rocsparse_complex_numIdEEEvi20rocsparse_direction_NS_24const_host_device_scalarIT2_EEPKiS8_PKS5_SA_S6_PS5_21rocsparse_index_base_b.has_indirect_call, 0
	.section	.AMDGPU.csdata,"",@progbits
; Kernel info:
; codeLenInByte = 4992
; TotalNumSgprs: 16
; NumVgprs: 134
; ScratchSize: 0
; MemoryBound: 0
; FloatMode: 240
; IeeeMode: 1
; LDSByteSize: 0 bytes/workgroup (compile time only)
; SGPRBlocks: 0
; VGPRBlocks: 16
; NumSGPRsForWavesPerEU: 16
; NumVGPRsForWavesPerEU: 134
; Occupancy: 10
; WaveLimiterHint : 1
; COMPUTE_PGM_RSRC2:SCRATCH_EN: 0
; COMPUTE_PGM_RSRC2:USER_SGPR: 2
; COMPUTE_PGM_RSRC2:TRAP_HANDLER: 0
; COMPUTE_PGM_RSRC2:TGID_X_EN: 1
; COMPUTE_PGM_RSRC2:TGID_Y_EN: 0
; COMPUTE_PGM_RSRC2:TGID_Z_EN: 0
; COMPUTE_PGM_RSRC2:TIDIG_COMP_CNT: 0
	.section	.text._ZN9rocsparseL19gebsrmvn_4xn_kernelILj128ELj5ELj8E21rocsparse_complex_numIdEEEvi20rocsparse_direction_NS_24const_host_device_scalarIT2_EEPKiS8_PKS5_SA_S6_PS5_21rocsparse_index_base_b,"axG",@progbits,_ZN9rocsparseL19gebsrmvn_4xn_kernelILj128ELj5ELj8E21rocsparse_complex_numIdEEEvi20rocsparse_direction_NS_24const_host_device_scalarIT2_EEPKiS8_PKS5_SA_S6_PS5_21rocsparse_index_base_b,comdat
	.globl	_ZN9rocsparseL19gebsrmvn_4xn_kernelILj128ELj5ELj8E21rocsparse_complex_numIdEEEvi20rocsparse_direction_NS_24const_host_device_scalarIT2_EEPKiS8_PKS5_SA_S6_PS5_21rocsparse_index_base_b ; -- Begin function _ZN9rocsparseL19gebsrmvn_4xn_kernelILj128ELj5ELj8E21rocsparse_complex_numIdEEEvi20rocsparse_direction_NS_24const_host_device_scalarIT2_EEPKiS8_PKS5_SA_S6_PS5_21rocsparse_index_base_b
	.p2align	8
	.type	_ZN9rocsparseL19gebsrmvn_4xn_kernelILj128ELj5ELj8E21rocsparse_complex_numIdEEEvi20rocsparse_direction_NS_24const_host_device_scalarIT2_EEPKiS8_PKS5_SA_S6_PS5_21rocsparse_index_base_b,@function
_ZN9rocsparseL19gebsrmvn_4xn_kernelILj128ELj5ELj8E21rocsparse_complex_numIdEEEvi20rocsparse_direction_NS_24const_host_device_scalarIT2_EEPKiS8_PKS5_SA_S6_PS5_21rocsparse_index_base_b: ; @_ZN9rocsparseL19gebsrmvn_4xn_kernelILj128ELj5ELj8E21rocsparse_complex_numIdEEEvi20rocsparse_direction_NS_24const_host_device_scalarIT2_EEPKiS8_PKS5_SA_S6_PS5_21rocsparse_index_base_b
; %bb.0:
	s_clause 0x1
	s_load_b64 s[12:13], s[0:1], 0x50
	s_load_b64 s[2:3], s[0:1], 0x8
	s_add_nc_u64 s[4:5], s[0:1], 8
	s_load_b64 s[6:7], s[0:1], 0x38
	s_wait_kmcnt 0x0
	s_bitcmp1_b32 s13, 0
	s_cselect_b32 s2, s4, s2
	s_cselect_b32 s3, s5, s3
	s_delay_alu instid0(SALU_CYCLE_1)
	v_dual_mov_b32 v1, s2 :: v_dual_mov_b32 v2, s3
	s_add_nc_u64 s[2:3], s[0:1], 56
	s_wait_alu 0xfffe
	s_cselect_b32 s2, s2, s6
	s_cselect_b32 s3, s3, s7
	flat_load_b128 v[1:4], v[1:2]
	s_wait_alu 0xfffe
	v_dual_mov_b32 v5, s2 :: v_dual_mov_b32 v6, s3
	flat_load_b128 v[5:8], v[5:6]
	s_wait_loadcnt_dscnt 0x101
	v_cmp_eq_f64_e32 vcc_lo, 0, v[1:2]
	v_cmp_eq_f64_e64 s2, 0, v[3:4]
	s_and_b32 s4, vcc_lo, s2
	s_mov_b32 s2, -1
	s_and_saveexec_b32 s3, s4
	s_cbranch_execz .LBB127_2
; %bb.1:
	s_wait_loadcnt_dscnt 0x0
	v_cmp_neq_f64_e32 vcc_lo, 1.0, v[5:6]
	v_cmp_neq_f64_e64 s2, 0, v[7:8]
	s_wait_alu 0xfffe
	s_or_b32 s2, vcc_lo, s2
	s_wait_alu 0xfffe
	s_or_not1_b32 s2, s2, exec_lo
.LBB127_2:
	s_wait_alu 0xfffe
	s_or_b32 exec_lo, exec_lo, s3
	s_and_saveexec_b32 s3, s2
	s_cbranch_execz .LBB127_21
; %bb.3:
	s_load_b64 s[2:3], s[0:1], 0x0
	v_lshrrev_b32_e32 v9, 3, v0
	s_delay_alu instid0(VALU_DEP_1) | instskip(SKIP_1) | instid1(VALU_DEP_1)
	v_lshl_or_b32 v9, ttmp9, 4, v9
	s_wait_kmcnt 0x0
	v_cmp_gt_i32_e32 vcc_lo, s2, v9
	s_and_b32 exec_lo, exec_lo, vcc_lo
	s_cbranch_execz .LBB127_21
; %bb.4:
	s_load_b256 s[4:11], s[0:1], 0x18
	v_ashrrev_i32_e32 v10, 31, v9
	v_and_b32_e32 v0, 7, v0
	s_cmp_lg_u32 s3, 0
	s_delay_alu instid0(VALU_DEP_2) | instskip(SKIP_1) | instid1(VALU_DEP_1)
	v_lshlrev_b64_e32 v[10:11], 2, v[9:10]
	s_wait_kmcnt 0x0
	v_add_co_u32 v10, vcc_lo, s4, v10
	s_delay_alu instid0(VALU_DEP_1) | instskip(SKIP_4) | instid1(VALU_DEP_2)
	v_add_co_ci_u32_e64 v11, null, s5, v11, vcc_lo
	global_load_b64 v[10:11], v[10:11], off
	s_wait_loadcnt 0x0
	v_subrev_nc_u32_e32 v10, s12, v10
	v_subrev_nc_u32_e32 v33, s12, v11
	v_add_nc_u32_e32 v10, v10, v0
	s_delay_alu instid0(VALU_DEP_1)
	v_cmp_lt_i32_e64 s2, v10, v33
	s_cbranch_scc0 .LBB127_10
; %bb.5:
	v_mov_b32_e32 v14, 0
	v_mov_b32_e32 v12, 0
	;; [unrolled: 1-line block ×3, first 2 shown]
	v_dual_mov_b32 v24, 0 :: v_dual_mov_b32 v15, 0
	v_dual_mov_b32 v22, 0 :: v_dual_mov_b32 v13, 0
	;; [unrolled: 1-line block ×5, first 2 shown]
	v_mov_b32_e32 v17, 0
	v_mov_b32_e32 v21, 0
	;; [unrolled: 1-line block ×3, first 2 shown]
	s_and_saveexec_b32 s3, s2
	s_cbranch_execz .LBB127_9
; %bb.6:
	v_mad_co_u64_u32 v[28:29], null, v10, 20, 16
	v_mov_b32_e32 v14, 0
	v_mov_b32_e32 v22, 0
	;; [unrolled: 1-line block ×7, first 2 shown]
	v_dual_mov_b32 v26, 0 :: v_dual_mov_b32 v31, v10
	v_dual_mov_b32 v15, 0 :: v_dual_mov_b32 v30, 0
	v_mov_b32_e32 v23, 0
	v_mov_b32_e32 v13, 0
	;; [unrolled: 1-line block ×7, first 2 shown]
	s_mov_b32 s4, 0
.LBB127_7:                              ; =>This Inner Loop Header: Depth=1
	v_ashrrev_i32_e32 v32, 31, v31
	v_add_nc_u32_e32 v29, -16, v28
	v_mov_b32_e32 v131, v30
	s_delay_alu instid0(VALU_DEP_3) | instskip(SKIP_1) | instid1(VALU_DEP_2)
	v_lshlrev_b64_e32 v[34:35], 2, v[31:32]
	v_add_nc_u32_e32 v31, 8, v31
	v_add_co_u32 v34, vcc_lo, s6, v34
	s_wait_alu 0xfffd
	s_delay_alu instid0(VALU_DEP_3) | instskip(SKIP_3) | instid1(VALU_DEP_1)
	v_add_co_ci_u32_e64 v35, null, s7, v35, vcc_lo
	global_load_b32 v11, v[34:35], off
	v_lshlrev_b64_e32 v[34:35], 4, v[29:30]
	v_add_nc_u32_e32 v29, -12, v28
	v_lshlrev_b64_e32 v[54:55], 4, v[29:30]
	s_delay_alu instid0(VALU_DEP_3) | instskip(SKIP_1) | instid1(VALU_DEP_4)
	v_add_co_u32 v46, vcc_lo, s8, v34
	s_wait_alu 0xfffd
	v_add_co_ci_u32_e64 v47, null, s9, v35, vcc_lo
	s_clause 0x3
	global_load_b128 v[34:37], v[46:47], off offset:48
	global_load_b128 v[38:41], v[46:47], off offset:32
	;; [unrolled: 1-line block ×3, first 2 shown]
	global_load_b128 v[46:49], v[46:47], off
	s_wait_loadcnt 0x4
	v_subrev_nc_u32_e32 v11, s12, v11
	s_delay_alu instid0(VALU_DEP_1) | instskip(NEXT) | instid1(VALU_DEP_1)
	v_lshl_add_u32 v130, v11, 2, v11
	v_add_nc_u32_e32 v29, 1, v130
	s_delay_alu instid0(VALU_DEP_1) | instskip(SKIP_1) | instid1(VALU_DEP_1)
	v_lshlrev_b64_e32 v[70:71], 4, v[29:30]
	v_add_nc_u32_e32 v29, -8, v28
	v_lshlrev_b64_e32 v[74:75], 4, v[29:30]
	v_add_nc_u32_e32 v29, 2, v130
	s_delay_alu instid0(VALU_DEP_1) | instskip(SKIP_1) | instid1(VALU_DEP_1)
	v_lshlrev_b64_e32 v[76:77], 4, v[29:30]
	v_add_nc_u32_e32 v29, -4, v28
	v_lshlrev_b64_e32 v[94:95], 4, v[29:30]
	v_add_nc_u32_e32 v29, 3, v130
	s_delay_alu instid0(VALU_DEP_1) | instskip(SKIP_1) | instid1(VALU_DEP_1)
	v_lshlrev_b64_e32 v[96:97], 4, v[29:30]
	v_mov_b32_e32 v29, v30
	v_lshlrev_b64_e32 v[114:115], 4, v[28:29]
	v_add_nc_u32_e32 v28, 0xa0, v28
	v_lshlrev_b64_e32 v[50:51], 4, v[130:131]
	v_add_nc_u32_e32 v29, 4, v130
	s_delay_alu instid0(VALU_DEP_2) | instskip(SKIP_1) | instid1(VALU_DEP_3)
	v_add_co_u32 v50, vcc_lo, s10, v50
	s_wait_alu 0xfffd
	v_add_co_ci_u32_e64 v51, null, s11, v51, vcc_lo
	v_add_co_u32 v66, vcc_lo, s8, v54
	s_wait_alu 0xfffd
	v_add_co_ci_u32_e64 v67, null, s9, v55, vcc_lo
	global_load_b128 v[50:53], v[50:51], off
	v_add_co_u32 v70, vcc_lo, s10, v70
	s_wait_alu 0xfffd
	v_add_co_ci_u32_e64 v71, null, s11, v71, vcc_lo
	s_clause 0x3
	global_load_b128 v[54:57], v[66:67], off offset:48
	global_load_b128 v[58:61], v[66:67], off offset:32
	;; [unrolled: 1-line block ×3, first 2 shown]
	global_load_b128 v[66:69], v[66:67], off
	v_add_co_u32 v86, vcc_lo, s8, v74
	global_load_b128 v[70:73], v[70:71], off
	s_wait_alu 0xfffd
	v_add_co_ci_u32_e64 v87, null, s9, v75, vcc_lo
	v_add_co_u32 v90, vcc_lo, s10, v76
	s_wait_alu 0xfffd
	v_add_co_ci_u32_e64 v91, null, s11, v77, vcc_lo
	s_clause 0x3
	global_load_b128 v[74:77], v[86:87], off offset:48
	global_load_b128 v[78:81], v[86:87], off offset:32
	;; [unrolled: 1-line block ×3, first 2 shown]
	global_load_b128 v[86:89], v[86:87], off
	global_load_b128 v[90:93], v[90:91], off
	v_add_co_u32 v106, vcc_lo, s8, v94
	s_wait_alu 0xfffd
	v_add_co_ci_u32_e64 v107, null, s9, v95, vcc_lo
	v_add_co_u32 v110, vcc_lo, s10, v96
	s_wait_alu 0xfffd
	v_add_co_ci_u32_e64 v111, null, s11, v97, vcc_lo
	s_clause 0x3
	global_load_b128 v[94:97], v[106:107], off offset:48
	global_load_b128 v[98:101], v[106:107], off offset:32
	;; [unrolled: 1-line block ×3, first 2 shown]
	global_load_b128 v[106:109], v[106:107], off
	global_load_b128 v[110:113], v[110:111], off
	v_lshlrev_b64_e32 v[130:131], 4, v[29:30]
	v_add_co_u32 v126, vcc_lo, s8, v114
	s_wait_alu 0xfffd
	v_add_co_ci_u32_e64 v127, null, s9, v115, vcc_lo
	s_clause 0x3
	global_load_b128 v[114:117], v[126:127], off offset:48
	global_load_b128 v[118:121], v[126:127], off offset:32
	;; [unrolled: 1-line block ×3, first 2 shown]
	global_load_b128 v[126:129], v[126:127], off
	v_add_co_u32 v130, vcc_lo, s10, v130
	s_wait_alu 0xfffd
	v_add_co_ci_u32_e64 v131, null, s11, v131, vcc_lo
	v_cmp_ge_i32_e32 vcc_lo, v31, v33
	global_load_b128 v[130:133], v[130:131], off
	s_wait_alu 0xfffe
	s_or_b32 s4, vcc_lo, s4
	s_wait_loadcnt 0x14
	v_fma_f64 v[22:23], v[46:47], v[50:51], v[22:23]
	v_fma_f64 v[14:15], v[48:49], v[50:51], v[14:15]
	v_fma_f64 v[24:25], v[42:43], v[50:51], v[24:25]
	v_fma_f64 v[26:27], v[44:45], v[50:51], v[26:27]
	v_fma_f64 v[18:19], v[38:39], v[50:51], v[18:19]
	v_fma_f64 v[20:21], v[40:41], v[50:51], v[20:21]
	v_fma_f64 v[11:12], v[34:35], v[50:51], v[12:13]
	v_fma_f64 v[16:17], v[36:37], v[50:51], v[16:17]
	v_fma_f64 v[22:23], -v[48:49], v[52:53], v[22:23]
	v_fma_f64 v[13:14], v[46:47], v[52:53], v[14:15]
	v_fma_f64 v[24:25], -v[44:45], v[52:53], v[24:25]
	v_fma_f64 v[26:27], v[42:43], v[52:53], v[26:27]
	v_fma_f64 v[18:19], -v[40:41], v[52:53], v[18:19]
	v_fma_f64 v[20:21], v[38:39], v[52:53], v[20:21]
	v_fma_f64 v[11:12], -v[36:37], v[52:53], v[11:12]
	v_fma_f64 v[15:16], v[34:35], v[52:53], v[16:17]
	s_wait_loadcnt 0xf
	v_fma_f64 v[22:23], v[66:67], v[70:71], v[22:23]
	v_fma_f64 v[13:14], v[68:69], v[70:71], v[13:14]
	v_fma_f64 v[24:25], v[62:63], v[70:71], v[24:25]
	v_fma_f64 v[26:27], v[64:65], v[70:71], v[26:27]
	v_fma_f64 v[17:18], v[58:59], v[70:71], v[18:19]
	v_fma_f64 v[19:20], v[60:61], v[70:71], v[20:21]
	v_fma_f64 v[11:12], v[54:55], v[70:71], v[11:12]
	v_fma_f64 v[15:16], v[56:57], v[70:71], v[15:16]
	v_fma_f64 v[21:22], -v[68:69], v[72:73], v[22:23]
	v_fma_f64 v[13:14], v[66:67], v[72:73], v[13:14]
	v_fma_f64 v[23:24], -v[64:65], v[72:73], v[24:25]
	v_fma_f64 v[25:26], v[62:63], v[72:73], v[26:27]
	v_fma_f64 v[17:18], -v[60:61], v[72:73], v[17:18]
	v_fma_f64 v[19:20], v[58:59], v[72:73], v[19:20]
	v_fma_f64 v[11:12], -v[56:57], v[72:73], v[11:12]
	v_fma_f64 v[15:16], v[54:55], v[72:73], v[15:16]
	s_wait_loadcnt 0xa
	v_fma_f64 v[21:22], v[86:87], v[90:91], v[21:22]
	v_fma_f64 v[13:14], v[88:89], v[90:91], v[13:14]
	v_fma_f64 v[23:24], v[82:83], v[90:91], v[23:24]
	v_fma_f64 v[25:26], v[84:85], v[90:91], v[25:26]
	v_fma_f64 v[17:18], v[78:79], v[90:91], v[17:18]
	v_fma_f64 v[19:20], v[80:81], v[90:91], v[19:20]
	v_fma_f64 v[11:12], v[74:75], v[90:91], v[11:12]
	v_fma_f64 v[15:16], v[76:77], v[90:91], v[15:16]
	v_fma_f64 v[21:22], -v[88:89], v[92:93], v[21:22]
	v_fma_f64 v[13:14], v[86:87], v[92:93], v[13:14]
	v_fma_f64 v[23:24], -v[84:85], v[92:93], v[23:24]
	v_fma_f64 v[25:26], v[82:83], v[92:93], v[25:26]
	v_fma_f64 v[17:18], -v[80:81], v[92:93], v[17:18]
	v_fma_f64 v[19:20], v[78:79], v[92:93], v[19:20]
	v_fma_f64 v[11:12], -v[76:77], v[92:93], v[11:12]
	v_fma_f64 v[15:16], v[74:75], v[92:93], v[15:16]
	s_wait_loadcnt 0x5
	v_fma_f64 v[21:22], v[106:107], v[110:111], v[21:22]
	v_fma_f64 v[13:14], v[108:109], v[110:111], v[13:14]
	v_fma_f64 v[23:24], v[102:103], v[110:111], v[23:24]
	v_fma_f64 v[25:26], v[104:105], v[110:111], v[25:26]
	v_fma_f64 v[17:18], v[98:99], v[110:111], v[17:18]
	v_fma_f64 v[19:20], v[100:101], v[110:111], v[19:20]
	v_fma_f64 v[11:12], v[94:95], v[110:111], v[11:12]
	v_fma_f64 v[15:16], v[96:97], v[110:111], v[15:16]
	v_fma_f64 v[21:22], -v[108:109], v[112:113], v[21:22]
	v_fma_f64 v[13:14], v[106:107], v[112:113], v[13:14]
	v_fma_f64 v[23:24], -v[104:105], v[112:113], v[23:24]
	v_fma_f64 v[25:26], v[102:103], v[112:113], v[25:26]
	v_fma_f64 v[17:18], -v[100:101], v[112:113], v[17:18]
	v_fma_f64 v[19:20], v[98:99], v[112:113], v[19:20]
	v_fma_f64 v[11:12], -v[96:97], v[112:113], v[11:12]
	v_fma_f64 v[15:16], v[94:95], v[112:113], v[15:16]
	s_wait_loadcnt 0x0
	v_fma_f64 v[21:22], v[126:127], v[130:131], v[21:22]
	v_fma_f64 v[13:14], v[128:129], v[130:131], v[13:14]
	v_fma_f64 v[34:35], v[122:123], v[130:131], v[23:24]
	v_fma_f64 v[26:27], v[124:125], v[130:131], v[25:26]
	v_fma_f64 v[17:18], v[118:119], v[130:131], v[17:18]
	v_fma_f64 v[36:37], v[120:121], v[130:131], v[19:20]
	v_fma_f64 v[11:12], v[114:115], v[130:131], v[11:12]
	v_fma_f64 v[38:39], v[116:117], v[130:131], v[15:16]
	v_fma_f64 v[22:23], -v[128:129], v[132:133], v[21:22]
	v_fma_f64 v[14:15], v[126:127], v[132:133], v[13:14]
	v_fma_f64 v[24:25], -v[124:125], v[132:133], v[34:35]
	v_fma_f64 v[26:27], v[122:123], v[132:133], v[26:27]
	v_fma_f64 v[18:19], -v[120:121], v[132:133], v[17:18]
	v_fma_f64 v[20:21], v[118:119], v[132:133], v[36:37]
	v_fma_f64 v[12:13], -v[116:117], v[132:133], v[11:12]
	v_fma_f64 v[16:17], v[114:115], v[132:133], v[38:39]
	s_wait_alu 0xfffe
	s_and_not1_b32 exec_lo, exec_lo, s4
	s_cbranch_execnz .LBB127_7
; %bb.8:
	s_or_b32 exec_lo, exec_lo, s4
.LBB127_9:
	s_wait_alu 0xfffe
	s_or_b32 exec_lo, exec_lo, s3
	s_cbranch_execz .LBB127_11
	s_branch .LBB127_16
.LBB127_10:
                                        ; implicit-def: $vgpr14_vgpr15
                                        ; implicit-def: $vgpr22_vgpr23
                                        ; implicit-def: $vgpr12_vgpr13
                                        ; implicit-def: $vgpr16_vgpr17
                                        ; implicit-def: $vgpr18_vgpr19
                                        ; implicit-def: $vgpr20_vgpr21
                                        ; implicit-def: $vgpr24_vgpr25
                                        ; implicit-def: $vgpr26_vgpr27
.LBB127_11:
	v_mov_b32_e32 v14, 0
	v_mov_b32_e32 v12, 0
	;; [unrolled: 1-line block ×3, first 2 shown]
	v_dual_mov_b32 v24, 0 :: v_dual_mov_b32 v15, 0
	v_dual_mov_b32 v22, 0 :: v_dual_mov_b32 v13, 0
	v_dual_mov_b32 v16, 0 :: v_dual_mov_b32 v19, 0
	v_dual_mov_b32 v20, 0 :: v_dual_mov_b32 v25, 0
	v_dual_mov_b32 v26, 0 :: v_dual_mov_b32 v23, 0
	v_mov_b32_e32 v17, 0
	v_mov_b32_e32 v21, 0
	;; [unrolled: 1-line block ×3, first 2 shown]
	s_and_saveexec_b32 s3, s2
	s_cbranch_execz .LBB127_15
; %bb.12:
	v_mad_co_u64_u32 v[28:29], null, v10, 20, 19
	v_mov_b32_e32 v14, 0
	v_mov_b32_e32 v12, 0
	;; [unrolled: 1-line block ×3, first 2 shown]
	v_dual_mov_b32 v24, 0 :: v_dual_mov_b32 v15, 0
	v_dual_mov_b32 v22, 0 :: v_dual_mov_b32 v13, 0
	;; [unrolled: 1-line block ×5, first 2 shown]
	v_mov_b32_e32 v17, 0
	v_mov_b32_e32 v21, 0
	v_dual_mov_b32 v27, 0 :: v_dual_mov_b32 v30, 0
	s_mov_b32 s2, 0
.LBB127_13:                             ; =>This Inner Loop Header: Depth=1
	v_ashrrev_i32_e32 v11, 31, v10
	v_subrev_nc_u32_e32 v29, 19, v28
	s_delay_alu instid0(VALU_DEP_3) | instskip(SKIP_1) | instid1(VALU_DEP_4)
	v_dual_mov_b32 v111, v30 :: v_dual_add_nc_u32 v34, -9, v28
	v_dual_mov_b32 v35, v30 :: v_dual_add_nc_u32 v36, -4, v28
	v_lshlrev_b64_e32 v[31:32], 2, v[10:11]
	s_delay_alu instid0(VALU_DEP_4) | instskip(SKIP_1) | instid1(VALU_DEP_4)
	v_lshlrev_b64_e32 v[38:39], 4, v[29:30]
	v_dual_mov_b32 v37, v30 :: v_dual_add_nc_u32 v10, 8, v10
	v_lshlrev_b64_e32 v[34:35], 4, v[34:35]
	s_delay_alu instid0(VALU_DEP_4)
	v_add_co_u32 v31, vcc_lo, s6, v31
	s_wait_alu 0xfffd
	v_add_co_ci_u32_e64 v32, null, s7, v32, vcc_lo
	v_lshlrev_b64_e32 v[36:37], 4, v[36:37]
	v_add_co_u32 v78, vcc_lo, s8, v38
	global_load_b32 v11, v[31:32], off
	v_dual_mov_b32 v32, v30 :: v_dual_add_nc_u32 v31, -14, v28
	s_wait_alu 0xfffd
	v_add_co_ci_u32_e64 v79, null, s9, v39, vcc_lo
	s_delay_alu instid0(VALU_DEP_2) | instskip(NEXT) | instid1(VALU_DEP_1)
	v_lshlrev_b64_e32 v[31:32], 4, v[31:32]
	v_add_co_u32 v31, vcc_lo, s8, v31
	s_wait_alu 0xfffd
	s_delay_alu instid0(VALU_DEP_2)
	v_add_co_ci_u32_e64 v32, null, s9, v32, vcc_lo
	v_add_co_u32 v46, vcc_lo, s8, v34
	s_wait_alu 0xfffd
	v_add_co_ci_u32_e64 v47, null, s9, v35, vcc_lo
	v_add_co_u32 v50, vcc_lo, s8, v36
	s_wait_alu 0xfffd
	v_add_co_ci_u32_e64 v51, null, s9, v37, vcc_lo
	s_clause 0x4
	global_load_b128 v[34:37], v[78:79], off offset:16
	global_load_b128 v[38:41], v[78:79], off
	global_load_b128 v[42:45], v[31:32], off
	;; [unrolled: 1-line block ×4, first 2 shown]
	s_wait_loadcnt 0x5
	v_subrev_nc_u32_e32 v11, s12, v11
	s_delay_alu instid0(VALU_DEP_1) | instskip(NEXT) | instid1(VALU_DEP_1)
	v_lshl_add_u32 v110, v11, 2, v11
	v_lshlrev_b64_e32 v[31:32], 4, v[110:111]
	v_add_nc_u32_e32 v29, 1, v110
	s_delay_alu instid0(VALU_DEP_2) | instskip(SKIP_1) | instid1(VALU_DEP_3)
	v_add_co_u32 v31, vcc_lo, s10, v31
	s_wait_alu 0xfffd
	v_add_co_ci_u32_e64 v32, null, s11, v32, vcc_lo
	global_load_b128 v[54:57], v[31:32], off
	v_lshlrev_b64_e32 v[31:32], 4, v[29:30]
	v_add_nc_u32_e32 v29, -13, v28
	s_delay_alu instid0(VALU_DEP_1) | instskip(SKIP_1) | instid1(VALU_DEP_4)
	v_lshlrev_b64_e32 v[62:63], 4, v[29:30]
	v_add_nc_u32_e32 v29, -8, v28
	v_add_co_u32 v31, vcc_lo, s10, v31
	s_wait_alu 0xfffd
	v_add_co_ci_u32_e64 v32, null, s11, v32, vcc_lo
	s_delay_alu instid0(VALU_DEP_3)
	v_lshlrev_b64_e32 v[64:65], 4, v[29:30]
	v_add_nc_u32_e32 v29, -3, v28
	global_load_b128 v[58:61], v[31:32], off
	v_add_co_u32 v31, vcc_lo, s8, v62
	s_wait_alu 0xfffd
	v_add_co_ci_u32_e64 v32, null, s9, v63, vcc_lo
	v_lshlrev_b64_e32 v[62:63], 4, v[29:30]
	v_add_co_u32 v66, vcc_lo, s8, v64
	s_wait_alu 0xfffd
	v_add_co_ci_u32_e64 v67, null, s9, v65, vcc_lo
	v_mov_b32_e32 v29, v30
	s_delay_alu instid0(VALU_DEP_4)
	v_add_co_u32 v70, vcc_lo, s8, v62
	s_wait_alu 0xfffd
	v_add_co_ci_u32_e64 v71, null, s9, v63, vcc_lo
	s_clause 0x2
	global_load_b128 v[62:65], v[31:32], off
	global_load_b128 v[66:69], v[66:67], off
	;; [unrolled: 1-line block ×3, first 2 shown]
	v_lshlrev_b64_e32 v[31:32], 4, v[28:29]
	v_add_nc_u32_e32 v29, 2, v110
	s_clause 0x1
	global_load_b128 v[74:77], v[78:79], off offset:48
	global_load_b128 v[78:81], v[78:79], off offset:32
	v_lshlrev_b64_e32 v[82:83], 4, v[29:30]
	v_add_nc_u32_e32 v29, -12, v28
	v_add_co_u32 v31, vcc_lo, s8, v31
	s_wait_alu 0xfffd
	v_add_co_ci_u32_e64 v32, null, s9, v32, vcc_lo
	s_delay_alu instid0(VALU_DEP_3) | instskip(SKIP_4) | instid1(VALU_DEP_3)
	v_lshlrev_b64_e32 v[84:85], 4, v[29:30]
	v_add_nc_u32_e32 v29, -7, v28
	v_add_co_u32 v82, vcc_lo, s10, v82
	s_wait_alu 0xfffd
	v_add_co_ci_u32_e64 v83, null, s11, v83, vcc_lo
	v_lshlrev_b64_e32 v[86:87], 4, v[29:30]
	v_add_nc_u32_e32 v29, -2, v28
	v_add_co_u32 v88, vcc_lo, s8, v84
	s_wait_alu 0xfffd
	v_add_co_ci_u32_e64 v89, null, s9, v85, vcc_lo
	s_delay_alu instid0(VALU_DEP_3)
	v_lshlrev_b64_e32 v[90:91], 4, v[29:30]
	v_add_co_u32 v92, vcc_lo, s8, v86
	s_wait_alu 0xfffd
	v_add_co_ci_u32_e64 v93, null, s9, v87, vcc_lo
	global_load_b128 v[82:85], v[82:83], off
	v_add_co_u32 v94, vcc_lo, s8, v90
	s_wait_alu 0xfffd
	v_add_co_ci_u32_e64 v95, null, s9, v91, vcc_lo
	s_clause 0x3
	global_load_b128 v[86:89], v[88:89], off
	global_load_b128 v[90:93], v[92:93], off
	;; [unrolled: 1-line block ×4, first 2 shown]
	v_add_nc_u32_e32 v29, 3, v110
	s_delay_alu instid0(VALU_DEP_1) | instskip(SKIP_1) | instid1(VALU_DEP_1)
	v_lshlrev_b64_e32 v[31:32], 4, v[29:30]
	v_add_nc_u32_e32 v29, -11, v28
	v_lshlrev_b64_e32 v[106:107], 4, v[29:30]
	v_add_nc_u32_e32 v29, -6, v28
	s_delay_alu instid0(VALU_DEP_4) | instskip(SKIP_2) | instid1(VALU_DEP_3)
	v_add_co_u32 v31, vcc_lo, s10, v31
	s_wait_alu 0xfffd
	v_add_co_ci_u32_e64 v32, null, s11, v32, vcc_lo
	v_lshlrev_b64_e32 v[108:109], 4, v[29:30]
	v_add_nc_u32_e32 v29, -1, v28
	global_load_b128 v[102:105], v[31:32], off
	v_add_co_u32 v31, vcc_lo, s8, v106
	v_lshlrev_b64_e32 v[114:115], 4, v[29:30]
	s_wait_alu 0xfffd
	v_add_co_ci_u32_e64 v32, null, s9, v107, vcc_lo
	v_add_co_u32 v111, vcc_lo, s8, v108
	s_wait_alu 0xfffd
	v_add_co_ci_u32_e64 v112, null, s9, v109, vcc_lo
	v_add_co_u32 v114, vcc_lo, s8, v114
	v_add_nc_u32_e32 v29, -15, v28
	s_wait_alu 0xfffd
	v_add_co_ci_u32_e64 v115, null, s9, v115, vcc_lo
	s_clause 0x1
	global_load_b128 v[106:109], v[31:32], off
	global_load_b128 v[114:117], v[114:115], off
	v_lshlrev_b64_e32 v[31:32], 4, v[29:30]
	v_add_nc_u32_e32 v29, 4, v110
	global_load_b128 v[110:113], v[111:112], off
	v_lshlrev_b64_e32 v[118:119], 4, v[29:30]
	v_add_nc_u32_e32 v29, -10, v28
	v_add_co_u32 v31, vcc_lo, s8, v31
	s_wait_alu 0xfffd
	v_add_co_ci_u32_e64 v32, null, s9, v32, vcc_lo
	s_delay_alu instid0(VALU_DEP_3)
	v_lshlrev_b64_e32 v[122:123], 4, v[29:30]
	v_add_nc_u32_e32 v29, -5, v28
	v_add_co_u32 v124, vcc_lo, s10, v118
	s_wait_alu 0xfffd
	v_add_co_ci_u32_e64 v125, null, s11, v119, vcc_lo
	global_load_b128 v[118:121], v[31:32], off
	v_lshlrev_b64_e32 v[31:32], 4, v[29:30]
	v_add_co_u32 v122, vcc_lo, s8, v122
	s_wait_alu 0xfffd
	v_add_co_ci_u32_e64 v123, null, s9, v123, vcc_lo
	v_add_nc_u32_e32 v28, 0xa0, v28
	s_delay_alu instid0(VALU_DEP_4)
	v_add_co_u32 v31, vcc_lo, s8, v31
	s_wait_alu 0xfffd
	v_add_co_ci_u32_e64 v32, null, s9, v32, vcc_lo
	v_cmp_ge_i32_e32 vcc_lo, v10, v33
	s_wait_alu 0xfffe
	s_or_b32 s2, vcc_lo, s2
	s_wait_loadcnt 0x10
	v_fma_f64 v[22:23], v[38:39], v[54:55], v[22:23]
	v_fma_f64 v[14:15], v[40:41], v[54:55], v[14:15]
	;; [unrolled: 1-line block ×8, first 2 shown]
	v_fma_f64 v[22:23], -v[40:41], v[56:57], v[22:23]
	v_fma_f64 v[14:15], v[38:39], v[56:57], v[14:15]
	global_load_b128 v[38:41], v[124:125], off
	v_fma_f64 v[24:25], -v[44:45], v[56:57], v[24:25]
	v_fma_f64 v[26:27], v[42:43], v[56:57], v[26:27]
	s_clause 0x1
	global_load_b128 v[42:45], v[122:123], off
	global_load_b128 v[122:125], v[31:32], off
	v_fma_f64 v[18:19], -v[48:49], v[56:57], v[18:19]
	v_fma_f64 v[20:21], v[46:47], v[56:57], v[20:21]
	v_fma_f64 v[11:12], -v[52:53], v[56:57], v[11:12]
	v_fma_f64 v[16:17], v[50:51], v[56:57], v[16:17]
	s_wait_loadcnt 0x12
	v_fma_f64 v[22:23], v[34:35], v[58:59], v[22:23]
	v_fma_f64 v[13:14], v[36:37], v[58:59], v[14:15]
	s_wait_loadcnt 0x11
	v_fma_f64 v[24:25], v[62:63], v[58:59], v[24:25]
	;; [unrolled: 3-line block ×4, first 2 shown]
	v_fma_f64 v[15:16], v[72:73], v[58:59], v[16:17]
	v_fma_f64 v[22:23], -v[36:37], v[60:61], v[22:23]
	v_fma_f64 v[13:14], v[34:35], v[60:61], v[13:14]
	v_fma_f64 v[24:25], -v[64:65], v[60:61], v[24:25]
	;; [unrolled: 2-line block ×4, first 2 shown]
	v_fma_f64 v[15:16], v[70:71], v[60:61], v[15:16]
	s_wait_loadcnt 0xc
	v_fma_f64 v[21:22], v[78:79], v[82:83], v[22:23]
	v_fma_f64 v[13:14], v[80:81], v[82:83], v[13:14]
	s_wait_loadcnt 0xb
	v_fma_f64 v[23:24], v[86:87], v[82:83], v[24:25]
	;; [unrolled: 3-line block ×4, first 2 shown]
	v_fma_f64 v[15:16], v[96:97], v[82:83], v[15:16]
	v_fma_f64 v[21:22], -v[80:81], v[84:85], v[21:22]
	v_fma_f64 v[13:14], v[78:79], v[84:85], v[13:14]
	v_fma_f64 v[23:24], -v[88:89], v[84:85], v[23:24]
	;; [unrolled: 2-line block ×4, first 2 shown]
	v_fma_f64 v[15:16], v[94:95], v[84:85], v[15:16]
	s_wait_loadcnt 0x7
	v_fma_f64 v[21:22], v[74:75], v[102:103], v[21:22]
	v_fma_f64 v[13:14], v[76:77], v[102:103], v[13:14]
	s_wait_loadcnt 0x6
	v_fma_f64 v[23:24], v[106:107], v[102:103], v[23:24]
	v_fma_f64 v[25:26], v[108:109], v[102:103], v[25:26]
	s_wait_loadcnt 0x4
	v_fma_f64 v[17:18], v[110:111], v[102:103], v[17:18]
	v_fma_f64 v[19:20], v[112:113], v[102:103], v[19:20]
	v_fma_f64 v[11:12], v[114:115], v[102:103], v[11:12]
	;; [unrolled: 1-line block ×3, first 2 shown]
	v_fma_f64 v[21:22], -v[76:77], v[104:105], v[21:22]
	v_fma_f64 v[13:14], v[74:75], v[104:105], v[13:14]
	v_fma_f64 v[23:24], -v[108:109], v[104:105], v[23:24]
	v_fma_f64 v[25:26], v[106:107], v[104:105], v[25:26]
	v_fma_f64 v[17:18], -v[112:113], v[104:105], v[17:18]
	v_fma_f64 v[19:20], v[110:111], v[104:105], v[19:20]
	v_fma_f64 v[11:12], -v[116:117], v[104:105], v[11:12]
	v_fma_f64 v[15:16], v[114:115], v[104:105], v[15:16]
	s_wait_loadcnt 0x2
	v_fma_f64 v[21:22], v[118:119], v[38:39], v[21:22]
	v_fma_f64 v[13:14], v[120:121], v[38:39], v[13:14]
	s_wait_loadcnt 0x1
	v_fma_f64 v[31:32], v[42:43], v[38:39], v[23:24]
	v_fma_f64 v[26:27], v[44:45], v[38:39], v[25:26]
	;; [unrolled: 3-line block ×3, first 2 shown]
	v_fma_f64 v[11:12], v[98:99], v[38:39], v[11:12]
	v_fma_f64 v[36:37], v[100:101], v[38:39], v[15:16]
	v_fma_f64 v[22:23], -v[120:121], v[40:41], v[21:22]
	v_fma_f64 v[14:15], v[118:119], v[40:41], v[13:14]
	v_fma_f64 v[24:25], -v[44:45], v[40:41], v[31:32]
	;; [unrolled: 2-line block ×4, first 2 shown]
	v_fma_f64 v[16:17], v[98:99], v[40:41], v[36:37]
	s_wait_alu 0xfffe
	s_and_not1_b32 exec_lo, exec_lo, s2
	s_cbranch_execnz .LBB127_13
; %bb.14:
	s_or_b32 exec_lo, exec_lo, s2
.LBB127_15:
	s_wait_alu 0xfffe
	s_or_b32 exec_lo, exec_lo, s3
.LBB127_16:
	v_mbcnt_lo_u32_b32 v44, -1, 0
	s_delay_alu instid0(VALU_DEP_1) | instskip(NEXT) | instid1(VALU_DEP_1)
	v_xor_b32_e32 v10, 4, v44
	v_cmp_gt_i32_e32 vcc_lo, 32, v10
	s_wait_alu 0xfffd
	v_cndmask_b32_e32 v10, v44, v10, vcc_lo
	s_delay_alu instid0(VALU_DEP_1)
	v_lshlrev_b32_e32 v41, 2, v10
	ds_bpermute_b32 v28, v41, v14
	ds_bpermute_b32 v29, v41, v15
	;; [unrolled: 1-line block ×4, first 2 shown]
	s_wait_dscnt 0x2
	v_add_f64_e32 v[14:15], v[14:15], v[28:29]
	s_wait_dscnt 0x0
	v_add_f64_e32 v[28:29], v[12:13], v[38:39]
	v_xor_b32_e32 v12, 2, v44
	s_delay_alu instid0(VALU_DEP_1)
	v_cmp_gt_i32_e32 vcc_lo, 32, v12
	s_wait_alu 0xfffd
	v_cndmask_b32_e32 v12, v44, v12, vcc_lo
	ds_bpermute_b32 v10, v41, v22
	ds_bpermute_b32 v11, v41, v23
	;; [unrolled: 1-line block ×12, first 2 shown]
	s_wait_dscnt 0xa
	v_add_f64_e32 v[10:11], v[22:23], v[10:11]
	s_wait_dscnt 0x8
	v_add_f64_e32 v[22:23], v[24:25], v[30:31]
	v_lshlrev_b32_e32 v24, 2, v12
	s_wait_dscnt 0x6
	v_add_f64_e32 v[26:27], v[26:27], v[32:33]
	s_wait_dscnt 0x4
	v_add_f64_e32 v[18:19], v[18:19], v[34:35]
	;; [unrolled: 2-line block ×4, first 2 shown]
	ds_bpermute_b32 v16, v24, v14
	ds_bpermute_b32 v17, v24, v15
	;; [unrolled: 1-line block ×16, first 2 shown]
	s_wait_dscnt 0xe
	v_add_f64_e32 v[24:25], v[14:15], v[16:17]
	s_wait_dscnt 0xc
	v_add_f64_e32 v[16:17], v[28:29], v[40:41]
	;; [unrolled: 2-line block ×5, first 2 shown]
	v_xor_b32_e32 v26, 1, v44
	s_wait_dscnt 0x4
	v_add_f64_e32 v[14:15], v[18:19], v[36:37]
	s_wait_dscnt 0x2
	v_add_f64_e32 v[20:21], v[20:21], v[38:39]
	;; [unrolled: 2-line block ×3, first 2 shown]
	v_cmp_gt_i32_e32 vcc_lo, 32, v26
	s_wait_alu 0xfffd
	v_cndmask_b32_e32 v26, v44, v26, vcc_lo
	v_cmp_eq_u32_e32 vcc_lo, 7, v0
	s_delay_alu instid0(VALU_DEP_2)
	v_lshlrev_b32_e32 v29, 2, v26
	ds_bpermute_b32 v38, v29, v24
	ds_bpermute_b32 v39, v29, v25
	;; [unrolled: 1-line block ×16, first 2 shown]
	s_and_b32 exec_lo, exec_lo, vcc_lo
	s_cbranch_execz .LBB127_21
; %bb.17:
	v_cmp_eq_f64_e32 vcc_lo, 0, v[5:6]
	v_cmp_eq_f64_e64 s2, 0, v[7:8]
	s_wait_dscnt 0xa
	v_add_f64_e32 v[10:11], v[10:11], v[40:41]
	v_add_f64_e32 v[24:25], v[24:25], v[38:39]
	s_wait_dscnt 0x8
	v_add_f64_e32 v[12:13], v[12:13], v[36:37]
	s_wait_dscnt 0x6
	;; [unrolled: 2-line block ×4, first 2 shown]
	v_add_f64_e32 v[20:21], v[20:21], v[30:31]
	v_add_f64_e32 v[16:17], v[16:17], v[26:27]
	s_wait_dscnt 0x0
	v_add_f64_e32 v[18:19], v[18:19], v[28:29]
	s_load_b64 s[0:1], s[0:1], 0x48
	s_and_b32 s2, vcc_lo, s2
	s_wait_alu 0xfffe
	s_and_saveexec_b32 s3, s2
	s_wait_alu 0xfffe
	s_xor_b32 s2, exec_lo, s3
	s_cbranch_execz .LBB127_19
; %bb.18:
	v_mul_f64_e64 v[5:6], v[24:25], -v[3:4]
	v_mul_f64_e32 v[7:8], v[1:2], v[24:25]
	v_mul_f64_e64 v[24:25], v[22:23], -v[3:4]
	v_mul_f64_e32 v[22:23], v[1:2], v[22:23]
	;; [unrolled: 2-line block ×4, first 2 shown]
	v_fma_f64 v[5:6], v[1:2], v[10:11], v[5:6]
	v_fma_f64 v[7:8], v[3:4], v[10:11], v[7:8]
	;; [unrolled: 1-line block ×8, first 2 shown]
	v_lshlrev_b32_e32 v14, 2, v9
                                        ; implicit-def: $vgpr9
                                        ; implicit-def: $vgpr24_vgpr25
                                        ; implicit-def: $vgpr22_vgpr23
                                        ; implicit-def: $vgpr16_vgpr17
	s_delay_alu instid0(VALU_DEP_1) | instskip(NEXT) | instid1(VALU_DEP_1)
	v_ashrrev_i32_e32 v15, 31, v14
	v_lshlrev_b64_e32 v[14:15], 4, v[14:15]
	s_wait_kmcnt 0x0
	s_delay_alu instid0(VALU_DEP_1) | instskip(SKIP_1) | instid1(VALU_DEP_2)
	v_add_co_u32 v14, vcc_lo, s0, v14
	s_wait_alu 0xfffd
	v_add_co_ci_u32_e64 v15, null, s1, v15, vcc_lo
	s_clause 0x3
	global_store_b128 v[14:15], v[5:8], off
	global_store_b128 v[14:15], v[10:13], off offset:16
	global_store_b128 v[14:15], v[18:21], off offset:32
	global_store_b128 v[14:15], v[0:3], off offset:48
                                        ; implicit-def: $vgpr10_vgpr11
                                        ; implicit-def: $vgpr12_vgpr13
                                        ; implicit-def: $vgpr14_vgpr15
                                        ; implicit-def: $vgpr20_vgpr21
                                        ; implicit-def: $vgpr18_vgpr19
                                        ; implicit-def: $vgpr7_vgpr8
                                        ; implicit-def: $vgpr3_vgpr4
.LBB127_19:
	s_wait_alu 0xfffe
	s_and_not1_saveexec_b32 s2, s2
	s_cbranch_execz .LBB127_21
; %bb.20:
	v_lshlrev_b32_e32 v26, 2, v9
	v_mul_f64_e64 v[44:45], v[24:25], -v[3:4]
	v_mul_f64_e32 v[24:25], v[1:2], v[24:25]
	v_mul_f64_e64 v[46:47], v[22:23], -v[3:4]
	v_mul_f64_e32 v[22:23], v[1:2], v[22:23]
	v_ashrrev_i32_e32 v27, 31, v26
	v_mul_f64_e64 v[48:49], v[20:21], -v[3:4]
	v_mul_f64_e32 v[20:21], v[1:2], v[20:21]
	v_mul_f64_e64 v[50:51], v[18:19], -v[3:4]
	v_mul_f64_e32 v[18:19], v[1:2], v[18:19]
	v_lshlrev_b64_e32 v[26:27], 4, v[26:27]
	s_wait_kmcnt 0x0
	s_delay_alu instid0(VALU_DEP_1) | instskip(SKIP_1) | instid1(VALU_DEP_2)
	v_add_co_u32 v42, vcc_lo, s0, v26
	s_wait_alu 0xfffd
	v_add_co_ci_u32_e64 v43, null, s1, v27, vcc_lo
	s_clause 0x3
	global_load_b128 v[26:29], v[42:43], off
	global_load_b128 v[30:33], v[42:43], off offset:16
	global_load_b128 v[34:37], v[42:43], off offset:32
	;; [unrolled: 1-line block ×3, first 2 shown]
	v_fma_f64 v[44:45], v[1:2], v[10:11], v[44:45]
	v_fma_f64 v[9:10], v[3:4], v[10:11], v[24:25]
	;; [unrolled: 1-line block ×8, first 2 shown]
	s_wait_loadcnt 0x3
	v_fma_f64 v[15:16], v[5:6], v[26:27], v[44:45]
	v_fma_f64 v[9:10], v[7:8], v[26:27], v[9:10]
	s_wait_loadcnt 0x2
	v_fma_f64 v[17:18], v[5:6], v[30:31], v[24:25]
	v_fma_f64 v[11:12], v[7:8], v[30:31], v[11:12]
	;; [unrolled: 3-line block ×4, first 2 shown]
	v_fma_f64 v[0:1], -v[7:8], v[28:29], v[15:16]
	v_fma_f64 v[2:3], v[5:6], v[28:29], v[9:10]
	v_fma_f64 v[9:10], -v[7:8], v[32:33], v[17:18]
	v_fma_f64 v[11:12], v[5:6], v[32:33], v[11:12]
	;; [unrolled: 2-line block ×4, first 2 shown]
	s_clause 0x3
	global_store_b128 v[42:43], v[0:3], off
	global_store_b128 v[42:43], v[9:12], off offset:16
	global_store_b128 v[42:43], v[13:16], off offset:32
	;; [unrolled: 1-line block ×3, first 2 shown]
.LBB127_21:
	s_nop 0
	s_sendmsg sendmsg(MSG_DEALLOC_VGPRS)
	s_endpgm
	.section	.rodata,"a",@progbits
	.p2align	6, 0x0
	.amdhsa_kernel _ZN9rocsparseL19gebsrmvn_4xn_kernelILj128ELj5ELj8E21rocsparse_complex_numIdEEEvi20rocsparse_direction_NS_24const_host_device_scalarIT2_EEPKiS8_PKS5_SA_S6_PS5_21rocsparse_index_base_b
		.amdhsa_group_segment_fixed_size 0
		.amdhsa_private_segment_fixed_size 0
		.amdhsa_kernarg_size 88
		.amdhsa_user_sgpr_count 2
		.amdhsa_user_sgpr_dispatch_ptr 0
		.amdhsa_user_sgpr_queue_ptr 0
		.amdhsa_user_sgpr_kernarg_segment_ptr 1
		.amdhsa_user_sgpr_dispatch_id 0
		.amdhsa_user_sgpr_private_segment_size 0
		.amdhsa_wavefront_size32 1
		.amdhsa_uses_dynamic_stack 0
		.amdhsa_enable_private_segment 0
		.amdhsa_system_sgpr_workgroup_id_x 1
		.amdhsa_system_sgpr_workgroup_id_y 0
		.amdhsa_system_sgpr_workgroup_id_z 0
		.amdhsa_system_sgpr_workgroup_info 0
		.amdhsa_system_vgpr_workitem_id 0
		.amdhsa_next_free_vgpr 134
		.amdhsa_next_free_sgpr 14
		.amdhsa_reserve_vcc 1
		.amdhsa_float_round_mode_32 0
		.amdhsa_float_round_mode_16_64 0
		.amdhsa_float_denorm_mode_32 3
		.amdhsa_float_denorm_mode_16_64 3
		.amdhsa_fp16_overflow 0
		.amdhsa_workgroup_processor_mode 1
		.amdhsa_memory_ordered 1
		.amdhsa_forward_progress 1
		.amdhsa_inst_pref_size 41
		.amdhsa_round_robin_scheduling 0
		.amdhsa_exception_fp_ieee_invalid_op 0
		.amdhsa_exception_fp_denorm_src 0
		.amdhsa_exception_fp_ieee_div_zero 0
		.amdhsa_exception_fp_ieee_overflow 0
		.amdhsa_exception_fp_ieee_underflow 0
		.amdhsa_exception_fp_ieee_inexact 0
		.amdhsa_exception_int_div_zero 0
	.end_amdhsa_kernel
	.section	.text._ZN9rocsparseL19gebsrmvn_4xn_kernelILj128ELj5ELj8E21rocsparse_complex_numIdEEEvi20rocsparse_direction_NS_24const_host_device_scalarIT2_EEPKiS8_PKS5_SA_S6_PS5_21rocsparse_index_base_b,"axG",@progbits,_ZN9rocsparseL19gebsrmvn_4xn_kernelILj128ELj5ELj8E21rocsparse_complex_numIdEEEvi20rocsparse_direction_NS_24const_host_device_scalarIT2_EEPKiS8_PKS5_SA_S6_PS5_21rocsparse_index_base_b,comdat
.Lfunc_end127:
	.size	_ZN9rocsparseL19gebsrmvn_4xn_kernelILj128ELj5ELj8E21rocsparse_complex_numIdEEEvi20rocsparse_direction_NS_24const_host_device_scalarIT2_EEPKiS8_PKS5_SA_S6_PS5_21rocsparse_index_base_b, .Lfunc_end127-_ZN9rocsparseL19gebsrmvn_4xn_kernelILj128ELj5ELj8E21rocsparse_complex_numIdEEEvi20rocsparse_direction_NS_24const_host_device_scalarIT2_EEPKiS8_PKS5_SA_S6_PS5_21rocsparse_index_base_b
                                        ; -- End function
	.set _ZN9rocsparseL19gebsrmvn_4xn_kernelILj128ELj5ELj8E21rocsparse_complex_numIdEEEvi20rocsparse_direction_NS_24const_host_device_scalarIT2_EEPKiS8_PKS5_SA_S6_PS5_21rocsparse_index_base_b.num_vgpr, 134
	.set _ZN9rocsparseL19gebsrmvn_4xn_kernelILj128ELj5ELj8E21rocsparse_complex_numIdEEEvi20rocsparse_direction_NS_24const_host_device_scalarIT2_EEPKiS8_PKS5_SA_S6_PS5_21rocsparse_index_base_b.num_agpr, 0
	.set _ZN9rocsparseL19gebsrmvn_4xn_kernelILj128ELj5ELj8E21rocsparse_complex_numIdEEEvi20rocsparse_direction_NS_24const_host_device_scalarIT2_EEPKiS8_PKS5_SA_S6_PS5_21rocsparse_index_base_b.numbered_sgpr, 14
	.set _ZN9rocsparseL19gebsrmvn_4xn_kernelILj128ELj5ELj8E21rocsparse_complex_numIdEEEvi20rocsparse_direction_NS_24const_host_device_scalarIT2_EEPKiS8_PKS5_SA_S6_PS5_21rocsparse_index_base_b.num_named_barrier, 0
	.set _ZN9rocsparseL19gebsrmvn_4xn_kernelILj128ELj5ELj8E21rocsparse_complex_numIdEEEvi20rocsparse_direction_NS_24const_host_device_scalarIT2_EEPKiS8_PKS5_SA_S6_PS5_21rocsparse_index_base_b.private_seg_size, 0
	.set _ZN9rocsparseL19gebsrmvn_4xn_kernelILj128ELj5ELj8E21rocsparse_complex_numIdEEEvi20rocsparse_direction_NS_24const_host_device_scalarIT2_EEPKiS8_PKS5_SA_S6_PS5_21rocsparse_index_base_b.uses_vcc, 1
	.set _ZN9rocsparseL19gebsrmvn_4xn_kernelILj128ELj5ELj8E21rocsparse_complex_numIdEEEvi20rocsparse_direction_NS_24const_host_device_scalarIT2_EEPKiS8_PKS5_SA_S6_PS5_21rocsparse_index_base_b.uses_flat_scratch, 0
	.set _ZN9rocsparseL19gebsrmvn_4xn_kernelILj128ELj5ELj8E21rocsparse_complex_numIdEEEvi20rocsparse_direction_NS_24const_host_device_scalarIT2_EEPKiS8_PKS5_SA_S6_PS5_21rocsparse_index_base_b.has_dyn_sized_stack, 0
	.set _ZN9rocsparseL19gebsrmvn_4xn_kernelILj128ELj5ELj8E21rocsparse_complex_numIdEEEvi20rocsparse_direction_NS_24const_host_device_scalarIT2_EEPKiS8_PKS5_SA_S6_PS5_21rocsparse_index_base_b.has_recursion, 0
	.set _ZN9rocsparseL19gebsrmvn_4xn_kernelILj128ELj5ELj8E21rocsparse_complex_numIdEEEvi20rocsparse_direction_NS_24const_host_device_scalarIT2_EEPKiS8_PKS5_SA_S6_PS5_21rocsparse_index_base_b.has_indirect_call, 0
	.section	.AMDGPU.csdata,"",@progbits
; Kernel info:
; codeLenInByte = 5200
; TotalNumSgprs: 16
; NumVgprs: 134
; ScratchSize: 0
; MemoryBound: 0
; FloatMode: 240
; IeeeMode: 1
; LDSByteSize: 0 bytes/workgroup (compile time only)
; SGPRBlocks: 0
; VGPRBlocks: 16
; NumSGPRsForWavesPerEU: 16
; NumVGPRsForWavesPerEU: 134
; Occupancy: 10
; WaveLimiterHint : 1
; COMPUTE_PGM_RSRC2:SCRATCH_EN: 0
; COMPUTE_PGM_RSRC2:USER_SGPR: 2
; COMPUTE_PGM_RSRC2:TRAP_HANDLER: 0
; COMPUTE_PGM_RSRC2:TGID_X_EN: 1
; COMPUTE_PGM_RSRC2:TGID_Y_EN: 0
; COMPUTE_PGM_RSRC2:TGID_Z_EN: 0
; COMPUTE_PGM_RSRC2:TIDIG_COMP_CNT: 0
	.section	.text._ZN9rocsparseL19gebsrmvn_4xn_kernelILj128ELj5ELj16E21rocsparse_complex_numIdEEEvi20rocsparse_direction_NS_24const_host_device_scalarIT2_EEPKiS8_PKS5_SA_S6_PS5_21rocsparse_index_base_b,"axG",@progbits,_ZN9rocsparseL19gebsrmvn_4xn_kernelILj128ELj5ELj16E21rocsparse_complex_numIdEEEvi20rocsparse_direction_NS_24const_host_device_scalarIT2_EEPKiS8_PKS5_SA_S6_PS5_21rocsparse_index_base_b,comdat
	.globl	_ZN9rocsparseL19gebsrmvn_4xn_kernelILj128ELj5ELj16E21rocsparse_complex_numIdEEEvi20rocsparse_direction_NS_24const_host_device_scalarIT2_EEPKiS8_PKS5_SA_S6_PS5_21rocsparse_index_base_b ; -- Begin function _ZN9rocsparseL19gebsrmvn_4xn_kernelILj128ELj5ELj16E21rocsparse_complex_numIdEEEvi20rocsparse_direction_NS_24const_host_device_scalarIT2_EEPKiS8_PKS5_SA_S6_PS5_21rocsparse_index_base_b
	.p2align	8
	.type	_ZN9rocsparseL19gebsrmvn_4xn_kernelILj128ELj5ELj16E21rocsparse_complex_numIdEEEvi20rocsparse_direction_NS_24const_host_device_scalarIT2_EEPKiS8_PKS5_SA_S6_PS5_21rocsparse_index_base_b,@function
_ZN9rocsparseL19gebsrmvn_4xn_kernelILj128ELj5ELj16E21rocsparse_complex_numIdEEEvi20rocsparse_direction_NS_24const_host_device_scalarIT2_EEPKiS8_PKS5_SA_S6_PS5_21rocsparse_index_base_b: ; @_ZN9rocsparseL19gebsrmvn_4xn_kernelILj128ELj5ELj16E21rocsparse_complex_numIdEEEvi20rocsparse_direction_NS_24const_host_device_scalarIT2_EEPKiS8_PKS5_SA_S6_PS5_21rocsparse_index_base_b
; %bb.0:
	s_clause 0x1
	s_load_b64 s[12:13], s[0:1], 0x50
	s_load_b64 s[2:3], s[0:1], 0x8
	s_add_nc_u64 s[4:5], s[0:1], 8
	s_load_b64 s[6:7], s[0:1], 0x38
	s_wait_kmcnt 0x0
	s_bitcmp1_b32 s13, 0
	s_cselect_b32 s2, s4, s2
	s_cselect_b32 s3, s5, s3
	s_delay_alu instid0(SALU_CYCLE_1)
	v_dual_mov_b32 v1, s2 :: v_dual_mov_b32 v2, s3
	s_add_nc_u64 s[2:3], s[0:1], 56
	s_wait_alu 0xfffe
	s_cselect_b32 s2, s2, s6
	s_cselect_b32 s3, s3, s7
	flat_load_b128 v[1:4], v[1:2]
	s_wait_alu 0xfffe
	v_dual_mov_b32 v5, s2 :: v_dual_mov_b32 v6, s3
	flat_load_b128 v[5:8], v[5:6]
	s_wait_loadcnt_dscnt 0x101
	v_cmp_eq_f64_e32 vcc_lo, 0, v[1:2]
	v_cmp_eq_f64_e64 s2, 0, v[3:4]
	s_and_b32 s4, vcc_lo, s2
	s_mov_b32 s2, -1
	s_and_saveexec_b32 s3, s4
	s_cbranch_execz .LBB128_2
; %bb.1:
	s_wait_loadcnt_dscnt 0x0
	v_cmp_neq_f64_e32 vcc_lo, 1.0, v[5:6]
	v_cmp_neq_f64_e64 s2, 0, v[7:8]
	s_wait_alu 0xfffe
	s_or_b32 s2, vcc_lo, s2
	s_wait_alu 0xfffe
	s_or_not1_b32 s2, s2, exec_lo
.LBB128_2:
	s_wait_alu 0xfffe
	s_or_b32 exec_lo, exec_lo, s3
	s_and_saveexec_b32 s3, s2
	s_cbranch_execz .LBB128_21
; %bb.3:
	s_load_b64 s[2:3], s[0:1], 0x0
	v_lshrrev_b32_e32 v9, 4, v0
	s_delay_alu instid0(VALU_DEP_1) | instskip(SKIP_1) | instid1(VALU_DEP_1)
	v_lshl_or_b32 v9, ttmp9, 3, v9
	s_wait_kmcnt 0x0
	v_cmp_gt_i32_e32 vcc_lo, s2, v9
	s_and_b32 exec_lo, exec_lo, vcc_lo
	s_cbranch_execz .LBB128_21
; %bb.4:
	s_load_b256 s[4:11], s[0:1], 0x18
	v_ashrrev_i32_e32 v10, 31, v9
	v_and_b32_e32 v0, 15, v0
	s_cmp_lg_u32 s3, 0
	s_delay_alu instid0(VALU_DEP_2) | instskip(SKIP_1) | instid1(VALU_DEP_1)
	v_lshlrev_b64_e32 v[10:11], 2, v[9:10]
	s_wait_kmcnt 0x0
	v_add_co_u32 v10, vcc_lo, s4, v10
	s_delay_alu instid0(VALU_DEP_1) | instskip(SKIP_4) | instid1(VALU_DEP_2)
	v_add_co_ci_u32_e64 v11, null, s5, v11, vcc_lo
	global_load_b64 v[10:11], v[10:11], off
	s_wait_loadcnt 0x0
	v_subrev_nc_u32_e32 v10, s12, v10
	v_subrev_nc_u32_e32 v33, s12, v11
	v_add_nc_u32_e32 v10, v10, v0
	s_delay_alu instid0(VALU_DEP_1)
	v_cmp_lt_i32_e64 s2, v10, v33
	s_cbranch_scc0 .LBB128_10
; %bb.5:
	v_mov_b32_e32 v14, 0
	v_mov_b32_e32 v12, 0
	;; [unrolled: 1-line block ×3, first 2 shown]
	v_dual_mov_b32 v24, 0 :: v_dual_mov_b32 v15, 0
	v_dual_mov_b32 v22, 0 :: v_dual_mov_b32 v13, 0
	;; [unrolled: 1-line block ×5, first 2 shown]
	v_mov_b32_e32 v17, 0
	v_mov_b32_e32 v21, 0
	v_mov_b32_e32 v27, 0
	s_and_saveexec_b32 s3, s2
	s_cbranch_execz .LBB128_9
; %bb.6:
	v_mad_co_u64_u32 v[28:29], null, v10, 20, 16
	v_mov_b32_e32 v14, 0
	v_mov_b32_e32 v22, 0
	v_mov_b32_e32 v12, 0
	v_mov_b32_e32 v16, 0
	v_mov_b32_e32 v18, 0
	v_mov_b32_e32 v20, 0
	v_mov_b32_e32 v24, 0
	v_dual_mov_b32 v26, 0 :: v_dual_mov_b32 v31, v10
	v_dual_mov_b32 v15, 0 :: v_dual_mov_b32 v30, 0
	v_mov_b32_e32 v23, 0
	v_mov_b32_e32 v13, 0
	;; [unrolled: 1-line block ×7, first 2 shown]
	s_mov_b32 s4, 0
.LBB128_7:                              ; =>This Inner Loop Header: Depth=1
	v_ashrrev_i32_e32 v32, 31, v31
	v_add_nc_u32_e32 v29, -16, v28
	v_mov_b32_e32 v131, v30
	s_delay_alu instid0(VALU_DEP_3) | instskip(SKIP_1) | instid1(VALU_DEP_2)
	v_lshlrev_b64_e32 v[34:35], 2, v[31:32]
	v_add_nc_u32_e32 v31, 16, v31
	v_add_co_u32 v34, vcc_lo, s6, v34
	s_wait_alu 0xfffd
	s_delay_alu instid0(VALU_DEP_3) | instskip(SKIP_3) | instid1(VALU_DEP_1)
	v_add_co_ci_u32_e64 v35, null, s7, v35, vcc_lo
	global_load_b32 v11, v[34:35], off
	v_lshlrev_b64_e32 v[34:35], 4, v[29:30]
	v_add_nc_u32_e32 v29, -12, v28
	v_lshlrev_b64_e32 v[54:55], 4, v[29:30]
	s_delay_alu instid0(VALU_DEP_3) | instskip(SKIP_1) | instid1(VALU_DEP_4)
	v_add_co_u32 v46, vcc_lo, s8, v34
	s_wait_alu 0xfffd
	v_add_co_ci_u32_e64 v47, null, s9, v35, vcc_lo
	s_clause 0x3
	global_load_b128 v[34:37], v[46:47], off offset:48
	global_load_b128 v[38:41], v[46:47], off offset:32
	;; [unrolled: 1-line block ×3, first 2 shown]
	global_load_b128 v[46:49], v[46:47], off
	s_wait_loadcnt 0x4
	v_subrev_nc_u32_e32 v11, s12, v11
	s_delay_alu instid0(VALU_DEP_1) | instskip(NEXT) | instid1(VALU_DEP_1)
	v_lshl_add_u32 v130, v11, 2, v11
	v_add_nc_u32_e32 v29, 1, v130
	s_delay_alu instid0(VALU_DEP_1) | instskip(SKIP_1) | instid1(VALU_DEP_1)
	v_lshlrev_b64_e32 v[70:71], 4, v[29:30]
	v_add_nc_u32_e32 v29, -8, v28
	v_lshlrev_b64_e32 v[74:75], 4, v[29:30]
	v_add_nc_u32_e32 v29, 2, v130
	s_delay_alu instid0(VALU_DEP_1) | instskip(SKIP_1) | instid1(VALU_DEP_1)
	v_lshlrev_b64_e32 v[76:77], 4, v[29:30]
	v_add_nc_u32_e32 v29, -4, v28
	v_lshlrev_b64_e32 v[94:95], 4, v[29:30]
	v_add_nc_u32_e32 v29, 3, v130
	s_delay_alu instid0(VALU_DEP_1) | instskip(SKIP_1) | instid1(VALU_DEP_1)
	v_lshlrev_b64_e32 v[96:97], 4, v[29:30]
	v_mov_b32_e32 v29, v30
	v_lshlrev_b64_e32 v[114:115], 4, v[28:29]
	v_add_nc_u32_e32 v28, 0x140, v28
	v_lshlrev_b64_e32 v[50:51], 4, v[130:131]
	v_add_nc_u32_e32 v29, 4, v130
	s_delay_alu instid0(VALU_DEP_2) | instskip(SKIP_1) | instid1(VALU_DEP_3)
	v_add_co_u32 v50, vcc_lo, s10, v50
	s_wait_alu 0xfffd
	v_add_co_ci_u32_e64 v51, null, s11, v51, vcc_lo
	v_add_co_u32 v66, vcc_lo, s8, v54
	s_wait_alu 0xfffd
	v_add_co_ci_u32_e64 v67, null, s9, v55, vcc_lo
	global_load_b128 v[50:53], v[50:51], off
	v_add_co_u32 v70, vcc_lo, s10, v70
	s_wait_alu 0xfffd
	v_add_co_ci_u32_e64 v71, null, s11, v71, vcc_lo
	s_clause 0x3
	global_load_b128 v[54:57], v[66:67], off offset:48
	global_load_b128 v[58:61], v[66:67], off offset:32
	;; [unrolled: 1-line block ×3, first 2 shown]
	global_load_b128 v[66:69], v[66:67], off
	v_add_co_u32 v86, vcc_lo, s8, v74
	global_load_b128 v[70:73], v[70:71], off
	s_wait_alu 0xfffd
	v_add_co_ci_u32_e64 v87, null, s9, v75, vcc_lo
	v_add_co_u32 v90, vcc_lo, s10, v76
	s_wait_alu 0xfffd
	v_add_co_ci_u32_e64 v91, null, s11, v77, vcc_lo
	s_clause 0x3
	global_load_b128 v[74:77], v[86:87], off offset:48
	global_load_b128 v[78:81], v[86:87], off offset:32
	;; [unrolled: 1-line block ×3, first 2 shown]
	global_load_b128 v[86:89], v[86:87], off
	global_load_b128 v[90:93], v[90:91], off
	v_add_co_u32 v106, vcc_lo, s8, v94
	s_wait_alu 0xfffd
	v_add_co_ci_u32_e64 v107, null, s9, v95, vcc_lo
	v_add_co_u32 v110, vcc_lo, s10, v96
	s_wait_alu 0xfffd
	v_add_co_ci_u32_e64 v111, null, s11, v97, vcc_lo
	s_clause 0x3
	global_load_b128 v[94:97], v[106:107], off offset:48
	global_load_b128 v[98:101], v[106:107], off offset:32
	;; [unrolled: 1-line block ×3, first 2 shown]
	global_load_b128 v[106:109], v[106:107], off
	global_load_b128 v[110:113], v[110:111], off
	v_lshlrev_b64_e32 v[130:131], 4, v[29:30]
	v_add_co_u32 v126, vcc_lo, s8, v114
	s_wait_alu 0xfffd
	v_add_co_ci_u32_e64 v127, null, s9, v115, vcc_lo
	s_clause 0x3
	global_load_b128 v[114:117], v[126:127], off offset:48
	global_load_b128 v[118:121], v[126:127], off offset:32
	;; [unrolled: 1-line block ×3, first 2 shown]
	global_load_b128 v[126:129], v[126:127], off
	v_add_co_u32 v130, vcc_lo, s10, v130
	s_wait_alu 0xfffd
	v_add_co_ci_u32_e64 v131, null, s11, v131, vcc_lo
	v_cmp_ge_i32_e32 vcc_lo, v31, v33
	global_load_b128 v[130:133], v[130:131], off
	s_wait_alu 0xfffe
	s_or_b32 s4, vcc_lo, s4
	s_wait_loadcnt 0x14
	v_fma_f64 v[22:23], v[46:47], v[50:51], v[22:23]
	v_fma_f64 v[14:15], v[48:49], v[50:51], v[14:15]
	v_fma_f64 v[24:25], v[42:43], v[50:51], v[24:25]
	v_fma_f64 v[26:27], v[44:45], v[50:51], v[26:27]
	v_fma_f64 v[18:19], v[38:39], v[50:51], v[18:19]
	v_fma_f64 v[20:21], v[40:41], v[50:51], v[20:21]
	v_fma_f64 v[11:12], v[34:35], v[50:51], v[12:13]
	v_fma_f64 v[16:17], v[36:37], v[50:51], v[16:17]
	v_fma_f64 v[22:23], -v[48:49], v[52:53], v[22:23]
	v_fma_f64 v[13:14], v[46:47], v[52:53], v[14:15]
	v_fma_f64 v[24:25], -v[44:45], v[52:53], v[24:25]
	v_fma_f64 v[26:27], v[42:43], v[52:53], v[26:27]
	v_fma_f64 v[18:19], -v[40:41], v[52:53], v[18:19]
	v_fma_f64 v[20:21], v[38:39], v[52:53], v[20:21]
	v_fma_f64 v[11:12], -v[36:37], v[52:53], v[11:12]
	v_fma_f64 v[15:16], v[34:35], v[52:53], v[16:17]
	s_wait_loadcnt 0xf
	v_fma_f64 v[22:23], v[66:67], v[70:71], v[22:23]
	v_fma_f64 v[13:14], v[68:69], v[70:71], v[13:14]
	v_fma_f64 v[24:25], v[62:63], v[70:71], v[24:25]
	v_fma_f64 v[26:27], v[64:65], v[70:71], v[26:27]
	v_fma_f64 v[17:18], v[58:59], v[70:71], v[18:19]
	v_fma_f64 v[19:20], v[60:61], v[70:71], v[20:21]
	v_fma_f64 v[11:12], v[54:55], v[70:71], v[11:12]
	v_fma_f64 v[15:16], v[56:57], v[70:71], v[15:16]
	v_fma_f64 v[21:22], -v[68:69], v[72:73], v[22:23]
	v_fma_f64 v[13:14], v[66:67], v[72:73], v[13:14]
	v_fma_f64 v[23:24], -v[64:65], v[72:73], v[24:25]
	v_fma_f64 v[25:26], v[62:63], v[72:73], v[26:27]
	v_fma_f64 v[17:18], -v[60:61], v[72:73], v[17:18]
	v_fma_f64 v[19:20], v[58:59], v[72:73], v[19:20]
	v_fma_f64 v[11:12], -v[56:57], v[72:73], v[11:12]
	v_fma_f64 v[15:16], v[54:55], v[72:73], v[15:16]
	;; [unrolled: 17-line block ×5, first 2 shown]
	s_wait_alu 0xfffe
	s_and_not1_b32 exec_lo, exec_lo, s4
	s_cbranch_execnz .LBB128_7
; %bb.8:
	s_or_b32 exec_lo, exec_lo, s4
.LBB128_9:
	s_wait_alu 0xfffe
	s_or_b32 exec_lo, exec_lo, s3
	s_cbranch_execz .LBB128_11
	s_branch .LBB128_16
.LBB128_10:
                                        ; implicit-def: $vgpr14_vgpr15
                                        ; implicit-def: $vgpr22_vgpr23
                                        ; implicit-def: $vgpr12_vgpr13
                                        ; implicit-def: $vgpr16_vgpr17
                                        ; implicit-def: $vgpr18_vgpr19
                                        ; implicit-def: $vgpr20_vgpr21
                                        ; implicit-def: $vgpr24_vgpr25
                                        ; implicit-def: $vgpr26_vgpr27
.LBB128_11:
	v_mov_b32_e32 v14, 0
	v_mov_b32_e32 v12, 0
	;; [unrolled: 1-line block ×3, first 2 shown]
	v_dual_mov_b32 v24, 0 :: v_dual_mov_b32 v15, 0
	v_dual_mov_b32 v22, 0 :: v_dual_mov_b32 v13, 0
	;; [unrolled: 1-line block ×5, first 2 shown]
	v_mov_b32_e32 v17, 0
	v_mov_b32_e32 v21, 0
	;; [unrolled: 1-line block ×3, first 2 shown]
	s_and_saveexec_b32 s3, s2
	s_cbranch_execz .LBB128_15
; %bb.12:
	v_mad_co_u64_u32 v[28:29], null, v10, 20, 19
	v_mov_b32_e32 v14, 0
	v_mov_b32_e32 v12, 0
	;; [unrolled: 1-line block ×3, first 2 shown]
	v_dual_mov_b32 v24, 0 :: v_dual_mov_b32 v15, 0
	v_dual_mov_b32 v22, 0 :: v_dual_mov_b32 v13, 0
	;; [unrolled: 1-line block ×5, first 2 shown]
	v_mov_b32_e32 v17, 0
	v_mov_b32_e32 v21, 0
	v_dual_mov_b32 v27, 0 :: v_dual_mov_b32 v30, 0
	s_mov_b32 s2, 0
.LBB128_13:                             ; =>This Inner Loop Header: Depth=1
	v_ashrrev_i32_e32 v11, 31, v10
	v_subrev_nc_u32_e32 v29, 19, v28
	s_delay_alu instid0(VALU_DEP_3) | instskip(SKIP_1) | instid1(VALU_DEP_4)
	v_dual_mov_b32 v111, v30 :: v_dual_add_nc_u32 v34, -9, v28
	v_dual_mov_b32 v35, v30 :: v_dual_add_nc_u32 v36, -4, v28
	v_lshlrev_b64_e32 v[31:32], 2, v[10:11]
	s_delay_alu instid0(VALU_DEP_4) | instskip(SKIP_1) | instid1(VALU_DEP_4)
	v_lshlrev_b64_e32 v[38:39], 4, v[29:30]
	v_dual_mov_b32 v37, v30 :: v_dual_add_nc_u32 v10, 16, v10
	v_lshlrev_b64_e32 v[34:35], 4, v[34:35]
	s_delay_alu instid0(VALU_DEP_4)
	v_add_co_u32 v31, vcc_lo, s6, v31
	s_wait_alu 0xfffd
	v_add_co_ci_u32_e64 v32, null, s7, v32, vcc_lo
	v_lshlrev_b64_e32 v[36:37], 4, v[36:37]
	v_add_co_u32 v78, vcc_lo, s8, v38
	global_load_b32 v11, v[31:32], off
	v_dual_mov_b32 v32, v30 :: v_dual_add_nc_u32 v31, -14, v28
	s_wait_alu 0xfffd
	v_add_co_ci_u32_e64 v79, null, s9, v39, vcc_lo
	s_delay_alu instid0(VALU_DEP_2) | instskip(NEXT) | instid1(VALU_DEP_1)
	v_lshlrev_b64_e32 v[31:32], 4, v[31:32]
	v_add_co_u32 v31, vcc_lo, s8, v31
	s_wait_alu 0xfffd
	s_delay_alu instid0(VALU_DEP_2)
	v_add_co_ci_u32_e64 v32, null, s9, v32, vcc_lo
	v_add_co_u32 v46, vcc_lo, s8, v34
	s_wait_alu 0xfffd
	v_add_co_ci_u32_e64 v47, null, s9, v35, vcc_lo
	v_add_co_u32 v50, vcc_lo, s8, v36
	s_wait_alu 0xfffd
	v_add_co_ci_u32_e64 v51, null, s9, v37, vcc_lo
	s_clause 0x4
	global_load_b128 v[34:37], v[78:79], off offset:16
	global_load_b128 v[38:41], v[78:79], off
	global_load_b128 v[42:45], v[31:32], off
	;; [unrolled: 1-line block ×4, first 2 shown]
	s_wait_loadcnt 0x5
	v_subrev_nc_u32_e32 v11, s12, v11
	s_delay_alu instid0(VALU_DEP_1) | instskip(NEXT) | instid1(VALU_DEP_1)
	v_lshl_add_u32 v110, v11, 2, v11
	v_lshlrev_b64_e32 v[31:32], 4, v[110:111]
	v_add_nc_u32_e32 v29, 1, v110
	s_delay_alu instid0(VALU_DEP_2) | instskip(SKIP_1) | instid1(VALU_DEP_3)
	v_add_co_u32 v31, vcc_lo, s10, v31
	s_wait_alu 0xfffd
	v_add_co_ci_u32_e64 v32, null, s11, v32, vcc_lo
	global_load_b128 v[54:57], v[31:32], off
	v_lshlrev_b64_e32 v[31:32], 4, v[29:30]
	v_add_nc_u32_e32 v29, -13, v28
	s_delay_alu instid0(VALU_DEP_1) | instskip(SKIP_1) | instid1(VALU_DEP_4)
	v_lshlrev_b64_e32 v[62:63], 4, v[29:30]
	v_add_nc_u32_e32 v29, -8, v28
	v_add_co_u32 v31, vcc_lo, s10, v31
	s_wait_alu 0xfffd
	v_add_co_ci_u32_e64 v32, null, s11, v32, vcc_lo
	s_delay_alu instid0(VALU_DEP_3)
	v_lshlrev_b64_e32 v[64:65], 4, v[29:30]
	v_add_nc_u32_e32 v29, -3, v28
	global_load_b128 v[58:61], v[31:32], off
	v_add_co_u32 v31, vcc_lo, s8, v62
	s_wait_alu 0xfffd
	v_add_co_ci_u32_e64 v32, null, s9, v63, vcc_lo
	v_lshlrev_b64_e32 v[62:63], 4, v[29:30]
	v_add_co_u32 v66, vcc_lo, s8, v64
	s_wait_alu 0xfffd
	v_add_co_ci_u32_e64 v67, null, s9, v65, vcc_lo
	v_mov_b32_e32 v29, v30
	s_delay_alu instid0(VALU_DEP_4)
	v_add_co_u32 v70, vcc_lo, s8, v62
	s_wait_alu 0xfffd
	v_add_co_ci_u32_e64 v71, null, s9, v63, vcc_lo
	s_clause 0x2
	global_load_b128 v[62:65], v[31:32], off
	global_load_b128 v[66:69], v[66:67], off
	;; [unrolled: 1-line block ×3, first 2 shown]
	v_lshlrev_b64_e32 v[31:32], 4, v[28:29]
	v_add_nc_u32_e32 v29, 2, v110
	s_clause 0x1
	global_load_b128 v[74:77], v[78:79], off offset:48
	global_load_b128 v[78:81], v[78:79], off offset:32
	v_lshlrev_b64_e32 v[82:83], 4, v[29:30]
	v_add_nc_u32_e32 v29, -12, v28
	v_add_co_u32 v31, vcc_lo, s8, v31
	s_wait_alu 0xfffd
	v_add_co_ci_u32_e64 v32, null, s9, v32, vcc_lo
	s_delay_alu instid0(VALU_DEP_3) | instskip(SKIP_4) | instid1(VALU_DEP_3)
	v_lshlrev_b64_e32 v[84:85], 4, v[29:30]
	v_add_nc_u32_e32 v29, -7, v28
	v_add_co_u32 v82, vcc_lo, s10, v82
	s_wait_alu 0xfffd
	v_add_co_ci_u32_e64 v83, null, s11, v83, vcc_lo
	v_lshlrev_b64_e32 v[86:87], 4, v[29:30]
	v_add_nc_u32_e32 v29, -2, v28
	v_add_co_u32 v88, vcc_lo, s8, v84
	s_wait_alu 0xfffd
	v_add_co_ci_u32_e64 v89, null, s9, v85, vcc_lo
	s_delay_alu instid0(VALU_DEP_3)
	v_lshlrev_b64_e32 v[90:91], 4, v[29:30]
	v_add_co_u32 v92, vcc_lo, s8, v86
	s_wait_alu 0xfffd
	v_add_co_ci_u32_e64 v93, null, s9, v87, vcc_lo
	global_load_b128 v[82:85], v[82:83], off
	v_add_co_u32 v94, vcc_lo, s8, v90
	s_wait_alu 0xfffd
	v_add_co_ci_u32_e64 v95, null, s9, v91, vcc_lo
	s_clause 0x3
	global_load_b128 v[86:89], v[88:89], off
	global_load_b128 v[90:93], v[92:93], off
	;; [unrolled: 1-line block ×4, first 2 shown]
	v_add_nc_u32_e32 v29, 3, v110
	s_delay_alu instid0(VALU_DEP_1) | instskip(SKIP_1) | instid1(VALU_DEP_1)
	v_lshlrev_b64_e32 v[31:32], 4, v[29:30]
	v_add_nc_u32_e32 v29, -11, v28
	v_lshlrev_b64_e32 v[106:107], 4, v[29:30]
	v_add_nc_u32_e32 v29, -6, v28
	s_delay_alu instid0(VALU_DEP_4) | instskip(SKIP_2) | instid1(VALU_DEP_3)
	v_add_co_u32 v31, vcc_lo, s10, v31
	s_wait_alu 0xfffd
	v_add_co_ci_u32_e64 v32, null, s11, v32, vcc_lo
	v_lshlrev_b64_e32 v[108:109], 4, v[29:30]
	v_add_nc_u32_e32 v29, -1, v28
	global_load_b128 v[102:105], v[31:32], off
	v_add_co_u32 v31, vcc_lo, s8, v106
	v_lshlrev_b64_e32 v[114:115], 4, v[29:30]
	s_wait_alu 0xfffd
	v_add_co_ci_u32_e64 v32, null, s9, v107, vcc_lo
	v_add_co_u32 v111, vcc_lo, s8, v108
	s_wait_alu 0xfffd
	v_add_co_ci_u32_e64 v112, null, s9, v109, vcc_lo
	v_add_co_u32 v114, vcc_lo, s8, v114
	v_add_nc_u32_e32 v29, -15, v28
	s_wait_alu 0xfffd
	v_add_co_ci_u32_e64 v115, null, s9, v115, vcc_lo
	s_clause 0x1
	global_load_b128 v[106:109], v[31:32], off
	global_load_b128 v[114:117], v[114:115], off
	v_lshlrev_b64_e32 v[31:32], 4, v[29:30]
	v_add_nc_u32_e32 v29, 4, v110
	global_load_b128 v[110:113], v[111:112], off
	v_lshlrev_b64_e32 v[118:119], 4, v[29:30]
	v_add_nc_u32_e32 v29, -10, v28
	v_add_co_u32 v31, vcc_lo, s8, v31
	s_wait_alu 0xfffd
	v_add_co_ci_u32_e64 v32, null, s9, v32, vcc_lo
	s_delay_alu instid0(VALU_DEP_3)
	v_lshlrev_b64_e32 v[122:123], 4, v[29:30]
	v_add_nc_u32_e32 v29, -5, v28
	v_add_co_u32 v124, vcc_lo, s10, v118
	s_wait_alu 0xfffd
	v_add_co_ci_u32_e64 v125, null, s11, v119, vcc_lo
	global_load_b128 v[118:121], v[31:32], off
	v_lshlrev_b64_e32 v[31:32], 4, v[29:30]
	v_add_co_u32 v122, vcc_lo, s8, v122
	s_wait_alu 0xfffd
	v_add_co_ci_u32_e64 v123, null, s9, v123, vcc_lo
	v_add_nc_u32_e32 v28, 0x140, v28
	s_delay_alu instid0(VALU_DEP_4)
	v_add_co_u32 v31, vcc_lo, s8, v31
	s_wait_alu 0xfffd
	v_add_co_ci_u32_e64 v32, null, s9, v32, vcc_lo
	v_cmp_ge_i32_e32 vcc_lo, v10, v33
	s_wait_alu 0xfffe
	s_or_b32 s2, vcc_lo, s2
	s_wait_loadcnt 0x10
	v_fma_f64 v[22:23], v[38:39], v[54:55], v[22:23]
	v_fma_f64 v[14:15], v[40:41], v[54:55], v[14:15]
	;; [unrolled: 1-line block ×8, first 2 shown]
	v_fma_f64 v[22:23], -v[40:41], v[56:57], v[22:23]
	v_fma_f64 v[14:15], v[38:39], v[56:57], v[14:15]
	global_load_b128 v[38:41], v[124:125], off
	v_fma_f64 v[24:25], -v[44:45], v[56:57], v[24:25]
	v_fma_f64 v[26:27], v[42:43], v[56:57], v[26:27]
	s_clause 0x1
	global_load_b128 v[42:45], v[122:123], off
	global_load_b128 v[122:125], v[31:32], off
	v_fma_f64 v[18:19], -v[48:49], v[56:57], v[18:19]
	v_fma_f64 v[20:21], v[46:47], v[56:57], v[20:21]
	v_fma_f64 v[11:12], -v[52:53], v[56:57], v[11:12]
	v_fma_f64 v[16:17], v[50:51], v[56:57], v[16:17]
	s_wait_loadcnt 0x12
	v_fma_f64 v[22:23], v[34:35], v[58:59], v[22:23]
	v_fma_f64 v[13:14], v[36:37], v[58:59], v[14:15]
	s_wait_loadcnt 0x11
	v_fma_f64 v[24:25], v[62:63], v[58:59], v[24:25]
	;; [unrolled: 3-line block ×4, first 2 shown]
	v_fma_f64 v[15:16], v[72:73], v[58:59], v[16:17]
	v_fma_f64 v[22:23], -v[36:37], v[60:61], v[22:23]
	v_fma_f64 v[13:14], v[34:35], v[60:61], v[13:14]
	v_fma_f64 v[24:25], -v[64:65], v[60:61], v[24:25]
	;; [unrolled: 2-line block ×4, first 2 shown]
	v_fma_f64 v[15:16], v[70:71], v[60:61], v[15:16]
	s_wait_loadcnt 0xc
	v_fma_f64 v[21:22], v[78:79], v[82:83], v[22:23]
	v_fma_f64 v[13:14], v[80:81], v[82:83], v[13:14]
	s_wait_loadcnt 0xb
	v_fma_f64 v[23:24], v[86:87], v[82:83], v[24:25]
	;; [unrolled: 3-line block ×4, first 2 shown]
	v_fma_f64 v[15:16], v[96:97], v[82:83], v[15:16]
	v_fma_f64 v[21:22], -v[80:81], v[84:85], v[21:22]
	v_fma_f64 v[13:14], v[78:79], v[84:85], v[13:14]
	v_fma_f64 v[23:24], -v[88:89], v[84:85], v[23:24]
	;; [unrolled: 2-line block ×4, first 2 shown]
	v_fma_f64 v[15:16], v[94:95], v[84:85], v[15:16]
	s_wait_loadcnt 0x7
	v_fma_f64 v[21:22], v[74:75], v[102:103], v[21:22]
	v_fma_f64 v[13:14], v[76:77], v[102:103], v[13:14]
	s_wait_loadcnt 0x6
	v_fma_f64 v[23:24], v[106:107], v[102:103], v[23:24]
	;; [unrolled: 3-line block ×3, first 2 shown]
	v_fma_f64 v[19:20], v[112:113], v[102:103], v[19:20]
	v_fma_f64 v[11:12], v[114:115], v[102:103], v[11:12]
	;; [unrolled: 1-line block ×3, first 2 shown]
	v_fma_f64 v[21:22], -v[76:77], v[104:105], v[21:22]
	v_fma_f64 v[13:14], v[74:75], v[104:105], v[13:14]
	v_fma_f64 v[23:24], -v[108:109], v[104:105], v[23:24]
	v_fma_f64 v[25:26], v[106:107], v[104:105], v[25:26]
	;; [unrolled: 2-line block ×4, first 2 shown]
	s_wait_loadcnt 0x2
	v_fma_f64 v[21:22], v[118:119], v[38:39], v[21:22]
	v_fma_f64 v[13:14], v[120:121], v[38:39], v[13:14]
	s_wait_loadcnt 0x1
	v_fma_f64 v[31:32], v[42:43], v[38:39], v[23:24]
	v_fma_f64 v[26:27], v[44:45], v[38:39], v[25:26]
	;; [unrolled: 3-line block ×3, first 2 shown]
	v_fma_f64 v[11:12], v[98:99], v[38:39], v[11:12]
	v_fma_f64 v[36:37], v[100:101], v[38:39], v[15:16]
	v_fma_f64 v[22:23], -v[120:121], v[40:41], v[21:22]
	v_fma_f64 v[14:15], v[118:119], v[40:41], v[13:14]
	v_fma_f64 v[24:25], -v[44:45], v[40:41], v[31:32]
	;; [unrolled: 2-line block ×4, first 2 shown]
	v_fma_f64 v[16:17], v[98:99], v[40:41], v[36:37]
	s_wait_alu 0xfffe
	s_and_not1_b32 exec_lo, exec_lo, s2
	s_cbranch_execnz .LBB128_13
; %bb.14:
	s_or_b32 exec_lo, exec_lo, s2
.LBB128_15:
	s_wait_alu 0xfffe
	s_or_b32 exec_lo, exec_lo, s3
.LBB128_16:
	v_mbcnt_lo_u32_b32 v44, -1, 0
	s_delay_alu instid0(VALU_DEP_1) | instskip(NEXT) | instid1(VALU_DEP_1)
	v_xor_b32_e32 v10, 8, v44
	v_cmp_gt_i32_e32 vcc_lo, 32, v10
	s_wait_alu 0xfffd
	v_cndmask_b32_e32 v10, v44, v10, vcc_lo
	s_delay_alu instid0(VALU_DEP_1)
	v_lshlrev_b32_e32 v41, 2, v10
	ds_bpermute_b32 v10, v41, v22
	ds_bpermute_b32 v11, v41, v23
	ds_bpermute_b32 v28, v41, v14
	ds_bpermute_b32 v29, v41, v15
	ds_bpermute_b32 v30, v41, v24
	ds_bpermute_b32 v31, v41, v25
	ds_bpermute_b32 v32, v41, v26
	ds_bpermute_b32 v33, v41, v27
	ds_bpermute_b32 v34, v41, v18
	ds_bpermute_b32 v35, v41, v19
	ds_bpermute_b32 v36, v41, v20
	ds_bpermute_b32 v37, v41, v21
	ds_bpermute_b32 v38, v41, v12
	ds_bpermute_b32 v39, v41, v13
	ds_bpermute_b32 v40, v41, v16
	ds_bpermute_b32 v41, v41, v17
	s_wait_dscnt 0xe
	v_add_f64_e32 v[10:11], v[22:23], v[10:11]
	s_wait_dscnt 0xc
	v_add_f64_e32 v[14:15], v[14:15], v[28:29]
	;; [unrolled: 2-line block ×4, first 2 shown]
	v_xor_b32_e32 v26, 4, v44
	s_wait_dscnt 0x6
	v_add_f64_e32 v[18:19], v[18:19], v[34:35]
	s_wait_dscnt 0x4
	v_add_f64_e32 v[20:21], v[20:21], v[36:37]
	;; [unrolled: 2-line block ×3, first 2 shown]
	v_cmp_gt_i32_e32 vcc_lo, 32, v26
	s_wait_dscnt 0x0
	v_add_f64_e32 v[16:17], v[16:17], v[40:41]
	s_wait_alu 0xfffd
	v_cndmask_b32_e32 v26, v44, v26, vcc_lo
	s_delay_alu instid0(VALU_DEP_1)
	v_lshlrev_b32_e32 v41, 2, v26
	ds_bpermute_b32 v26, v41, v10
	ds_bpermute_b32 v27, v41, v11
	;; [unrolled: 1-line block ×16, first 2 shown]
	s_wait_dscnt 0xe
	v_add_f64_e32 v[10:11], v[10:11], v[26:27]
	s_wait_dscnt 0xc
	v_add_f64_e32 v[14:15], v[14:15], v[28:29]
	;; [unrolled: 2-line block ×7, first 2 shown]
	v_xor_b32_e32 v12, 2, v44
	s_wait_dscnt 0x0
	v_add_f64_e32 v[30:31], v[16:17], v[40:41]
	s_delay_alu instid0(VALU_DEP_2) | instskip(SKIP_2) | instid1(VALU_DEP_1)
	v_cmp_gt_i32_e32 vcc_lo, 32, v12
	s_wait_alu 0xfffd
	v_cndmask_b32_e32 v12, v44, v12, vcc_lo
	v_lshlrev_b32_e32 v24, 2, v12
	ds_bpermute_b32 v12, v24, v10
	ds_bpermute_b32 v13, v24, v11
	;; [unrolled: 1-line block ×16, first 2 shown]
	s_wait_dscnt 0xe
	v_add_f64_e32 v[10:11], v[10:11], v[12:13]
	s_wait_dscnt 0xc
	v_add_f64_e32 v[24:25], v[14:15], v[16:17]
	;; [unrolled: 2-line block ×4, first 2 shown]
	v_xor_b32_e32 v26, 1, v44
	s_wait_dscnt 0x6
	v_add_f64_e32 v[14:15], v[18:19], v[36:37]
	s_wait_dscnt 0x4
	v_add_f64_e32 v[20:21], v[20:21], v[38:39]
	;; [unrolled: 2-line block ×3, first 2 shown]
	v_cmp_gt_i32_e32 vcc_lo, 32, v26
	s_wait_dscnt 0x0
	v_add_f64_e32 v[18:19], v[30:31], v[42:43]
	s_wait_alu 0xfffd
	v_cndmask_b32_e32 v26, v44, v26, vcc_lo
	v_cmp_eq_u32_e32 vcc_lo, 15, v0
	s_delay_alu instid0(VALU_DEP_2)
	v_lshlrev_b32_e32 v29, 2, v26
	ds_bpermute_b32 v40, v29, v10
	ds_bpermute_b32 v41, v29, v11
	ds_bpermute_b32 v38, v29, v24
	ds_bpermute_b32 v39, v29, v25
	ds_bpermute_b32 v36, v29, v12
	ds_bpermute_b32 v37, v29, v13
	ds_bpermute_b32 v34, v29, v22
	ds_bpermute_b32 v35, v29, v23
	ds_bpermute_b32 v32, v29, v14
	ds_bpermute_b32 v33, v29, v15
	ds_bpermute_b32 v30, v29, v20
	ds_bpermute_b32 v31, v29, v21
	ds_bpermute_b32 v26, v29, v16
	ds_bpermute_b32 v27, v29, v17
	ds_bpermute_b32 v28, v29, v18
	ds_bpermute_b32 v29, v29, v19
	s_and_b32 exec_lo, exec_lo, vcc_lo
	s_cbranch_execz .LBB128_21
; %bb.17:
	v_cmp_eq_f64_e32 vcc_lo, 0, v[5:6]
	v_cmp_eq_f64_e64 s2, 0, v[7:8]
	s_wait_dscnt 0xe
	v_add_f64_e32 v[10:11], v[10:11], v[40:41]
	s_wait_dscnt 0xc
	v_add_f64_e32 v[24:25], v[24:25], v[38:39]
	;; [unrolled: 2-line block ×8, first 2 shown]
	s_load_b64 s[0:1], s[0:1], 0x48
	s_and_b32 s2, vcc_lo, s2
	s_wait_alu 0xfffe
	s_and_saveexec_b32 s3, s2
	s_wait_alu 0xfffe
	s_xor_b32 s2, exec_lo, s3
	s_cbranch_execz .LBB128_19
; %bb.18:
	v_mul_f64_e64 v[5:6], v[24:25], -v[3:4]
	v_mul_f64_e32 v[7:8], v[1:2], v[24:25]
	v_mul_f64_e64 v[24:25], v[22:23], -v[3:4]
	v_mul_f64_e32 v[22:23], v[1:2], v[22:23]
	;; [unrolled: 2-line block ×4, first 2 shown]
	v_fma_f64 v[5:6], v[1:2], v[10:11], v[5:6]
	v_fma_f64 v[7:8], v[3:4], v[10:11], v[7:8]
	;; [unrolled: 1-line block ×8, first 2 shown]
	v_lshlrev_b32_e32 v14, 2, v9
                                        ; implicit-def: $vgpr9
                                        ; implicit-def: $vgpr24_vgpr25
                                        ; implicit-def: $vgpr22_vgpr23
                                        ; implicit-def: $vgpr16_vgpr17
	s_delay_alu instid0(VALU_DEP_1) | instskip(NEXT) | instid1(VALU_DEP_1)
	v_ashrrev_i32_e32 v15, 31, v14
	v_lshlrev_b64_e32 v[14:15], 4, v[14:15]
	s_wait_kmcnt 0x0
	s_delay_alu instid0(VALU_DEP_1) | instskip(SKIP_1) | instid1(VALU_DEP_2)
	v_add_co_u32 v14, vcc_lo, s0, v14
	s_wait_alu 0xfffd
	v_add_co_ci_u32_e64 v15, null, s1, v15, vcc_lo
	s_clause 0x3
	global_store_b128 v[14:15], v[5:8], off
	global_store_b128 v[14:15], v[10:13], off offset:16
	global_store_b128 v[14:15], v[18:21], off offset:32
	;; [unrolled: 1-line block ×3, first 2 shown]
                                        ; implicit-def: $vgpr10_vgpr11
                                        ; implicit-def: $vgpr12_vgpr13
                                        ; implicit-def: $vgpr14_vgpr15
                                        ; implicit-def: $vgpr20_vgpr21
                                        ; implicit-def: $vgpr18_vgpr19
                                        ; implicit-def: $vgpr7_vgpr8
                                        ; implicit-def: $vgpr3_vgpr4
.LBB128_19:
	s_wait_alu 0xfffe
	s_and_not1_saveexec_b32 s2, s2
	s_cbranch_execz .LBB128_21
; %bb.20:
	v_lshlrev_b32_e32 v26, 2, v9
	v_mul_f64_e64 v[44:45], v[24:25], -v[3:4]
	v_mul_f64_e32 v[24:25], v[1:2], v[24:25]
	v_mul_f64_e64 v[46:47], v[22:23], -v[3:4]
	v_mul_f64_e32 v[22:23], v[1:2], v[22:23]
	v_ashrrev_i32_e32 v27, 31, v26
	v_mul_f64_e64 v[48:49], v[20:21], -v[3:4]
	v_mul_f64_e32 v[20:21], v[1:2], v[20:21]
	v_mul_f64_e64 v[50:51], v[18:19], -v[3:4]
	v_mul_f64_e32 v[18:19], v[1:2], v[18:19]
	v_lshlrev_b64_e32 v[26:27], 4, v[26:27]
	s_wait_kmcnt 0x0
	s_delay_alu instid0(VALU_DEP_1) | instskip(SKIP_1) | instid1(VALU_DEP_2)
	v_add_co_u32 v42, vcc_lo, s0, v26
	s_wait_alu 0xfffd
	v_add_co_ci_u32_e64 v43, null, s1, v27, vcc_lo
	s_clause 0x3
	global_load_b128 v[26:29], v[42:43], off
	global_load_b128 v[30:33], v[42:43], off offset:16
	global_load_b128 v[34:37], v[42:43], off offset:32
	;; [unrolled: 1-line block ×3, first 2 shown]
	v_fma_f64 v[44:45], v[1:2], v[10:11], v[44:45]
	v_fma_f64 v[9:10], v[3:4], v[10:11], v[24:25]
	;; [unrolled: 1-line block ×8, first 2 shown]
	s_wait_loadcnt 0x3
	v_fma_f64 v[15:16], v[5:6], v[26:27], v[44:45]
	v_fma_f64 v[9:10], v[7:8], v[26:27], v[9:10]
	s_wait_loadcnt 0x2
	v_fma_f64 v[17:18], v[5:6], v[30:31], v[24:25]
	v_fma_f64 v[11:12], v[7:8], v[30:31], v[11:12]
	;; [unrolled: 3-line block ×4, first 2 shown]
	v_fma_f64 v[0:1], -v[7:8], v[28:29], v[15:16]
	v_fma_f64 v[2:3], v[5:6], v[28:29], v[9:10]
	v_fma_f64 v[9:10], -v[7:8], v[32:33], v[17:18]
	v_fma_f64 v[11:12], v[5:6], v[32:33], v[11:12]
	;; [unrolled: 2-line block ×4, first 2 shown]
	s_clause 0x3
	global_store_b128 v[42:43], v[0:3], off
	global_store_b128 v[42:43], v[9:12], off offset:16
	global_store_b128 v[42:43], v[13:16], off offset:32
	;; [unrolled: 1-line block ×3, first 2 shown]
.LBB128_21:
	s_nop 0
	s_sendmsg sendmsg(MSG_DEALLOC_VGPRS)
	s_endpgm
	.section	.rodata,"a",@progbits
	.p2align	6, 0x0
	.amdhsa_kernel _ZN9rocsparseL19gebsrmvn_4xn_kernelILj128ELj5ELj16E21rocsparse_complex_numIdEEEvi20rocsparse_direction_NS_24const_host_device_scalarIT2_EEPKiS8_PKS5_SA_S6_PS5_21rocsparse_index_base_b
		.amdhsa_group_segment_fixed_size 0
		.amdhsa_private_segment_fixed_size 0
		.amdhsa_kernarg_size 88
		.amdhsa_user_sgpr_count 2
		.amdhsa_user_sgpr_dispatch_ptr 0
		.amdhsa_user_sgpr_queue_ptr 0
		.amdhsa_user_sgpr_kernarg_segment_ptr 1
		.amdhsa_user_sgpr_dispatch_id 0
		.amdhsa_user_sgpr_private_segment_size 0
		.amdhsa_wavefront_size32 1
		.amdhsa_uses_dynamic_stack 0
		.amdhsa_enable_private_segment 0
		.amdhsa_system_sgpr_workgroup_id_x 1
		.amdhsa_system_sgpr_workgroup_id_y 0
		.amdhsa_system_sgpr_workgroup_id_z 0
		.amdhsa_system_sgpr_workgroup_info 0
		.amdhsa_system_vgpr_workitem_id 0
		.amdhsa_next_free_vgpr 134
		.amdhsa_next_free_sgpr 14
		.amdhsa_reserve_vcc 1
		.amdhsa_float_round_mode_32 0
		.amdhsa_float_round_mode_16_64 0
		.amdhsa_float_denorm_mode_32 3
		.amdhsa_float_denorm_mode_16_64 3
		.amdhsa_fp16_overflow 0
		.amdhsa_workgroup_processor_mode 1
		.amdhsa_memory_ordered 1
		.amdhsa_forward_progress 1
		.amdhsa_inst_pref_size 43
		.amdhsa_round_robin_scheduling 0
		.amdhsa_exception_fp_ieee_invalid_op 0
		.amdhsa_exception_fp_denorm_src 0
		.amdhsa_exception_fp_ieee_div_zero 0
		.amdhsa_exception_fp_ieee_overflow 0
		.amdhsa_exception_fp_ieee_underflow 0
		.amdhsa_exception_fp_ieee_inexact 0
		.amdhsa_exception_int_div_zero 0
	.end_amdhsa_kernel
	.section	.text._ZN9rocsparseL19gebsrmvn_4xn_kernelILj128ELj5ELj16E21rocsparse_complex_numIdEEEvi20rocsparse_direction_NS_24const_host_device_scalarIT2_EEPKiS8_PKS5_SA_S6_PS5_21rocsparse_index_base_b,"axG",@progbits,_ZN9rocsparseL19gebsrmvn_4xn_kernelILj128ELj5ELj16E21rocsparse_complex_numIdEEEvi20rocsparse_direction_NS_24const_host_device_scalarIT2_EEPKiS8_PKS5_SA_S6_PS5_21rocsparse_index_base_b,comdat
.Lfunc_end128:
	.size	_ZN9rocsparseL19gebsrmvn_4xn_kernelILj128ELj5ELj16E21rocsparse_complex_numIdEEEvi20rocsparse_direction_NS_24const_host_device_scalarIT2_EEPKiS8_PKS5_SA_S6_PS5_21rocsparse_index_base_b, .Lfunc_end128-_ZN9rocsparseL19gebsrmvn_4xn_kernelILj128ELj5ELj16E21rocsparse_complex_numIdEEEvi20rocsparse_direction_NS_24const_host_device_scalarIT2_EEPKiS8_PKS5_SA_S6_PS5_21rocsparse_index_base_b
                                        ; -- End function
	.set _ZN9rocsparseL19gebsrmvn_4xn_kernelILj128ELj5ELj16E21rocsparse_complex_numIdEEEvi20rocsparse_direction_NS_24const_host_device_scalarIT2_EEPKiS8_PKS5_SA_S6_PS5_21rocsparse_index_base_b.num_vgpr, 134
	.set _ZN9rocsparseL19gebsrmvn_4xn_kernelILj128ELj5ELj16E21rocsparse_complex_numIdEEEvi20rocsparse_direction_NS_24const_host_device_scalarIT2_EEPKiS8_PKS5_SA_S6_PS5_21rocsparse_index_base_b.num_agpr, 0
	.set _ZN9rocsparseL19gebsrmvn_4xn_kernelILj128ELj5ELj16E21rocsparse_complex_numIdEEEvi20rocsparse_direction_NS_24const_host_device_scalarIT2_EEPKiS8_PKS5_SA_S6_PS5_21rocsparse_index_base_b.numbered_sgpr, 14
	.set _ZN9rocsparseL19gebsrmvn_4xn_kernelILj128ELj5ELj16E21rocsparse_complex_numIdEEEvi20rocsparse_direction_NS_24const_host_device_scalarIT2_EEPKiS8_PKS5_SA_S6_PS5_21rocsparse_index_base_b.num_named_barrier, 0
	.set _ZN9rocsparseL19gebsrmvn_4xn_kernelILj128ELj5ELj16E21rocsparse_complex_numIdEEEvi20rocsparse_direction_NS_24const_host_device_scalarIT2_EEPKiS8_PKS5_SA_S6_PS5_21rocsparse_index_base_b.private_seg_size, 0
	.set _ZN9rocsparseL19gebsrmvn_4xn_kernelILj128ELj5ELj16E21rocsparse_complex_numIdEEEvi20rocsparse_direction_NS_24const_host_device_scalarIT2_EEPKiS8_PKS5_SA_S6_PS5_21rocsparse_index_base_b.uses_vcc, 1
	.set _ZN9rocsparseL19gebsrmvn_4xn_kernelILj128ELj5ELj16E21rocsparse_complex_numIdEEEvi20rocsparse_direction_NS_24const_host_device_scalarIT2_EEPKiS8_PKS5_SA_S6_PS5_21rocsparse_index_base_b.uses_flat_scratch, 0
	.set _ZN9rocsparseL19gebsrmvn_4xn_kernelILj128ELj5ELj16E21rocsparse_complex_numIdEEEvi20rocsparse_direction_NS_24const_host_device_scalarIT2_EEPKiS8_PKS5_SA_S6_PS5_21rocsparse_index_base_b.has_dyn_sized_stack, 0
	.set _ZN9rocsparseL19gebsrmvn_4xn_kernelILj128ELj5ELj16E21rocsparse_complex_numIdEEEvi20rocsparse_direction_NS_24const_host_device_scalarIT2_EEPKiS8_PKS5_SA_S6_PS5_21rocsparse_index_base_b.has_recursion, 0
	.set _ZN9rocsparseL19gebsrmvn_4xn_kernelILj128ELj5ELj16E21rocsparse_complex_numIdEEEvi20rocsparse_direction_NS_24const_host_device_scalarIT2_EEPKiS8_PKS5_SA_S6_PS5_21rocsparse_index_base_b.has_indirect_call, 0
	.section	.AMDGPU.csdata,"",@progbits
; Kernel info:
; codeLenInByte = 5424
; TotalNumSgprs: 16
; NumVgprs: 134
; ScratchSize: 0
; MemoryBound: 0
; FloatMode: 240
; IeeeMode: 1
; LDSByteSize: 0 bytes/workgroup (compile time only)
; SGPRBlocks: 0
; VGPRBlocks: 16
; NumSGPRsForWavesPerEU: 16
; NumVGPRsForWavesPerEU: 134
; Occupancy: 10
; WaveLimiterHint : 1
; COMPUTE_PGM_RSRC2:SCRATCH_EN: 0
; COMPUTE_PGM_RSRC2:USER_SGPR: 2
; COMPUTE_PGM_RSRC2:TRAP_HANDLER: 0
; COMPUTE_PGM_RSRC2:TGID_X_EN: 1
; COMPUTE_PGM_RSRC2:TGID_Y_EN: 0
; COMPUTE_PGM_RSRC2:TGID_Z_EN: 0
; COMPUTE_PGM_RSRC2:TIDIG_COMP_CNT: 0
	.section	.text._ZN9rocsparseL19gebsrmvn_4xn_kernelILj128ELj5ELj32E21rocsparse_complex_numIdEEEvi20rocsparse_direction_NS_24const_host_device_scalarIT2_EEPKiS8_PKS5_SA_S6_PS5_21rocsparse_index_base_b,"axG",@progbits,_ZN9rocsparseL19gebsrmvn_4xn_kernelILj128ELj5ELj32E21rocsparse_complex_numIdEEEvi20rocsparse_direction_NS_24const_host_device_scalarIT2_EEPKiS8_PKS5_SA_S6_PS5_21rocsparse_index_base_b,comdat
	.globl	_ZN9rocsparseL19gebsrmvn_4xn_kernelILj128ELj5ELj32E21rocsparse_complex_numIdEEEvi20rocsparse_direction_NS_24const_host_device_scalarIT2_EEPKiS8_PKS5_SA_S6_PS5_21rocsparse_index_base_b ; -- Begin function _ZN9rocsparseL19gebsrmvn_4xn_kernelILj128ELj5ELj32E21rocsparse_complex_numIdEEEvi20rocsparse_direction_NS_24const_host_device_scalarIT2_EEPKiS8_PKS5_SA_S6_PS5_21rocsparse_index_base_b
	.p2align	8
	.type	_ZN9rocsparseL19gebsrmvn_4xn_kernelILj128ELj5ELj32E21rocsparse_complex_numIdEEEvi20rocsparse_direction_NS_24const_host_device_scalarIT2_EEPKiS8_PKS5_SA_S6_PS5_21rocsparse_index_base_b,@function
_ZN9rocsparseL19gebsrmvn_4xn_kernelILj128ELj5ELj32E21rocsparse_complex_numIdEEEvi20rocsparse_direction_NS_24const_host_device_scalarIT2_EEPKiS8_PKS5_SA_S6_PS5_21rocsparse_index_base_b: ; @_ZN9rocsparseL19gebsrmvn_4xn_kernelILj128ELj5ELj32E21rocsparse_complex_numIdEEEvi20rocsparse_direction_NS_24const_host_device_scalarIT2_EEPKiS8_PKS5_SA_S6_PS5_21rocsparse_index_base_b
; %bb.0:
	s_clause 0x1
	s_load_b64 s[12:13], s[0:1], 0x50
	s_load_b64 s[2:3], s[0:1], 0x8
	s_add_nc_u64 s[4:5], s[0:1], 8
	s_load_b64 s[6:7], s[0:1], 0x38
	s_wait_kmcnt 0x0
	s_bitcmp1_b32 s13, 0
	s_cselect_b32 s2, s4, s2
	s_cselect_b32 s3, s5, s3
	s_delay_alu instid0(SALU_CYCLE_1)
	v_dual_mov_b32 v1, s2 :: v_dual_mov_b32 v2, s3
	s_add_nc_u64 s[2:3], s[0:1], 56
	s_wait_alu 0xfffe
	s_cselect_b32 s2, s2, s6
	s_cselect_b32 s3, s3, s7
	flat_load_b128 v[1:4], v[1:2]
	s_wait_alu 0xfffe
	v_dual_mov_b32 v5, s2 :: v_dual_mov_b32 v6, s3
	flat_load_b128 v[5:8], v[5:6]
	s_wait_loadcnt_dscnt 0x101
	v_cmp_eq_f64_e32 vcc_lo, 0, v[1:2]
	v_cmp_eq_f64_e64 s2, 0, v[3:4]
	s_and_b32 s4, vcc_lo, s2
	s_mov_b32 s2, -1
	s_and_saveexec_b32 s3, s4
	s_cbranch_execz .LBB129_2
; %bb.1:
	s_wait_loadcnt_dscnt 0x0
	v_cmp_neq_f64_e32 vcc_lo, 1.0, v[5:6]
	v_cmp_neq_f64_e64 s2, 0, v[7:8]
	s_wait_alu 0xfffe
	s_or_b32 s2, vcc_lo, s2
	s_wait_alu 0xfffe
	s_or_not1_b32 s2, s2, exec_lo
.LBB129_2:
	s_wait_alu 0xfffe
	s_or_b32 exec_lo, exec_lo, s3
	s_and_saveexec_b32 s3, s2
	s_cbranch_execz .LBB129_21
; %bb.3:
	s_load_b64 s[2:3], s[0:1], 0x0
	v_lshrrev_b32_e32 v9, 5, v0
	s_delay_alu instid0(VALU_DEP_1) | instskip(SKIP_1) | instid1(VALU_DEP_1)
	v_lshl_or_b32 v9, ttmp9, 2, v9
	s_wait_kmcnt 0x0
	v_cmp_gt_i32_e32 vcc_lo, s2, v9
	s_and_b32 exec_lo, exec_lo, vcc_lo
	s_cbranch_execz .LBB129_21
; %bb.4:
	s_load_b256 s[4:11], s[0:1], 0x18
	v_ashrrev_i32_e32 v10, 31, v9
	v_and_b32_e32 v0, 31, v0
	s_cmp_lg_u32 s3, 0
	s_delay_alu instid0(VALU_DEP_2) | instskip(SKIP_1) | instid1(VALU_DEP_1)
	v_lshlrev_b64_e32 v[10:11], 2, v[9:10]
	s_wait_kmcnt 0x0
	v_add_co_u32 v10, vcc_lo, s4, v10
	s_delay_alu instid0(VALU_DEP_1) | instskip(SKIP_4) | instid1(VALU_DEP_2)
	v_add_co_ci_u32_e64 v11, null, s5, v11, vcc_lo
	global_load_b64 v[10:11], v[10:11], off
	s_wait_loadcnt 0x0
	v_subrev_nc_u32_e32 v10, s12, v10
	v_subrev_nc_u32_e32 v33, s12, v11
	v_add_nc_u32_e32 v22, v10, v0
	s_delay_alu instid0(VALU_DEP_1)
	v_cmp_lt_i32_e64 s2, v22, v33
	s_cbranch_scc0 .LBB129_10
; %bb.5:
	v_mov_b32_e32 v12, 0
	v_mov_b32_e32 v10, 0
	;; [unrolled: 1-line block ×3, first 2 shown]
	v_dual_mov_b32 v24, 0 :: v_dual_mov_b32 v13, 0
	v_dual_mov_b32 v20, 0 :: v_dual_mov_b32 v11, 0
	;; [unrolled: 1-line block ×5, first 2 shown]
	v_mov_b32_e32 v15, 0
	v_mov_b32_e32 v19, 0
	;; [unrolled: 1-line block ×3, first 2 shown]
	s_and_saveexec_b32 s3, s2
	s_cbranch_execz .LBB129_9
; %bb.6:
	v_mad_co_u64_u32 v[28:29], null, v22, 20, 16
	v_mov_b32_e32 v12, 0
	v_mov_b32_e32 v20, 0
	;; [unrolled: 1-line block ×7, first 2 shown]
	v_dual_mov_b32 v26, 0 :: v_dual_mov_b32 v31, v22
	v_dual_mov_b32 v13, 0 :: v_dual_mov_b32 v30, 0
	v_mov_b32_e32 v21, 0
	v_mov_b32_e32 v11, 0
	v_mov_b32_e32 v15, 0
	v_mov_b32_e32 v17, 0
	v_mov_b32_e32 v19, 0
	v_mov_b32_e32 v25, 0
	v_mov_b32_e32 v27, 0
	s_mov_b32 s4, 0
.LBB129_7:                              ; =>This Inner Loop Header: Depth=1
	v_ashrrev_i32_e32 v32, 31, v31
	v_add_nc_u32_e32 v29, -16, v28
	v_mov_b32_e32 v131, v30
	s_delay_alu instid0(VALU_DEP_3) | instskip(SKIP_1) | instid1(VALU_DEP_2)
	v_lshlrev_b64_e32 v[34:35], 2, v[31:32]
	v_add_nc_u32_e32 v31, 32, v31
	v_add_co_u32 v34, vcc_lo, s6, v34
	s_wait_alu 0xfffd
	s_delay_alu instid0(VALU_DEP_3) | instskip(SKIP_3) | instid1(VALU_DEP_1)
	v_add_co_ci_u32_e64 v35, null, s7, v35, vcc_lo
	global_load_b32 v23, v[34:35], off
	v_lshlrev_b64_e32 v[34:35], 4, v[29:30]
	v_add_nc_u32_e32 v29, -12, v28
	v_lshlrev_b64_e32 v[54:55], 4, v[29:30]
	s_delay_alu instid0(VALU_DEP_3) | instskip(SKIP_1) | instid1(VALU_DEP_4)
	v_add_co_u32 v46, vcc_lo, s8, v34
	s_wait_alu 0xfffd
	v_add_co_ci_u32_e64 v47, null, s9, v35, vcc_lo
	s_clause 0x3
	global_load_b128 v[34:37], v[46:47], off offset:48
	global_load_b128 v[38:41], v[46:47], off offset:32
	;; [unrolled: 1-line block ×3, first 2 shown]
	global_load_b128 v[46:49], v[46:47], off
	s_wait_loadcnt 0x4
	v_subrev_nc_u32_e32 v23, s12, v23
	s_delay_alu instid0(VALU_DEP_1) | instskip(NEXT) | instid1(VALU_DEP_1)
	v_lshl_add_u32 v130, v23, 2, v23
	v_add_nc_u32_e32 v29, 1, v130
	s_delay_alu instid0(VALU_DEP_1) | instskip(SKIP_1) | instid1(VALU_DEP_1)
	v_lshlrev_b64_e32 v[70:71], 4, v[29:30]
	v_add_nc_u32_e32 v29, -8, v28
	v_lshlrev_b64_e32 v[74:75], 4, v[29:30]
	v_add_nc_u32_e32 v29, 2, v130
	s_delay_alu instid0(VALU_DEP_1) | instskip(SKIP_1) | instid1(VALU_DEP_1)
	v_lshlrev_b64_e32 v[76:77], 4, v[29:30]
	v_add_nc_u32_e32 v29, -4, v28
	v_lshlrev_b64_e32 v[94:95], 4, v[29:30]
	v_add_nc_u32_e32 v29, 3, v130
	s_delay_alu instid0(VALU_DEP_1) | instskip(SKIP_1) | instid1(VALU_DEP_1)
	v_lshlrev_b64_e32 v[96:97], 4, v[29:30]
	v_mov_b32_e32 v29, v30
	v_lshlrev_b64_e32 v[114:115], 4, v[28:29]
	v_add_nc_u32_e32 v28, 0x280, v28
	v_lshlrev_b64_e32 v[50:51], 4, v[130:131]
	v_add_nc_u32_e32 v29, 4, v130
	s_delay_alu instid0(VALU_DEP_2) | instskip(SKIP_1) | instid1(VALU_DEP_3)
	v_add_co_u32 v50, vcc_lo, s10, v50
	s_wait_alu 0xfffd
	v_add_co_ci_u32_e64 v51, null, s11, v51, vcc_lo
	v_add_co_u32 v66, vcc_lo, s8, v54
	s_wait_alu 0xfffd
	v_add_co_ci_u32_e64 v67, null, s9, v55, vcc_lo
	global_load_b128 v[50:53], v[50:51], off
	v_add_co_u32 v70, vcc_lo, s10, v70
	s_wait_alu 0xfffd
	v_add_co_ci_u32_e64 v71, null, s11, v71, vcc_lo
	s_clause 0x3
	global_load_b128 v[54:57], v[66:67], off offset:48
	global_load_b128 v[58:61], v[66:67], off offset:32
	;; [unrolled: 1-line block ×3, first 2 shown]
	global_load_b128 v[66:69], v[66:67], off
	v_add_co_u32 v86, vcc_lo, s8, v74
	global_load_b128 v[70:73], v[70:71], off
	s_wait_alu 0xfffd
	v_add_co_ci_u32_e64 v87, null, s9, v75, vcc_lo
	v_add_co_u32 v90, vcc_lo, s10, v76
	s_wait_alu 0xfffd
	v_add_co_ci_u32_e64 v91, null, s11, v77, vcc_lo
	s_clause 0x3
	global_load_b128 v[74:77], v[86:87], off offset:48
	global_load_b128 v[78:81], v[86:87], off offset:32
	global_load_b128 v[82:85], v[86:87], off offset:16
	global_load_b128 v[86:89], v[86:87], off
	global_load_b128 v[90:93], v[90:91], off
	v_add_co_u32 v106, vcc_lo, s8, v94
	s_wait_alu 0xfffd
	v_add_co_ci_u32_e64 v107, null, s9, v95, vcc_lo
	v_add_co_u32 v110, vcc_lo, s10, v96
	s_wait_alu 0xfffd
	v_add_co_ci_u32_e64 v111, null, s11, v97, vcc_lo
	s_clause 0x3
	global_load_b128 v[94:97], v[106:107], off offset:48
	global_load_b128 v[98:101], v[106:107], off offset:32
	;; [unrolled: 1-line block ×3, first 2 shown]
	global_load_b128 v[106:109], v[106:107], off
	global_load_b128 v[110:113], v[110:111], off
	v_lshlrev_b64_e32 v[130:131], 4, v[29:30]
	v_add_co_u32 v126, vcc_lo, s8, v114
	s_wait_alu 0xfffd
	v_add_co_ci_u32_e64 v127, null, s9, v115, vcc_lo
	s_clause 0x3
	global_load_b128 v[114:117], v[126:127], off offset:48
	global_load_b128 v[118:121], v[126:127], off offset:32
	;; [unrolled: 1-line block ×3, first 2 shown]
	global_load_b128 v[126:129], v[126:127], off
	v_add_co_u32 v130, vcc_lo, s10, v130
	s_wait_alu 0xfffd
	v_add_co_ci_u32_e64 v131, null, s11, v131, vcc_lo
	v_cmp_ge_i32_e32 vcc_lo, v31, v33
	global_load_b128 v[130:133], v[130:131], off
	s_wait_alu 0xfffe
	s_or_b32 s4, vcc_lo, s4
	s_wait_loadcnt 0x14
	v_fma_f64 v[20:21], v[46:47], v[50:51], v[20:21]
	v_fma_f64 v[12:13], v[48:49], v[50:51], v[12:13]
	v_fma_f64 v[23:24], v[42:43], v[50:51], v[24:25]
	v_fma_f64 v[25:26], v[44:45], v[50:51], v[26:27]
	v_fma_f64 v[16:17], v[38:39], v[50:51], v[16:17]
	v_fma_f64 v[18:19], v[40:41], v[50:51], v[18:19]
	v_fma_f64 v[10:11], v[34:35], v[50:51], v[10:11]
	v_fma_f64 v[14:15], v[36:37], v[50:51], v[14:15]
	v_fma_f64 v[20:21], -v[48:49], v[52:53], v[20:21]
	v_fma_f64 v[12:13], v[46:47], v[52:53], v[12:13]
	v_fma_f64 v[23:24], -v[44:45], v[52:53], v[23:24]
	v_fma_f64 v[25:26], v[42:43], v[52:53], v[25:26]
	v_fma_f64 v[16:17], -v[40:41], v[52:53], v[16:17]
	v_fma_f64 v[18:19], v[38:39], v[52:53], v[18:19]
	v_fma_f64 v[10:11], -v[36:37], v[52:53], v[10:11]
	v_fma_f64 v[14:15], v[34:35], v[52:53], v[14:15]
	s_wait_loadcnt 0xf
	v_fma_f64 v[20:21], v[66:67], v[70:71], v[20:21]
	v_fma_f64 v[12:13], v[68:69], v[70:71], v[12:13]
	v_fma_f64 v[23:24], v[62:63], v[70:71], v[23:24]
	v_fma_f64 v[25:26], v[64:65], v[70:71], v[25:26]
	v_fma_f64 v[16:17], v[58:59], v[70:71], v[16:17]
	v_fma_f64 v[18:19], v[60:61], v[70:71], v[18:19]
	v_fma_f64 v[10:11], v[54:55], v[70:71], v[10:11]
	v_fma_f64 v[14:15], v[56:57], v[70:71], v[14:15]
	v_fma_f64 v[20:21], -v[68:69], v[72:73], v[20:21]
	v_fma_f64 v[12:13], v[66:67], v[72:73], v[12:13]
	v_fma_f64 v[23:24], -v[64:65], v[72:73], v[23:24]
	v_fma_f64 v[25:26], v[62:63], v[72:73], v[25:26]
	v_fma_f64 v[16:17], -v[60:61], v[72:73], v[16:17]
	v_fma_f64 v[18:19], v[58:59], v[72:73], v[18:19]
	v_fma_f64 v[10:11], -v[56:57], v[72:73], v[10:11]
	v_fma_f64 v[14:15], v[54:55], v[72:73], v[14:15]
	;; [unrolled: 17-line block ×5, first 2 shown]
	s_wait_alu 0xfffe
	s_and_not1_b32 exec_lo, exec_lo, s4
	s_cbranch_execnz .LBB129_7
; %bb.8:
	s_or_b32 exec_lo, exec_lo, s4
.LBB129_9:
	s_wait_alu 0xfffe
	s_or_b32 exec_lo, exec_lo, s3
	s_cbranch_execz .LBB129_11
	s_branch .LBB129_16
.LBB129_10:
                                        ; implicit-def: $vgpr12_vgpr13
                                        ; implicit-def: $vgpr20_vgpr21
                                        ; implicit-def: $vgpr10_vgpr11
                                        ; implicit-def: $vgpr14_vgpr15
                                        ; implicit-def: $vgpr16_vgpr17
                                        ; implicit-def: $vgpr18_vgpr19
                                        ; implicit-def: $vgpr24_vgpr25
                                        ; implicit-def: $vgpr26_vgpr27
.LBB129_11:
	v_mov_b32_e32 v12, 0
	v_mov_b32_e32 v10, 0
	;; [unrolled: 1-line block ×3, first 2 shown]
	v_dual_mov_b32 v24, 0 :: v_dual_mov_b32 v13, 0
	v_dual_mov_b32 v20, 0 :: v_dual_mov_b32 v11, 0
	;; [unrolled: 1-line block ×5, first 2 shown]
	v_mov_b32_e32 v15, 0
	v_mov_b32_e32 v19, 0
	;; [unrolled: 1-line block ×3, first 2 shown]
	s_and_saveexec_b32 s3, s2
	s_cbranch_execz .LBB129_15
; %bb.12:
	v_mad_co_u64_u32 v[28:29], null, v22, 20, 19
	v_mov_b32_e32 v12, 0
	v_mov_b32_e32 v10, 0
	;; [unrolled: 1-line block ×3, first 2 shown]
	v_dual_mov_b32 v24, 0 :: v_dual_mov_b32 v13, 0
	v_dual_mov_b32 v20, 0 :: v_dual_mov_b32 v11, 0
	;; [unrolled: 1-line block ×5, first 2 shown]
	v_mov_b32_e32 v15, 0
	v_mov_b32_e32 v19, 0
	v_dual_mov_b32 v27, 0 :: v_dual_mov_b32 v30, 0
	s_mov_b32 s2, 0
.LBB129_13:                             ; =>This Inner Loop Header: Depth=1
	v_ashrrev_i32_e32 v23, 31, v22
	v_subrev_nc_u32_e32 v29, 19, v28
	s_delay_alu instid0(VALU_DEP_3) | instskip(SKIP_1) | instid1(VALU_DEP_4)
	v_dual_mov_b32 v111, v30 :: v_dual_add_nc_u32 v34, -9, v28
	v_dual_mov_b32 v35, v30 :: v_dual_add_nc_u32 v36, -4, v28
	v_lshlrev_b64_e32 v[31:32], 2, v[22:23]
	s_delay_alu instid0(VALU_DEP_4) | instskip(SKIP_1) | instid1(VALU_DEP_4)
	v_lshlrev_b64_e32 v[38:39], 4, v[29:30]
	v_dual_mov_b32 v37, v30 :: v_dual_add_nc_u32 v22, 32, v22
	v_lshlrev_b64_e32 v[34:35], 4, v[34:35]
	s_delay_alu instid0(VALU_DEP_4)
	v_add_co_u32 v31, vcc_lo, s6, v31
	s_wait_alu 0xfffd
	v_add_co_ci_u32_e64 v32, null, s7, v32, vcc_lo
	v_lshlrev_b64_e32 v[36:37], 4, v[36:37]
	v_add_co_u32 v78, vcc_lo, s8, v38
	global_load_b32 v23, v[31:32], off
	v_dual_mov_b32 v32, v30 :: v_dual_add_nc_u32 v31, -14, v28
	s_wait_alu 0xfffd
	v_add_co_ci_u32_e64 v79, null, s9, v39, vcc_lo
	s_delay_alu instid0(VALU_DEP_2) | instskip(NEXT) | instid1(VALU_DEP_1)
	v_lshlrev_b64_e32 v[31:32], 4, v[31:32]
	v_add_co_u32 v31, vcc_lo, s8, v31
	s_wait_alu 0xfffd
	s_delay_alu instid0(VALU_DEP_2)
	v_add_co_ci_u32_e64 v32, null, s9, v32, vcc_lo
	v_add_co_u32 v46, vcc_lo, s8, v34
	s_wait_alu 0xfffd
	v_add_co_ci_u32_e64 v47, null, s9, v35, vcc_lo
	v_add_co_u32 v50, vcc_lo, s8, v36
	s_wait_alu 0xfffd
	v_add_co_ci_u32_e64 v51, null, s9, v37, vcc_lo
	s_clause 0x4
	global_load_b128 v[34:37], v[78:79], off offset:16
	global_load_b128 v[38:41], v[78:79], off
	global_load_b128 v[42:45], v[31:32], off
	;; [unrolled: 1-line block ×4, first 2 shown]
	s_wait_loadcnt 0x5
	v_subrev_nc_u32_e32 v23, s12, v23
	s_delay_alu instid0(VALU_DEP_1) | instskip(NEXT) | instid1(VALU_DEP_1)
	v_lshl_add_u32 v110, v23, 2, v23
	v_lshlrev_b64_e32 v[31:32], 4, v[110:111]
	v_add_nc_u32_e32 v29, 1, v110
	s_delay_alu instid0(VALU_DEP_2) | instskip(SKIP_1) | instid1(VALU_DEP_3)
	v_add_co_u32 v31, vcc_lo, s10, v31
	s_wait_alu 0xfffd
	v_add_co_ci_u32_e64 v32, null, s11, v32, vcc_lo
	global_load_b128 v[54:57], v[31:32], off
	v_lshlrev_b64_e32 v[31:32], 4, v[29:30]
	v_add_nc_u32_e32 v29, -13, v28
	s_delay_alu instid0(VALU_DEP_1) | instskip(SKIP_1) | instid1(VALU_DEP_4)
	v_lshlrev_b64_e32 v[62:63], 4, v[29:30]
	v_add_nc_u32_e32 v29, -8, v28
	v_add_co_u32 v31, vcc_lo, s10, v31
	s_wait_alu 0xfffd
	v_add_co_ci_u32_e64 v32, null, s11, v32, vcc_lo
	s_delay_alu instid0(VALU_DEP_3)
	v_lshlrev_b64_e32 v[64:65], 4, v[29:30]
	v_add_nc_u32_e32 v29, -3, v28
	global_load_b128 v[58:61], v[31:32], off
	v_add_co_u32 v31, vcc_lo, s8, v62
	s_wait_alu 0xfffd
	v_add_co_ci_u32_e64 v32, null, s9, v63, vcc_lo
	v_lshlrev_b64_e32 v[62:63], 4, v[29:30]
	v_add_co_u32 v66, vcc_lo, s8, v64
	s_wait_alu 0xfffd
	v_add_co_ci_u32_e64 v67, null, s9, v65, vcc_lo
	v_mov_b32_e32 v29, v30
	s_delay_alu instid0(VALU_DEP_4)
	v_add_co_u32 v70, vcc_lo, s8, v62
	s_wait_alu 0xfffd
	v_add_co_ci_u32_e64 v71, null, s9, v63, vcc_lo
	s_clause 0x2
	global_load_b128 v[62:65], v[31:32], off
	global_load_b128 v[66:69], v[66:67], off
	;; [unrolled: 1-line block ×3, first 2 shown]
	v_lshlrev_b64_e32 v[31:32], 4, v[28:29]
	v_add_nc_u32_e32 v29, 2, v110
	s_clause 0x1
	global_load_b128 v[74:77], v[78:79], off offset:48
	global_load_b128 v[78:81], v[78:79], off offset:32
	v_lshlrev_b64_e32 v[82:83], 4, v[29:30]
	v_add_nc_u32_e32 v29, -12, v28
	v_add_co_u32 v31, vcc_lo, s8, v31
	s_wait_alu 0xfffd
	v_add_co_ci_u32_e64 v32, null, s9, v32, vcc_lo
	s_delay_alu instid0(VALU_DEP_3) | instskip(SKIP_4) | instid1(VALU_DEP_3)
	v_lshlrev_b64_e32 v[84:85], 4, v[29:30]
	v_add_nc_u32_e32 v29, -7, v28
	v_add_co_u32 v82, vcc_lo, s10, v82
	s_wait_alu 0xfffd
	v_add_co_ci_u32_e64 v83, null, s11, v83, vcc_lo
	v_lshlrev_b64_e32 v[86:87], 4, v[29:30]
	v_add_nc_u32_e32 v29, -2, v28
	v_add_co_u32 v88, vcc_lo, s8, v84
	s_wait_alu 0xfffd
	v_add_co_ci_u32_e64 v89, null, s9, v85, vcc_lo
	s_delay_alu instid0(VALU_DEP_3)
	v_lshlrev_b64_e32 v[90:91], 4, v[29:30]
	v_add_co_u32 v92, vcc_lo, s8, v86
	s_wait_alu 0xfffd
	v_add_co_ci_u32_e64 v93, null, s9, v87, vcc_lo
	global_load_b128 v[82:85], v[82:83], off
	v_add_co_u32 v94, vcc_lo, s8, v90
	s_wait_alu 0xfffd
	v_add_co_ci_u32_e64 v95, null, s9, v91, vcc_lo
	s_clause 0x3
	global_load_b128 v[86:89], v[88:89], off
	global_load_b128 v[90:93], v[92:93], off
	;; [unrolled: 1-line block ×4, first 2 shown]
	v_add_nc_u32_e32 v29, 3, v110
	s_delay_alu instid0(VALU_DEP_1) | instskip(SKIP_1) | instid1(VALU_DEP_1)
	v_lshlrev_b64_e32 v[31:32], 4, v[29:30]
	v_add_nc_u32_e32 v29, -11, v28
	v_lshlrev_b64_e32 v[106:107], 4, v[29:30]
	v_add_nc_u32_e32 v29, -6, v28
	s_delay_alu instid0(VALU_DEP_4) | instskip(SKIP_2) | instid1(VALU_DEP_3)
	v_add_co_u32 v31, vcc_lo, s10, v31
	s_wait_alu 0xfffd
	v_add_co_ci_u32_e64 v32, null, s11, v32, vcc_lo
	v_lshlrev_b64_e32 v[108:109], 4, v[29:30]
	v_add_nc_u32_e32 v29, -1, v28
	global_load_b128 v[102:105], v[31:32], off
	v_add_co_u32 v31, vcc_lo, s8, v106
	v_lshlrev_b64_e32 v[114:115], 4, v[29:30]
	s_wait_alu 0xfffd
	v_add_co_ci_u32_e64 v32, null, s9, v107, vcc_lo
	v_add_co_u32 v111, vcc_lo, s8, v108
	s_wait_alu 0xfffd
	v_add_co_ci_u32_e64 v112, null, s9, v109, vcc_lo
	v_add_co_u32 v114, vcc_lo, s8, v114
	v_add_nc_u32_e32 v29, -15, v28
	s_wait_alu 0xfffd
	v_add_co_ci_u32_e64 v115, null, s9, v115, vcc_lo
	s_clause 0x1
	global_load_b128 v[106:109], v[31:32], off
	global_load_b128 v[114:117], v[114:115], off
	v_lshlrev_b64_e32 v[31:32], 4, v[29:30]
	v_add_nc_u32_e32 v29, 4, v110
	global_load_b128 v[110:113], v[111:112], off
	v_lshlrev_b64_e32 v[118:119], 4, v[29:30]
	v_add_nc_u32_e32 v29, -10, v28
	v_add_co_u32 v31, vcc_lo, s8, v31
	s_wait_alu 0xfffd
	v_add_co_ci_u32_e64 v32, null, s9, v32, vcc_lo
	s_delay_alu instid0(VALU_DEP_3)
	v_lshlrev_b64_e32 v[122:123], 4, v[29:30]
	v_add_nc_u32_e32 v29, -5, v28
	v_add_co_u32 v124, vcc_lo, s10, v118
	s_wait_alu 0xfffd
	v_add_co_ci_u32_e64 v125, null, s11, v119, vcc_lo
	global_load_b128 v[118:121], v[31:32], off
	v_lshlrev_b64_e32 v[31:32], 4, v[29:30]
	v_add_co_u32 v122, vcc_lo, s8, v122
	s_wait_alu 0xfffd
	v_add_co_ci_u32_e64 v123, null, s9, v123, vcc_lo
	v_add_nc_u32_e32 v28, 0x280, v28
	s_delay_alu instid0(VALU_DEP_4)
	v_add_co_u32 v31, vcc_lo, s8, v31
	s_wait_alu 0xfffd
	v_add_co_ci_u32_e64 v32, null, s9, v32, vcc_lo
	v_cmp_ge_i32_e32 vcc_lo, v22, v33
	s_wait_alu 0xfffe
	s_or_b32 s2, vcc_lo, s2
	s_wait_loadcnt 0x10
	v_fma_f64 v[20:21], v[38:39], v[54:55], v[20:21]
	v_fma_f64 v[12:13], v[40:41], v[54:55], v[12:13]
	;; [unrolled: 1-line block ×8, first 2 shown]
	v_fma_f64 v[20:21], -v[40:41], v[56:57], v[20:21]
	v_fma_f64 v[12:13], v[38:39], v[56:57], v[12:13]
	global_load_b128 v[38:41], v[124:125], off
	v_fma_f64 v[23:24], -v[44:45], v[56:57], v[23:24]
	v_fma_f64 v[25:26], v[42:43], v[56:57], v[25:26]
	s_clause 0x1
	global_load_b128 v[42:45], v[122:123], off
	global_load_b128 v[122:125], v[31:32], off
	v_fma_f64 v[16:17], -v[48:49], v[56:57], v[16:17]
	v_fma_f64 v[18:19], v[46:47], v[56:57], v[18:19]
	v_fma_f64 v[10:11], -v[52:53], v[56:57], v[10:11]
	v_fma_f64 v[14:15], v[50:51], v[56:57], v[14:15]
	s_wait_loadcnt 0x12
	v_fma_f64 v[20:21], v[34:35], v[58:59], v[20:21]
	v_fma_f64 v[12:13], v[36:37], v[58:59], v[12:13]
	s_wait_loadcnt 0x11
	v_fma_f64 v[23:24], v[62:63], v[58:59], v[23:24]
	;; [unrolled: 3-line block ×4, first 2 shown]
	v_fma_f64 v[14:15], v[72:73], v[58:59], v[14:15]
	v_fma_f64 v[20:21], -v[36:37], v[60:61], v[20:21]
	v_fma_f64 v[12:13], v[34:35], v[60:61], v[12:13]
	v_fma_f64 v[23:24], -v[64:65], v[60:61], v[23:24]
	;; [unrolled: 2-line block ×4, first 2 shown]
	v_fma_f64 v[14:15], v[70:71], v[60:61], v[14:15]
	s_wait_loadcnt 0xc
	v_fma_f64 v[20:21], v[78:79], v[82:83], v[20:21]
	v_fma_f64 v[12:13], v[80:81], v[82:83], v[12:13]
	s_wait_loadcnt 0xb
	v_fma_f64 v[23:24], v[86:87], v[82:83], v[23:24]
	;; [unrolled: 3-line block ×4, first 2 shown]
	v_fma_f64 v[14:15], v[96:97], v[82:83], v[14:15]
	v_fma_f64 v[20:21], -v[80:81], v[84:85], v[20:21]
	v_fma_f64 v[12:13], v[78:79], v[84:85], v[12:13]
	v_fma_f64 v[23:24], -v[88:89], v[84:85], v[23:24]
	;; [unrolled: 2-line block ×4, first 2 shown]
	v_fma_f64 v[14:15], v[94:95], v[84:85], v[14:15]
	s_wait_loadcnt 0x7
	v_fma_f64 v[20:21], v[74:75], v[102:103], v[20:21]
	v_fma_f64 v[12:13], v[76:77], v[102:103], v[12:13]
	s_wait_loadcnt 0x6
	v_fma_f64 v[23:24], v[106:107], v[102:103], v[23:24]
	;; [unrolled: 3-line block ×3, first 2 shown]
	v_fma_f64 v[18:19], v[112:113], v[102:103], v[18:19]
	v_fma_f64 v[10:11], v[114:115], v[102:103], v[10:11]
	;; [unrolled: 1-line block ×3, first 2 shown]
	v_fma_f64 v[20:21], -v[76:77], v[104:105], v[20:21]
	v_fma_f64 v[12:13], v[74:75], v[104:105], v[12:13]
	v_fma_f64 v[23:24], -v[108:109], v[104:105], v[23:24]
	v_fma_f64 v[25:26], v[106:107], v[104:105], v[25:26]
	;; [unrolled: 2-line block ×4, first 2 shown]
	s_wait_loadcnt 0x2
	v_fma_f64 v[20:21], v[118:119], v[38:39], v[20:21]
	v_fma_f64 v[12:13], v[120:121], v[38:39], v[12:13]
	s_wait_loadcnt 0x1
	v_fma_f64 v[23:24], v[42:43], v[38:39], v[23:24]
	v_fma_f64 v[26:27], v[44:45], v[38:39], v[25:26]
	;; [unrolled: 3-line block ×3, first 2 shown]
	v_fma_f64 v[10:11], v[98:99], v[38:39], v[10:11]
	v_fma_f64 v[14:15], v[100:101], v[38:39], v[14:15]
	v_fma_f64 v[20:21], -v[120:121], v[40:41], v[20:21]
	v_fma_f64 v[12:13], v[118:119], v[40:41], v[12:13]
	v_fma_f64 v[24:25], -v[44:45], v[40:41], v[23:24]
	;; [unrolled: 2-line block ×4, first 2 shown]
	v_fma_f64 v[14:15], v[98:99], v[40:41], v[14:15]
	s_wait_alu 0xfffe
	s_and_not1_b32 exec_lo, exec_lo, s2
	s_cbranch_execnz .LBB129_13
; %bb.14:
	s_or_b32 exec_lo, exec_lo, s2
.LBB129_15:
	s_wait_alu 0xfffe
	s_or_b32 exec_lo, exec_lo, s3
.LBB129_16:
	v_mbcnt_lo_u32_b32 v44, -1, 0
	s_delay_alu instid0(VALU_DEP_1) | instskip(NEXT) | instid1(VALU_DEP_1)
	v_xor_b32_e32 v22, 16, v44
	v_cmp_gt_i32_e32 vcc_lo, 32, v22
	s_wait_alu 0xfffd
	v_cndmask_b32_e32 v22, v44, v22, vcc_lo
	s_delay_alu instid0(VALU_DEP_1)
	v_lshlrev_b32_e32 v41, 2, v22
	ds_bpermute_b32 v22, v41, v20
	ds_bpermute_b32 v23, v41, v21
	;; [unrolled: 1-line block ×16, first 2 shown]
	s_wait_dscnt 0xe
	v_add_f64_e32 v[20:21], v[20:21], v[22:23]
	s_wait_dscnt 0xc
	v_add_f64_e32 v[12:13], v[12:13], v[28:29]
	;; [unrolled: 2-line block ×4, first 2 shown]
	v_xor_b32_e32 v26, 8, v44
	s_wait_dscnt 0x6
	v_add_f64_e32 v[16:17], v[16:17], v[34:35]
	s_wait_dscnt 0x4
	v_add_f64_e32 v[18:19], v[18:19], v[36:37]
	;; [unrolled: 2-line block ×3, first 2 shown]
	v_cmp_gt_i32_e32 vcc_lo, 32, v26
	s_wait_dscnt 0x0
	v_add_f64_e32 v[14:15], v[14:15], v[40:41]
	s_wait_alu 0xfffd
	v_cndmask_b32_e32 v26, v44, v26, vcc_lo
	s_delay_alu instid0(VALU_DEP_1)
	v_lshlrev_b32_e32 v41, 2, v26
	ds_bpermute_b32 v26, v41, v20
	ds_bpermute_b32 v27, v41, v21
	;; [unrolled: 1-line block ×16, first 2 shown]
	s_wait_dscnt 0xe
	v_add_f64_e32 v[20:21], v[20:21], v[26:27]
	v_xor_b32_e32 v26, 4, v44
	s_wait_dscnt 0xc
	v_add_f64_e32 v[12:13], v[12:13], v[28:29]
	s_wait_dscnt 0xa
	v_add_f64_e32 v[22:23], v[22:23], v[30:31]
	;; [unrolled: 2-line block ×3, first 2 shown]
	v_cmp_gt_i32_e32 vcc_lo, 32, v26
	s_wait_dscnt 0x6
	v_add_f64_e32 v[16:17], v[16:17], v[34:35]
	s_wait_dscnt 0x4
	v_add_f64_e32 v[18:19], v[18:19], v[36:37]
	;; [unrolled: 2-line block ×3, first 2 shown]
	s_wait_alu 0xfffd
	v_cndmask_b32_e32 v26, v44, v26, vcc_lo
	s_wait_dscnt 0x0
	v_add_f64_e32 v[14:15], v[14:15], v[40:41]
	s_delay_alu instid0(VALU_DEP_2)
	v_lshlrev_b32_e32 v41, 2, v26
	ds_bpermute_b32 v26, v41, v20
	ds_bpermute_b32 v27, v41, v21
	;; [unrolled: 1-line block ×16, first 2 shown]
	s_wait_dscnt 0xe
	v_add_f64_e32 v[20:21], v[20:21], v[26:27]
	s_wait_dscnt 0xc
	v_add_f64_e32 v[12:13], v[12:13], v[28:29]
	;; [unrolled: 2-line block ×7, first 2 shown]
	v_xor_b32_e32 v10, 2, v44
	s_wait_dscnt 0x0
	v_add_f64_e32 v[30:31], v[14:15], v[40:41]
	s_delay_alu instid0(VALU_DEP_2) | instskip(SKIP_2) | instid1(VALU_DEP_1)
	v_cmp_gt_i32_e32 vcc_lo, 32, v10
	s_wait_alu 0xfffd
	v_cndmask_b32_e32 v10, v44, v10, vcc_lo
	v_lshlrev_b32_e32 v24, 2, v10
	ds_bpermute_b32 v10, v24, v20
	ds_bpermute_b32 v11, v24, v21
	;; [unrolled: 1-line block ×16, first 2 shown]
	s_wait_dscnt 0xe
	v_add_f64_e32 v[10:11], v[20:21], v[10:11]
	s_wait_dscnt 0xc
	v_add_f64_e32 v[24:25], v[12:13], v[14:15]
	;; [unrolled: 2-line block ×4, first 2 shown]
	v_xor_b32_e32 v26, 1, v44
	s_wait_dscnt 0x6
	v_add_f64_e32 v[14:15], v[16:17], v[36:37]
	s_wait_dscnt 0x4
	v_add_f64_e32 v[20:21], v[18:19], v[38:39]
	;; [unrolled: 2-line block ×3, first 2 shown]
	v_cmp_gt_i32_e32 vcc_lo, 32, v26
	s_wait_dscnt 0x0
	v_add_f64_e32 v[18:19], v[30:31], v[42:43]
	s_wait_alu 0xfffd
	v_cndmask_b32_e32 v26, v44, v26, vcc_lo
	v_cmp_eq_u32_e32 vcc_lo, 31, v0
	s_delay_alu instid0(VALU_DEP_2)
	v_lshlrev_b32_e32 v29, 2, v26
	ds_bpermute_b32 v40, v29, v10
	ds_bpermute_b32 v41, v29, v11
	;; [unrolled: 1-line block ×16, first 2 shown]
	s_and_b32 exec_lo, exec_lo, vcc_lo
	s_cbranch_execz .LBB129_21
; %bb.17:
	v_cmp_eq_f64_e32 vcc_lo, 0, v[5:6]
	v_cmp_eq_f64_e64 s2, 0, v[7:8]
	s_wait_dscnt 0xe
	v_add_f64_e32 v[10:11], v[10:11], v[40:41]
	s_wait_dscnt 0xc
	v_add_f64_e32 v[24:25], v[24:25], v[38:39]
	;; [unrolled: 2-line block ×8, first 2 shown]
	s_load_b64 s[0:1], s[0:1], 0x48
	s_and_b32 s2, vcc_lo, s2
	s_wait_alu 0xfffe
	s_and_saveexec_b32 s3, s2
	s_wait_alu 0xfffe
	s_xor_b32 s2, exec_lo, s3
	s_cbranch_execz .LBB129_19
; %bb.18:
	v_mul_f64_e64 v[5:6], v[24:25], -v[3:4]
	v_mul_f64_e32 v[7:8], v[1:2], v[24:25]
	v_mul_f64_e64 v[24:25], v[22:23], -v[3:4]
	v_mul_f64_e32 v[22:23], v[1:2], v[22:23]
	;; [unrolled: 2-line block ×4, first 2 shown]
	v_fma_f64 v[5:6], v[1:2], v[10:11], v[5:6]
	v_fma_f64 v[7:8], v[3:4], v[10:11], v[7:8]
	;; [unrolled: 1-line block ×8, first 2 shown]
	v_lshlrev_b32_e32 v14, 2, v9
                                        ; implicit-def: $vgpr9
                                        ; implicit-def: $vgpr24_vgpr25
                                        ; implicit-def: $vgpr22_vgpr23
                                        ; implicit-def: $vgpr16_vgpr17
	s_delay_alu instid0(VALU_DEP_1) | instskip(NEXT) | instid1(VALU_DEP_1)
	v_ashrrev_i32_e32 v15, 31, v14
	v_lshlrev_b64_e32 v[14:15], 4, v[14:15]
	s_wait_kmcnt 0x0
	s_delay_alu instid0(VALU_DEP_1) | instskip(SKIP_1) | instid1(VALU_DEP_2)
	v_add_co_u32 v14, vcc_lo, s0, v14
	s_wait_alu 0xfffd
	v_add_co_ci_u32_e64 v15, null, s1, v15, vcc_lo
	s_clause 0x3
	global_store_b128 v[14:15], v[5:8], off
	global_store_b128 v[14:15], v[10:13], off offset:16
	global_store_b128 v[14:15], v[18:21], off offset:32
	;; [unrolled: 1-line block ×3, first 2 shown]
                                        ; implicit-def: $vgpr10_vgpr11
                                        ; implicit-def: $vgpr12_vgpr13
                                        ; implicit-def: $vgpr14_vgpr15
                                        ; implicit-def: $vgpr20_vgpr21
                                        ; implicit-def: $vgpr18_vgpr19
                                        ; implicit-def: $vgpr7_vgpr8
                                        ; implicit-def: $vgpr3_vgpr4
.LBB129_19:
	s_wait_alu 0xfffe
	s_and_not1_saveexec_b32 s2, s2
	s_cbranch_execz .LBB129_21
; %bb.20:
	v_lshlrev_b32_e32 v26, 2, v9
	v_mul_f64_e64 v[44:45], v[24:25], -v[3:4]
	v_mul_f64_e32 v[24:25], v[1:2], v[24:25]
	v_mul_f64_e64 v[46:47], v[22:23], -v[3:4]
	v_mul_f64_e32 v[22:23], v[1:2], v[22:23]
	v_ashrrev_i32_e32 v27, 31, v26
	v_mul_f64_e64 v[48:49], v[20:21], -v[3:4]
	v_mul_f64_e32 v[20:21], v[1:2], v[20:21]
	v_mul_f64_e64 v[50:51], v[18:19], -v[3:4]
	v_mul_f64_e32 v[18:19], v[1:2], v[18:19]
	v_lshlrev_b64_e32 v[26:27], 4, v[26:27]
	s_wait_kmcnt 0x0
	s_delay_alu instid0(VALU_DEP_1) | instskip(SKIP_1) | instid1(VALU_DEP_2)
	v_add_co_u32 v42, vcc_lo, s0, v26
	s_wait_alu 0xfffd
	v_add_co_ci_u32_e64 v43, null, s1, v27, vcc_lo
	s_clause 0x3
	global_load_b128 v[26:29], v[42:43], off
	global_load_b128 v[30:33], v[42:43], off offset:16
	global_load_b128 v[34:37], v[42:43], off offset:32
	;; [unrolled: 1-line block ×3, first 2 shown]
	v_fma_f64 v[44:45], v[1:2], v[10:11], v[44:45]
	v_fma_f64 v[9:10], v[3:4], v[10:11], v[24:25]
	;; [unrolled: 1-line block ×8, first 2 shown]
	s_wait_loadcnt 0x3
	v_fma_f64 v[15:16], v[5:6], v[26:27], v[44:45]
	v_fma_f64 v[9:10], v[7:8], v[26:27], v[9:10]
	s_wait_loadcnt 0x2
	v_fma_f64 v[17:18], v[5:6], v[30:31], v[24:25]
	v_fma_f64 v[11:12], v[7:8], v[30:31], v[11:12]
	;; [unrolled: 3-line block ×4, first 2 shown]
	v_fma_f64 v[0:1], -v[7:8], v[28:29], v[15:16]
	v_fma_f64 v[2:3], v[5:6], v[28:29], v[9:10]
	v_fma_f64 v[9:10], -v[7:8], v[32:33], v[17:18]
	v_fma_f64 v[11:12], v[5:6], v[32:33], v[11:12]
	;; [unrolled: 2-line block ×4, first 2 shown]
	s_clause 0x3
	global_store_b128 v[42:43], v[0:3], off
	global_store_b128 v[42:43], v[9:12], off offset:16
	global_store_b128 v[42:43], v[13:16], off offset:32
	;; [unrolled: 1-line block ×3, first 2 shown]
.LBB129_21:
	s_nop 0
	s_sendmsg sendmsg(MSG_DEALLOC_VGPRS)
	s_endpgm
	.section	.rodata,"a",@progbits
	.p2align	6, 0x0
	.amdhsa_kernel _ZN9rocsparseL19gebsrmvn_4xn_kernelILj128ELj5ELj32E21rocsparse_complex_numIdEEEvi20rocsparse_direction_NS_24const_host_device_scalarIT2_EEPKiS8_PKS5_SA_S6_PS5_21rocsparse_index_base_b
		.amdhsa_group_segment_fixed_size 0
		.amdhsa_private_segment_fixed_size 0
		.amdhsa_kernarg_size 88
		.amdhsa_user_sgpr_count 2
		.amdhsa_user_sgpr_dispatch_ptr 0
		.amdhsa_user_sgpr_queue_ptr 0
		.amdhsa_user_sgpr_kernarg_segment_ptr 1
		.amdhsa_user_sgpr_dispatch_id 0
		.amdhsa_user_sgpr_private_segment_size 0
		.amdhsa_wavefront_size32 1
		.amdhsa_uses_dynamic_stack 0
		.amdhsa_enable_private_segment 0
		.amdhsa_system_sgpr_workgroup_id_x 1
		.amdhsa_system_sgpr_workgroup_id_y 0
		.amdhsa_system_sgpr_workgroup_id_z 0
		.amdhsa_system_sgpr_workgroup_info 0
		.amdhsa_system_vgpr_workitem_id 0
		.amdhsa_next_free_vgpr 134
		.amdhsa_next_free_sgpr 14
		.amdhsa_reserve_vcc 1
		.amdhsa_float_round_mode_32 0
		.amdhsa_float_round_mode_16_64 0
		.amdhsa_float_denorm_mode_32 3
		.amdhsa_float_denorm_mode_16_64 3
		.amdhsa_fp16_overflow 0
		.amdhsa_workgroup_processor_mode 1
		.amdhsa_memory_ordered 1
		.amdhsa_forward_progress 1
		.amdhsa_inst_pref_size 45
		.amdhsa_round_robin_scheduling 0
		.amdhsa_exception_fp_ieee_invalid_op 0
		.amdhsa_exception_fp_denorm_src 0
		.amdhsa_exception_fp_ieee_div_zero 0
		.amdhsa_exception_fp_ieee_overflow 0
		.amdhsa_exception_fp_ieee_underflow 0
		.amdhsa_exception_fp_ieee_inexact 0
		.amdhsa_exception_int_div_zero 0
	.end_amdhsa_kernel
	.section	.text._ZN9rocsparseL19gebsrmvn_4xn_kernelILj128ELj5ELj32E21rocsparse_complex_numIdEEEvi20rocsparse_direction_NS_24const_host_device_scalarIT2_EEPKiS8_PKS5_SA_S6_PS5_21rocsparse_index_base_b,"axG",@progbits,_ZN9rocsparseL19gebsrmvn_4xn_kernelILj128ELj5ELj32E21rocsparse_complex_numIdEEEvi20rocsparse_direction_NS_24const_host_device_scalarIT2_EEPKiS8_PKS5_SA_S6_PS5_21rocsparse_index_base_b,comdat
.Lfunc_end129:
	.size	_ZN9rocsparseL19gebsrmvn_4xn_kernelILj128ELj5ELj32E21rocsparse_complex_numIdEEEvi20rocsparse_direction_NS_24const_host_device_scalarIT2_EEPKiS8_PKS5_SA_S6_PS5_21rocsparse_index_base_b, .Lfunc_end129-_ZN9rocsparseL19gebsrmvn_4xn_kernelILj128ELj5ELj32E21rocsparse_complex_numIdEEEvi20rocsparse_direction_NS_24const_host_device_scalarIT2_EEPKiS8_PKS5_SA_S6_PS5_21rocsparse_index_base_b
                                        ; -- End function
	.set _ZN9rocsparseL19gebsrmvn_4xn_kernelILj128ELj5ELj32E21rocsparse_complex_numIdEEEvi20rocsparse_direction_NS_24const_host_device_scalarIT2_EEPKiS8_PKS5_SA_S6_PS5_21rocsparse_index_base_b.num_vgpr, 134
	.set _ZN9rocsparseL19gebsrmvn_4xn_kernelILj128ELj5ELj32E21rocsparse_complex_numIdEEEvi20rocsparse_direction_NS_24const_host_device_scalarIT2_EEPKiS8_PKS5_SA_S6_PS5_21rocsparse_index_base_b.num_agpr, 0
	.set _ZN9rocsparseL19gebsrmvn_4xn_kernelILj128ELj5ELj32E21rocsparse_complex_numIdEEEvi20rocsparse_direction_NS_24const_host_device_scalarIT2_EEPKiS8_PKS5_SA_S6_PS5_21rocsparse_index_base_b.numbered_sgpr, 14
	.set _ZN9rocsparseL19gebsrmvn_4xn_kernelILj128ELj5ELj32E21rocsparse_complex_numIdEEEvi20rocsparse_direction_NS_24const_host_device_scalarIT2_EEPKiS8_PKS5_SA_S6_PS5_21rocsparse_index_base_b.num_named_barrier, 0
	.set _ZN9rocsparseL19gebsrmvn_4xn_kernelILj128ELj5ELj32E21rocsparse_complex_numIdEEEvi20rocsparse_direction_NS_24const_host_device_scalarIT2_EEPKiS8_PKS5_SA_S6_PS5_21rocsparse_index_base_b.private_seg_size, 0
	.set _ZN9rocsparseL19gebsrmvn_4xn_kernelILj128ELj5ELj32E21rocsparse_complex_numIdEEEvi20rocsparse_direction_NS_24const_host_device_scalarIT2_EEPKiS8_PKS5_SA_S6_PS5_21rocsparse_index_base_b.uses_vcc, 1
	.set _ZN9rocsparseL19gebsrmvn_4xn_kernelILj128ELj5ELj32E21rocsparse_complex_numIdEEEvi20rocsparse_direction_NS_24const_host_device_scalarIT2_EEPKiS8_PKS5_SA_S6_PS5_21rocsparse_index_base_b.uses_flat_scratch, 0
	.set _ZN9rocsparseL19gebsrmvn_4xn_kernelILj128ELj5ELj32E21rocsparse_complex_numIdEEEvi20rocsparse_direction_NS_24const_host_device_scalarIT2_EEPKiS8_PKS5_SA_S6_PS5_21rocsparse_index_base_b.has_dyn_sized_stack, 0
	.set _ZN9rocsparseL19gebsrmvn_4xn_kernelILj128ELj5ELj32E21rocsparse_complex_numIdEEEvi20rocsparse_direction_NS_24const_host_device_scalarIT2_EEPKiS8_PKS5_SA_S6_PS5_21rocsparse_index_base_b.has_recursion, 0
	.set _ZN9rocsparseL19gebsrmvn_4xn_kernelILj128ELj5ELj32E21rocsparse_complex_numIdEEEvi20rocsparse_direction_NS_24const_host_device_scalarIT2_EEPKiS8_PKS5_SA_S6_PS5_21rocsparse_index_base_b.has_indirect_call, 0
	.section	.AMDGPU.csdata,"",@progbits
; Kernel info:
; codeLenInByte = 5640
; TotalNumSgprs: 16
; NumVgprs: 134
; ScratchSize: 0
; MemoryBound: 0
; FloatMode: 240
; IeeeMode: 1
; LDSByteSize: 0 bytes/workgroup (compile time only)
; SGPRBlocks: 0
; VGPRBlocks: 16
; NumSGPRsForWavesPerEU: 16
; NumVGPRsForWavesPerEU: 134
; Occupancy: 10
; WaveLimiterHint : 1
; COMPUTE_PGM_RSRC2:SCRATCH_EN: 0
; COMPUTE_PGM_RSRC2:USER_SGPR: 2
; COMPUTE_PGM_RSRC2:TRAP_HANDLER: 0
; COMPUTE_PGM_RSRC2:TGID_X_EN: 1
; COMPUTE_PGM_RSRC2:TGID_Y_EN: 0
; COMPUTE_PGM_RSRC2:TGID_Z_EN: 0
; COMPUTE_PGM_RSRC2:TIDIG_COMP_CNT: 0
	.section	.text._ZN9rocsparseL19gebsrmvn_4xn_kernelILj128ELj5ELj64E21rocsparse_complex_numIdEEEvi20rocsparse_direction_NS_24const_host_device_scalarIT2_EEPKiS8_PKS5_SA_S6_PS5_21rocsparse_index_base_b,"axG",@progbits,_ZN9rocsparseL19gebsrmvn_4xn_kernelILj128ELj5ELj64E21rocsparse_complex_numIdEEEvi20rocsparse_direction_NS_24const_host_device_scalarIT2_EEPKiS8_PKS5_SA_S6_PS5_21rocsparse_index_base_b,comdat
	.globl	_ZN9rocsparseL19gebsrmvn_4xn_kernelILj128ELj5ELj64E21rocsparse_complex_numIdEEEvi20rocsparse_direction_NS_24const_host_device_scalarIT2_EEPKiS8_PKS5_SA_S6_PS5_21rocsparse_index_base_b ; -- Begin function _ZN9rocsparseL19gebsrmvn_4xn_kernelILj128ELj5ELj64E21rocsparse_complex_numIdEEEvi20rocsparse_direction_NS_24const_host_device_scalarIT2_EEPKiS8_PKS5_SA_S6_PS5_21rocsparse_index_base_b
	.p2align	8
	.type	_ZN9rocsparseL19gebsrmvn_4xn_kernelILj128ELj5ELj64E21rocsparse_complex_numIdEEEvi20rocsparse_direction_NS_24const_host_device_scalarIT2_EEPKiS8_PKS5_SA_S6_PS5_21rocsparse_index_base_b,@function
_ZN9rocsparseL19gebsrmvn_4xn_kernelILj128ELj5ELj64E21rocsparse_complex_numIdEEEvi20rocsparse_direction_NS_24const_host_device_scalarIT2_EEPKiS8_PKS5_SA_S6_PS5_21rocsparse_index_base_b: ; @_ZN9rocsparseL19gebsrmvn_4xn_kernelILj128ELj5ELj64E21rocsparse_complex_numIdEEEvi20rocsparse_direction_NS_24const_host_device_scalarIT2_EEPKiS8_PKS5_SA_S6_PS5_21rocsparse_index_base_b
; %bb.0:
	s_clause 0x1
	s_load_b64 s[12:13], s[0:1], 0x50
	s_load_b64 s[2:3], s[0:1], 0x8
	s_add_nc_u64 s[4:5], s[0:1], 8
	s_load_b64 s[6:7], s[0:1], 0x38
	s_wait_kmcnt 0x0
	s_bitcmp1_b32 s13, 0
	s_cselect_b32 s2, s4, s2
	s_cselect_b32 s3, s5, s3
	s_delay_alu instid0(SALU_CYCLE_1)
	v_dual_mov_b32 v1, s2 :: v_dual_mov_b32 v2, s3
	s_add_nc_u64 s[2:3], s[0:1], 56
	s_wait_alu 0xfffe
	s_cselect_b32 s2, s2, s6
	s_cselect_b32 s3, s3, s7
	flat_load_b128 v[1:4], v[1:2]
	s_wait_alu 0xfffe
	v_dual_mov_b32 v5, s2 :: v_dual_mov_b32 v6, s3
	flat_load_b128 v[5:8], v[5:6]
	s_wait_loadcnt_dscnt 0x101
	v_cmp_eq_f64_e32 vcc_lo, 0, v[1:2]
	v_cmp_eq_f64_e64 s2, 0, v[3:4]
	s_and_b32 s4, vcc_lo, s2
	s_mov_b32 s2, -1
	s_and_saveexec_b32 s3, s4
	s_cbranch_execz .LBB130_2
; %bb.1:
	s_wait_loadcnt_dscnt 0x0
	v_cmp_neq_f64_e32 vcc_lo, 1.0, v[5:6]
	v_cmp_neq_f64_e64 s2, 0, v[7:8]
	s_wait_alu 0xfffe
	s_or_b32 s2, vcc_lo, s2
	s_wait_alu 0xfffe
	s_or_not1_b32 s2, s2, exec_lo
.LBB130_2:
	s_wait_alu 0xfffe
	s_or_b32 exec_lo, exec_lo, s3
	s_and_saveexec_b32 s3, s2
	s_cbranch_execz .LBB130_21
; %bb.3:
	s_load_b64 s[2:3], s[0:1], 0x0
	v_lshrrev_b32_e32 v9, 6, v0
	s_delay_alu instid0(VALU_DEP_1) | instskip(SKIP_1) | instid1(VALU_DEP_1)
	v_lshl_or_b32 v9, ttmp9, 1, v9
	s_wait_kmcnt 0x0
	v_cmp_gt_i32_e32 vcc_lo, s2, v9
	s_and_b32 exec_lo, exec_lo, vcc_lo
	s_cbranch_execz .LBB130_21
; %bb.4:
	s_load_b256 s[4:11], s[0:1], 0x18
	v_ashrrev_i32_e32 v10, 31, v9
	v_and_b32_e32 v0, 63, v0
	s_cmp_lg_u32 s3, 0
	s_delay_alu instid0(VALU_DEP_2) | instskip(SKIP_1) | instid1(VALU_DEP_1)
	v_lshlrev_b64_e32 v[10:11], 2, v[9:10]
	s_wait_kmcnt 0x0
	v_add_co_u32 v10, vcc_lo, s4, v10
	s_delay_alu instid0(VALU_DEP_1) | instskip(SKIP_4) | instid1(VALU_DEP_2)
	v_add_co_ci_u32_e64 v11, null, s5, v11, vcc_lo
	global_load_b64 v[10:11], v[10:11], off
	s_wait_loadcnt 0x0
	v_subrev_nc_u32_e32 v10, s12, v10
	v_subrev_nc_u32_e32 v32, s12, v11
	v_add_nc_u32_e32 v26, v10, v0
	s_delay_alu instid0(VALU_DEP_1)
	v_cmp_lt_i32_e64 s2, v26, v32
	s_cbranch_scc0 .LBB130_10
; %bb.5:
	v_mov_b32_e32 v12, 0
	v_mov_b32_e32 v10, 0
	;; [unrolled: 1-line block ×3, first 2 shown]
	v_dual_mov_b32 v22, 0 :: v_dual_mov_b32 v13, 0
	v_dual_mov_b32 v20, 0 :: v_dual_mov_b32 v11, 0
	;; [unrolled: 1-line block ×5, first 2 shown]
	v_mov_b32_e32 v15, 0
	v_mov_b32_e32 v19, 0
	;; [unrolled: 1-line block ×3, first 2 shown]
	s_and_saveexec_b32 s3, s2
	s_cbranch_execz .LBB130_9
; %bb.6:
	v_dual_mov_b32 v12, 0 :: v_dual_mov_b32 v29, 0
	v_dual_mov_b32 v13, 0 :: v_dual_mov_b32 v20, 0
	;; [unrolled: 1-line block ×5, first 2 shown]
	v_mad_co_u64_u32 v[27:28], null, v26, 20, 16
	v_dual_mov_b32 v17, 0 :: v_dual_mov_b32 v18, 0
	v_dual_mov_b32 v19, 0 :: v_dual_mov_b32 v22, 0
	;; [unrolled: 1-line block ×4, first 2 shown]
	s_mov_b32 s4, 0
.LBB130_7:                              ; =>This Inner Loop Header: Depth=1
	s_delay_alu instid0(VALU_DEP_1) | instskip(SKIP_2) | instid1(VALU_DEP_3)
	v_ashrrev_i32_e32 v31, 31, v30
	v_add_nc_u32_e32 v28, -16, v27
	v_mov_b32_e32 v130, v29
	v_lshlrev_b64_e32 v[33:34], 2, v[30:31]
	v_add_nc_u32_e32 v30, 64, v30
	s_delay_alu instid0(VALU_DEP_2) | instskip(SKIP_1) | instid1(VALU_DEP_3)
	v_add_co_u32 v33, vcc_lo, s6, v33
	s_wait_alu 0xfffd
	v_add_co_ci_u32_e64 v34, null, s7, v34, vcc_lo
	global_load_b32 v31, v[33:34], off
	v_lshlrev_b64_e32 v[33:34], 4, v[28:29]
	s_delay_alu instid0(VALU_DEP_1) | instskip(SKIP_1) | instid1(VALU_DEP_2)
	v_add_co_u32 v45, vcc_lo, s8, v33
	s_wait_alu 0xfffd
	v_add_co_ci_u32_e64 v46, null, s9, v34, vcc_lo
	s_clause 0x3
	global_load_b128 v[33:36], v[45:46], off offset:48
	global_load_b128 v[37:40], v[45:46], off offset:32
	;; [unrolled: 1-line block ×3, first 2 shown]
	global_load_b128 v[45:48], v[45:46], off
	s_wait_loadcnt 0x4
	v_subrev_nc_u32_e32 v28, s12, v31
	s_delay_alu instid0(VALU_DEP_1) | instskip(SKIP_1) | instid1(VALU_DEP_1)
	v_lshl_add_u32 v129, v28, 2, v28
	v_add_nc_u32_e32 v28, -12, v27
	v_lshlrev_b64_e32 v[53:54], 4, v[28:29]
	s_delay_alu instid0(VALU_DEP_3) | instskip(NEXT) | instid1(VALU_DEP_1)
	v_add_nc_u32_e32 v28, 1, v129
	v_lshlrev_b64_e32 v[69:70], 4, v[28:29]
	v_add_nc_u32_e32 v28, -8, v27
	s_delay_alu instid0(VALU_DEP_1) | instskip(SKIP_1) | instid1(VALU_DEP_1)
	v_lshlrev_b64_e32 v[73:74], 4, v[28:29]
	v_add_nc_u32_e32 v28, 2, v129
	v_lshlrev_b64_e32 v[75:76], 4, v[28:29]
	v_add_nc_u32_e32 v28, -4, v27
	s_delay_alu instid0(VALU_DEP_1) | instskip(SKIP_1) | instid1(VALU_DEP_1)
	v_lshlrev_b64_e32 v[93:94], 4, v[28:29]
	v_add_nc_u32_e32 v28, 3, v129
	v_lshlrev_b64_e32 v[95:96], 4, v[28:29]
	v_mov_b32_e32 v28, v29
	s_delay_alu instid0(VALU_DEP_1) | instskip(SKIP_3) | instid1(VALU_DEP_2)
	v_lshlrev_b64_e32 v[113:114], 4, v[27:28]
	v_add_nc_u32_e32 v27, 0x500, v27
	v_lshlrev_b64_e32 v[49:50], 4, v[129:130]
	v_add_nc_u32_e32 v28, 4, v129
	v_add_co_u32 v49, vcc_lo, s10, v49
	s_wait_alu 0xfffd
	s_delay_alu instid0(VALU_DEP_3)
	v_add_co_ci_u32_e64 v50, null, s11, v50, vcc_lo
	v_add_co_u32 v65, vcc_lo, s8, v53
	s_wait_alu 0xfffd
	v_add_co_ci_u32_e64 v66, null, s9, v54, vcc_lo
	global_load_b128 v[49:52], v[49:50], off
	v_add_co_u32 v69, vcc_lo, s10, v69
	s_wait_alu 0xfffd
	v_add_co_ci_u32_e64 v70, null, s11, v70, vcc_lo
	s_clause 0x3
	global_load_b128 v[53:56], v[65:66], off offset:48
	global_load_b128 v[57:60], v[65:66], off offset:32
	;; [unrolled: 1-line block ×3, first 2 shown]
	global_load_b128 v[65:68], v[65:66], off
	v_add_co_u32 v85, vcc_lo, s8, v73
	global_load_b128 v[69:72], v[69:70], off
	s_wait_alu 0xfffd
	v_add_co_ci_u32_e64 v86, null, s9, v74, vcc_lo
	v_add_co_u32 v89, vcc_lo, s10, v75
	s_wait_alu 0xfffd
	v_add_co_ci_u32_e64 v90, null, s11, v76, vcc_lo
	s_clause 0x3
	global_load_b128 v[73:76], v[85:86], off offset:48
	global_load_b128 v[77:80], v[85:86], off offset:32
	;; [unrolled: 1-line block ×3, first 2 shown]
	global_load_b128 v[85:88], v[85:86], off
	global_load_b128 v[89:92], v[89:90], off
	v_add_co_u32 v105, vcc_lo, s8, v93
	s_wait_alu 0xfffd
	v_add_co_ci_u32_e64 v106, null, s9, v94, vcc_lo
	v_add_co_u32 v109, vcc_lo, s10, v95
	s_wait_alu 0xfffd
	v_add_co_ci_u32_e64 v110, null, s11, v96, vcc_lo
	s_clause 0x3
	global_load_b128 v[93:96], v[105:106], off offset:48
	global_load_b128 v[97:100], v[105:106], off offset:32
	;; [unrolled: 1-line block ×3, first 2 shown]
	global_load_b128 v[105:108], v[105:106], off
	global_load_b128 v[109:112], v[109:110], off
	v_lshlrev_b64_e32 v[129:130], 4, v[28:29]
	v_add_co_u32 v125, vcc_lo, s8, v113
	s_wait_alu 0xfffd
	v_add_co_ci_u32_e64 v126, null, s9, v114, vcc_lo
	s_clause 0x3
	global_load_b128 v[113:116], v[125:126], off offset:48
	global_load_b128 v[117:120], v[125:126], off offset:32
	;; [unrolled: 1-line block ×3, first 2 shown]
	global_load_b128 v[125:128], v[125:126], off
	v_add_co_u32 v129, vcc_lo, s10, v129
	s_wait_alu 0xfffd
	v_add_co_ci_u32_e64 v130, null, s11, v130, vcc_lo
	v_cmp_ge_i32_e32 vcc_lo, v30, v32
	global_load_b128 v[129:132], v[129:130], off
	s_wait_alu 0xfffe
	s_or_b32 s4, vcc_lo, s4
	s_wait_loadcnt 0x14
	v_fma_f64 v[20:21], v[45:46], v[49:50], v[20:21]
	v_fma_f64 v[12:13], v[47:48], v[49:50], v[12:13]
	v_fma_f64 v[22:23], v[41:42], v[49:50], v[22:23]
	v_fma_f64 v[24:25], v[43:44], v[49:50], v[24:25]
	v_fma_f64 v[16:17], v[37:38], v[49:50], v[16:17]
	v_fma_f64 v[18:19], v[39:40], v[49:50], v[18:19]
	v_fma_f64 v[10:11], v[33:34], v[49:50], v[10:11]
	v_fma_f64 v[14:15], v[35:36], v[49:50], v[14:15]
	v_fma_f64 v[20:21], -v[47:48], v[51:52], v[20:21]
	v_fma_f64 v[12:13], v[45:46], v[51:52], v[12:13]
	v_fma_f64 v[22:23], -v[43:44], v[51:52], v[22:23]
	v_fma_f64 v[24:25], v[41:42], v[51:52], v[24:25]
	v_fma_f64 v[16:17], -v[39:40], v[51:52], v[16:17]
	v_fma_f64 v[18:19], v[37:38], v[51:52], v[18:19]
	v_fma_f64 v[10:11], -v[35:36], v[51:52], v[10:11]
	v_fma_f64 v[14:15], v[33:34], v[51:52], v[14:15]
	s_wait_loadcnt 0xf
	v_fma_f64 v[20:21], v[65:66], v[69:70], v[20:21]
	v_fma_f64 v[12:13], v[67:68], v[69:70], v[12:13]
	v_fma_f64 v[22:23], v[61:62], v[69:70], v[22:23]
	v_fma_f64 v[24:25], v[63:64], v[69:70], v[24:25]
	v_fma_f64 v[16:17], v[57:58], v[69:70], v[16:17]
	v_fma_f64 v[18:19], v[59:60], v[69:70], v[18:19]
	v_fma_f64 v[10:11], v[53:54], v[69:70], v[10:11]
	v_fma_f64 v[14:15], v[55:56], v[69:70], v[14:15]
	v_fma_f64 v[20:21], -v[67:68], v[71:72], v[20:21]
	v_fma_f64 v[12:13], v[65:66], v[71:72], v[12:13]
	v_fma_f64 v[22:23], -v[63:64], v[71:72], v[22:23]
	v_fma_f64 v[24:25], v[61:62], v[71:72], v[24:25]
	v_fma_f64 v[16:17], -v[59:60], v[71:72], v[16:17]
	v_fma_f64 v[18:19], v[57:58], v[71:72], v[18:19]
	v_fma_f64 v[10:11], -v[55:56], v[71:72], v[10:11]
	v_fma_f64 v[14:15], v[53:54], v[71:72], v[14:15]
	;; [unrolled: 17-line block ×5, first 2 shown]
	s_wait_alu 0xfffe
	s_and_not1_b32 exec_lo, exec_lo, s4
	s_cbranch_execnz .LBB130_7
; %bb.8:
	s_or_b32 exec_lo, exec_lo, s4
.LBB130_9:
	s_wait_alu 0xfffe
	s_or_b32 exec_lo, exec_lo, s3
	s_cbranch_execz .LBB130_11
	s_branch .LBB130_16
.LBB130_10:
                                        ; implicit-def: $vgpr12_vgpr13
                                        ; implicit-def: $vgpr20_vgpr21
                                        ; implicit-def: $vgpr10_vgpr11
                                        ; implicit-def: $vgpr14_vgpr15
                                        ; implicit-def: $vgpr16_vgpr17
                                        ; implicit-def: $vgpr18_vgpr19
                                        ; implicit-def: $vgpr22_vgpr23
                                        ; implicit-def: $vgpr24_vgpr25
.LBB130_11:
	v_mov_b32_e32 v12, 0
	v_mov_b32_e32 v10, 0
	v_mov_b32_e32 v16, 0
	v_dual_mov_b32 v22, 0 :: v_dual_mov_b32 v13, 0
	v_dual_mov_b32 v20, 0 :: v_dual_mov_b32 v11, 0
	;; [unrolled: 1-line block ×5, first 2 shown]
	v_mov_b32_e32 v15, 0
	v_mov_b32_e32 v19, 0
	;; [unrolled: 1-line block ×3, first 2 shown]
	s_and_saveexec_b32 s3, s2
	s_cbranch_execz .LBB130_15
; %bb.12:
	v_mad_co_u64_u32 v[28:29], null, v26, 20, 19
	v_mov_b32_e32 v12, 0
	v_mov_b32_e32 v10, 0
	;; [unrolled: 1-line block ×3, first 2 shown]
	v_dual_mov_b32 v22, 0 :: v_dual_mov_b32 v13, 0
	v_dual_mov_b32 v20, 0 :: v_dual_mov_b32 v11, 0
	;; [unrolled: 1-line block ×5, first 2 shown]
	v_mov_b32_e32 v15, 0
	v_mov_b32_e32 v19, 0
	v_dual_mov_b32 v25, 0 :: v_dual_mov_b32 v30, 0
	s_mov_b32 s2, 0
.LBB130_13:                             ; =>This Inner Loop Header: Depth=1
	v_ashrrev_i32_e32 v27, 31, v26
	v_subrev_nc_u32_e32 v29, 19, v28
	v_add_nc_u32_e32 v35, -9, v28
	v_dual_mov_b32 v36, v30 :: v_dual_add_nc_u32 v37, -4, v28
	s_delay_alu instid0(VALU_DEP_4) | instskip(NEXT) | instid1(VALU_DEP_4)
	v_lshlrev_b64_e32 v[33:34], 2, v[26:27]
	v_lshlrev_b64_e32 v[39:40], 4, v[29:30]
	v_mov_b32_e32 v110, v30
	v_add_nc_u32_e32 v26, 64, v26
	s_delay_alu instid0(VALU_DEP_4)
	v_add_co_u32 v33, vcc_lo, s6, v33
	s_wait_alu 0xfffd
	v_add_co_ci_u32_e64 v34, null, s7, v34, vcc_lo
	v_add_co_u32 v77, vcc_lo, s8, v39
	s_wait_alu 0xfffd
	v_add_co_ci_u32_e64 v78, null, s9, v40, vcc_lo
	global_load_b32 v27, v[33:34], off
	v_dual_mov_b32 v34, v30 :: v_dual_add_nc_u32 v33, -14, v28
	v_lshlrev_b64_e32 v[35:36], 4, v[35:36]
	s_delay_alu instid0(VALU_DEP_2) | instskip(NEXT) | instid1(VALU_DEP_1)
	v_lshlrev_b64_e32 v[33:34], 4, v[33:34]
	v_add_co_u32 v41, vcc_lo, s8, v33
	s_wait_alu 0xfffd
	s_delay_alu instid0(VALU_DEP_2) | instskip(NEXT) | instid1(VALU_DEP_4)
	v_add_co_ci_u32_e64 v42, null, s9, v34, vcc_lo
	v_add_co_u32 v45, vcc_lo, s8, v35
	s_wait_alu 0xfffd
	v_add_co_ci_u32_e64 v46, null, s9, v36, vcc_lo
	s_wait_loadcnt 0x0
	v_subrev_nc_u32_e32 v27, s12, v27
	s_delay_alu instid0(VALU_DEP_1) | instskip(NEXT) | instid1(VALU_DEP_1)
	v_lshl_add_u32 v109, v27, 2, v27
	v_dual_mov_b32 v38, v30 :: v_dual_add_nc_u32 v29, 1, v109
	s_delay_alu instid0(VALU_DEP_1) | instskip(SKIP_1) | instid1(VALU_DEP_3)
	v_lshlrev_b64_e32 v[37:38], 4, v[37:38]
	v_lshlrev_b64_e32 v[53:54], 4, v[109:110]
	;; [unrolled: 1-line block ×3, first 2 shown]
	v_add_nc_u32_e32 v29, -13, v28
	s_delay_alu instid0(VALU_DEP_4)
	v_add_co_u32 v49, vcc_lo, s8, v37
	s_wait_alu 0xfffd
	v_add_co_ci_u32_e64 v50, null, s9, v38, vcc_lo
	v_add_co_u32 v53, vcc_lo, s10, v53
	s_wait_alu 0xfffd
	v_add_co_ci_u32_e64 v54, null, s11, v54, vcc_lo
	s_clause 0x4
	global_load_b128 v[33:36], v[77:78], off offset:16
	global_load_b128 v[37:40], v[77:78], off
	global_load_b128 v[41:44], v[41:42], off
	;; [unrolled: 1-line block ×4, first 2 shown]
	v_lshlrev_b64_e32 v[61:62], 4, v[29:30]
	v_add_nc_u32_e32 v29, -8, v28
	global_load_b128 v[53:56], v[53:54], off
	v_add_co_u32 v57, vcc_lo, s10, v57
	s_wait_alu 0xfffd
	v_add_co_ci_u32_e64 v58, null, s11, v58, vcc_lo
	v_lshlrev_b64_e32 v[63:64], 4, v[29:30]
	v_add_nc_u32_e32 v29, -3, v28
	v_add_co_u32 v61, vcc_lo, s8, v61
	s_wait_alu 0xfffd
	v_add_co_ci_u32_e64 v62, null, s9, v62, vcc_lo
	s_delay_alu instid0(VALU_DEP_3)
	v_lshlrev_b64_e32 v[65:66], 4, v[29:30]
	v_add_co_u32 v67, vcc_lo, s8, v63
	s_wait_alu 0xfffd
	v_add_co_ci_u32_e64 v68, null, s9, v64, vcc_lo
	global_load_b128 v[57:60], v[57:58], off
	v_add_co_u32 v69, vcc_lo, s8, v65
	s_wait_alu 0xfffd
	v_add_co_ci_u32_e64 v70, null, s9, v66, vcc_lo
	s_clause 0x2
	global_load_b128 v[61:64], v[61:62], off
	global_load_b128 v[65:68], v[67:68], off
	;; [unrolled: 1-line block ×3, first 2 shown]
	v_mov_b32_e32 v29, v30
	s_delay_alu instid0(VALU_DEP_1) | instskip(SKIP_1) | instid1(VALU_DEP_1)
	v_lshlrev_b64_e32 v[73:74], 4, v[28:29]
	v_add_nc_u32_e32 v29, 2, v109
	v_lshlrev_b64_e32 v[81:82], 4, v[29:30]
	v_add_nc_u32_e32 v29, -12, v28
	s_delay_alu instid0(VALU_DEP_4) | instskip(SKIP_2) | instid1(VALU_DEP_3)
	v_add_co_u32 v97, vcc_lo, s8, v73
	s_wait_alu 0xfffd
	v_add_co_ci_u32_e64 v98, null, s9, v74, vcc_lo
	v_lshlrev_b64_e32 v[83:84], 4, v[29:30]
	v_add_nc_u32_e32 v29, -7, v28
	v_add_co_u32 v81, vcc_lo, s10, v81
	s_wait_alu 0xfffd
	v_add_co_ci_u32_e64 v82, null, s11, v82, vcc_lo
	s_delay_alu instid0(VALU_DEP_3) | instskip(SKIP_4) | instid1(VALU_DEP_3)
	v_lshlrev_b64_e32 v[85:86], 4, v[29:30]
	v_add_nc_u32_e32 v29, -2, v28
	v_add_co_u32 v87, vcc_lo, s8, v83
	s_wait_alu 0xfffd
	v_add_co_ci_u32_e64 v88, null, s9, v84, vcc_lo
	v_lshlrev_b64_e32 v[89:90], 4, v[29:30]
	v_add_co_u32 v91, vcc_lo, s8, v85
	s_wait_alu 0xfffd
	v_add_co_ci_u32_e64 v92, null, s9, v86, vcc_lo
	s_clause 0x1
	global_load_b128 v[73:76], v[77:78], off offset:48
	global_load_b128 v[77:80], v[77:78], off offset:32
	v_add_co_u32 v93, vcc_lo, s8, v89
	s_wait_alu 0xfffd
	v_add_co_ci_u32_e64 v94, null, s9, v90, vcc_lo
	global_load_b128 v[81:84], v[81:82], off
	s_clause 0x3
	global_load_b128 v[85:88], v[87:88], off
	global_load_b128 v[89:92], v[91:92], off
	;; [unrolled: 1-line block ×4, first 2 shown]
	v_add_nc_u32_e32 v29, 3, v109
	s_delay_alu instid0(VALU_DEP_1) | instskip(SKIP_1) | instid1(VALU_DEP_1)
	v_lshlrev_b64_e32 v[101:102], 4, v[29:30]
	v_add_nc_u32_e32 v29, -11, v28
	v_lshlrev_b64_e32 v[105:106], 4, v[29:30]
	v_add_nc_u32_e32 v29, -6, v28
	s_delay_alu instid0(VALU_DEP_4) | instskip(SKIP_2) | instid1(VALU_DEP_3)
	v_add_co_u32 v101, vcc_lo, s10, v101
	s_wait_alu 0xfffd
	v_add_co_ci_u32_e64 v102, null, s11, v102, vcc_lo
	v_lshlrev_b64_e32 v[107:108], 4, v[29:30]
	v_add_nc_u32_e32 v29, -1, v28
	v_add_co_u32 v105, vcc_lo, s8, v105
	s_wait_alu 0xfffd
	v_add_co_ci_u32_e64 v106, null, s9, v106, vcc_lo
	s_delay_alu instid0(VALU_DEP_3) | instskip(SKIP_4) | instid1(VALU_DEP_3)
	v_lshlrev_b64_e32 v[113:114], 4, v[29:30]
	v_add_nc_u32_e32 v29, -15, v28
	v_add_co_u32 v110, vcc_lo, s8, v107
	s_wait_alu 0xfffd
	v_add_co_ci_u32_e64 v111, null, s9, v108, vcc_lo
	v_lshlrev_b64_e32 v[115:116], 4, v[29:30]
	v_add_co_u32 v113, vcc_lo, s8, v113
	s_wait_alu 0xfffd
	v_add_co_ci_u32_e64 v114, null, s9, v114, vcc_lo
	global_load_b128 v[101:104], v[101:102], off
	v_add_co_u32 v119, vcc_lo, s8, v115
	global_load_b128 v[105:108], v[105:106], off
	v_add_nc_u32_e32 v29, 4, v109
	global_load_b128 v[109:112], v[110:111], off
	s_wait_alu 0xfffd
	v_add_co_ci_u32_e64 v120, null, s9, v116, vcc_lo
	global_load_b128 v[113:116], v[113:114], off
	v_lshlrev_b64_e32 v[117:118], 4, v[29:30]
	v_add_nc_u32_e32 v29, -10, v28
	s_delay_alu instid0(VALU_DEP_1) | instskip(SKIP_1) | instid1(VALU_DEP_4)
	v_lshlrev_b64_e32 v[121:122], 4, v[29:30]
	v_add_nc_u32_e32 v29, -5, v28
	v_add_co_u32 v123, vcc_lo, s10, v117
	s_wait_alu 0xfffd
	v_add_co_ci_u32_e64 v124, null, s11, v118, vcc_lo
	s_delay_alu instid0(VALU_DEP_4)
	v_add_co_u32 v121, vcc_lo, s8, v121
	s_wait_alu 0xfffd
	v_add_co_ci_u32_e64 v122, null, s9, v122, vcc_lo
	global_load_b128 v[117:120], v[119:120], off
	v_add_nc_u32_e32 v28, 0x500, v28
	s_wait_loadcnt 0x10
	v_fma_f64 v[12:13], v[39:40], v[53:54], v[12:13]
	v_fma_f64 v[20:21], v[37:38], v[53:54], v[20:21]
	v_fma_f64 v[22:23], v[41:42], v[53:54], v[22:23]
	v_fma_f64 v[24:25], v[43:44], v[53:54], v[24:25]
	v_fma_f64 v[16:17], v[45:46], v[53:54], v[16:17]
	v_fma_f64 v[18:19], v[47:48], v[53:54], v[18:19]
	v_fma_f64 v[10:11], v[49:50], v[53:54], v[10:11]
	v_fma_f64 v[14:15], v[51:52], v[53:54], v[14:15]
	v_fma_f64 v[12:13], v[37:38], v[55:56], v[12:13]
	v_lshlrev_b64_e32 v[37:38], 4, v[29:30]
	v_fma_f64 v[20:21], -v[39:40], v[55:56], v[20:21]
	v_fma_f64 v[22:23], -v[43:44], v[55:56], v[22:23]
	v_fma_f64 v[24:25], v[41:42], v[55:56], v[24:25]
	v_fma_f64 v[16:17], -v[47:48], v[55:56], v[16:17]
	v_fma_f64 v[18:19], v[45:46], v[55:56], v[18:19]
	v_add_co_u32 v125, vcc_lo, s8, v37
	s_wait_alu 0xfffd
	v_add_co_ci_u32_e64 v126, null, s9, v38, vcc_lo
	global_load_b128 v[37:40], v[123:124], off
	s_clause 0x1
	global_load_b128 v[41:44], v[121:122], off
	global_load_b128 v[121:124], v[125:126], off
	v_fma_f64 v[10:11], -v[51:52], v[55:56], v[10:11]
	v_fma_f64 v[14:15], v[49:50], v[55:56], v[14:15]
	v_cmp_ge_i32_e32 vcc_lo, v26, v32
	s_wait_alu 0xfffe
	s_or_b32 s2, vcc_lo, s2
	s_wait_loadcnt 0x12
	v_fma_f64 v[12:13], v[35:36], v[57:58], v[12:13]
	v_fma_f64 v[20:21], v[33:34], v[57:58], v[20:21]
	s_wait_loadcnt 0x11
	v_fma_f64 v[22:23], v[61:62], v[57:58], v[22:23]
	v_fma_f64 v[24:25], v[63:64], v[57:58], v[24:25]
	s_wait_loadcnt 0x10
	v_fma_f64 v[16:17], v[65:66], v[57:58], v[16:17]
	v_fma_f64 v[18:19], v[67:68], v[57:58], v[18:19]
	s_wait_loadcnt 0xf
	v_fma_f64 v[10:11], v[69:70], v[57:58], v[10:11]
	v_fma_f64 v[14:15], v[71:72], v[57:58], v[14:15]
	v_fma_f64 v[12:13], v[33:34], v[59:60], v[12:13]
	v_fma_f64 v[20:21], -v[35:36], v[59:60], v[20:21]
	v_fma_f64 v[22:23], -v[63:64], v[59:60], v[22:23]
	v_fma_f64 v[24:25], v[61:62], v[59:60], v[24:25]
	v_fma_f64 v[16:17], -v[67:68], v[59:60], v[16:17]
	v_fma_f64 v[18:19], v[65:66], v[59:60], v[18:19]
	v_fma_f64 v[10:11], -v[71:72], v[59:60], v[10:11]
	v_fma_f64 v[14:15], v[69:70], v[59:60], v[14:15]
	s_wait_loadcnt 0xc
	v_fma_f64 v[12:13], v[79:80], v[81:82], v[12:13]
	v_fma_f64 v[20:21], v[77:78], v[81:82], v[20:21]
	s_wait_loadcnt 0xb
	v_fma_f64 v[22:23], v[85:86], v[81:82], v[22:23]
	v_fma_f64 v[24:25], v[87:88], v[81:82], v[24:25]
	s_wait_loadcnt 0xa
	v_fma_f64 v[16:17], v[89:90], v[81:82], v[16:17]
	v_fma_f64 v[18:19], v[91:92], v[81:82], v[18:19]
	s_wait_loadcnt 0x9
	v_fma_f64 v[10:11], v[93:94], v[81:82], v[10:11]
	v_fma_f64 v[14:15], v[95:96], v[81:82], v[14:15]
	v_fma_f64 v[12:13], v[77:78], v[83:84], v[12:13]
	v_fma_f64 v[20:21], -v[79:80], v[83:84], v[20:21]
	v_fma_f64 v[22:23], -v[87:88], v[83:84], v[22:23]
	v_fma_f64 v[24:25], v[85:86], v[83:84], v[24:25]
	v_fma_f64 v[16:17], -v[91:92], v[83:84], v[16:17]
	v_fma_f64 v[18:19], v[89:90], v[83:84], v[18:19]
	v_fma_f64 v[10:11], -v[95:96], v[83:84], v[10:11]
	v_fma_f64 v[14:15], v[93:94], v[83:84], v[14:15]
	;; [unrolled: 20-line block ×3, first 2 shown]
	s_wait_loadcnt 0x2
	v_fma_f64 v[20:21], v[117:118], v[37:38], v[20:21]
	v_fma_f64 v[12:13], v[119:120], v[37:38], v[12:13]
	s_wait_loadcnt 0x1
	v_fma_f64 v[22:23], v[41:42], v[37:38], v[22:23]
	v_fma_f64 v[24:25], v[43:44], v[37:38], v[24:25]
	;; [unrolled: 3-line block ×3, first 2 shown]
	v_fma_f64 v[10:11], v[97:98], v[37:38], v[10:11]
	v_fma_f64 v[14:15], v[99:100], v[37:38], v[14:15]
	v_fma_f64 v[20:21], -v[119:120], v[39:40], v[20:21]
	v_fma_f64 v[12:13], v[117:118], v[39:40], v[12:13]
	v_fma_f64 v[22:23], -v[43:44], v[39:40], v[22:23]
	;; [unrolled: 2-line block ×4, first 2 shown]
	v_fma_f64 v[14:15], v[97:98], v[39:40], v[14:15]
	s_wait_alu 0xfffe
	s_and_not1_b32 exec_lo, exec_lo, s2
	s_cbranch_execnz .LBB130_13
; %bb.14:
	s_or_b32 exec_lo, exec_lo, s2
.LBB130_15:
	s_wait_alu 0xfffe
	s_or_b32 exec_lo, exec_lo, s3
.LBB130_16:
	v_mbcnt_lo_u32_b32 v44, -1, 0
	s_delay_alu instid0(VALU_DEP_1) | instskip(NEXT) | instid1(VALU_DEP_1)
	v_or_b32_e32 v26, 32, v44
	v_cmp_gt_i32_e32 vcc_lo, 32, v26
	s_wait_alu 0xfffd
	v_cndmask_b32_e32 v26, v44, v26, vcc_lo
	s_delay_alu instid0(VALU_DEP_1)
	v_lshlrev_b32_e32 v41, 2, v26
	ds_bpermute_b32 v26, v41, v20
	ds_bpermute_b32 v27, v41, v21
	ds_bpermute_b32 v28, v41, v12
	ds_bpermute_b32 v29, v41, v13
	ds_bpermute_b32 v30, v41, v22
	ds_bpermute_b32 v31, v41, v23
	ds_bpermute_b32 v32, v41, v24
	ds_bpermute_b32 v33, v41, v25
	ds_bpermute_b32 v34, v41, v16
	ds_bpermute_b32 v35, v41, v17
	ds_bpermute_b32 v36, v41, v18
	ds_bpermute_b32 v37, v41, v19
	ds_bpermute_b32 v38, v41, v10
	ds_bpermute_b32 v39, v41, v11
	ds_bpermute_b32 v40, v41, v14
	ds_bpermute_b32 v41, v41, v15
	s_wait_dscnt 0xe
	v_add_f64_e32 v[20:21], v[20:21], v[26:27]
	v_xor_b32_e32 v26, 16, v44
	s_wait_dscnt 0xc
	v_add_f64_e32 v[12:13], v[12:13], v[28:29]
	s_wait_dscnt 0xa
	v_add_f64_e32 v[22:23], v[22:23], v[30:31]
	s_wait_dscnt 0x8
	v_add_f64_e32 v[24:25], v[24:25], v[32:33]
	v_cmp_gt_i32_e32 vcc_lo, 32, v26
	s_wait_dscnt 0x6
	v_add_f64_e32 v[16:17], v[16:17], v[34:35]
	s_wait_dscnt 0x4
	v_add_f64_e32 v[18:19], v[18:19], v[36:37]
	s_wait_dscnt 0x2
	v_add_f64_e32 v[10:11], v[10:11], v[38:39]
	s_wait_alu 0xfffd
	v_cndmask_b32_e32 v26, v44, v26, vcc_lo
	s_wait_dscnt 0x0
	v_add_f64_e32 v[14:15], v[14:15], v[40:41]
	s_delay_alu instid0(VALU_DEP_2)
	v_lshlrev_b32_e32 v41, 2, v26
	ds_bpermute_b32 v26, v41, v20
	ds_bpermute_b32 v27, v41, v21
	ds_bpermute_b32 v28, v41, v12
	ds_bpermute_b32 v29, v41, v13
	ds_bpermute_b32 v30, v41, v22
	ds_bpermute_b32 v31, v41, v23
	ds_bpermute_b32 v32, v41, v24
	ds_bpermute_b32 v33, v41, v25
	ds_bpermute_b32 v34, v41, v16
	ds_bpermute_b32 v35, v41, v17
	ds_bpermute_b32 v36, v41, v18
	ds_bpermute_b32 v37, v41, v19
	ds_bpermute_b32 v38, v41, v10
	ds_bpermute_b32 v39, v41, v11
	ds_bpermute_b32 v40, v41, v14
	ds_bpermute_b32 v41, v41, v15
	s_wait_dscnt 0xe
	v_add_f64_e32 v[20:21], v[20:21], v[26:27]
	v_xor_b32_e32 v26, 8, v44
	s_wait_dscnt 0xc
	v_add_f64_e32 v[12:13], v[12:13], v[28:29]
	s_wait_dscnt 0xa
	v_add_f64_e32 v[22:23], v[22:23], v[30:31]
	s_wait_dscnt 0x8
	v_add_f64_e32 v[24:25], v[24:25], v[32:33]
	v_cmp_gt_i32_e32 vcc_lo, 32, v26
	s_wait_dscnt 0x6
	v_add_f64_e32 v[16:17], v[16:17], v[34:35]
	s_wait_dscnt 0x4
	v_add_f64_e32 v[18:19], v[18:19], v[36:37]
	s_wait_dscnt 0x2
	v_add_f64_e32 v[10:11], v[10:11], v[38:39]
	s_wait_alu 0xfffd
	v_cndmask_b32_e32 v26, v44, v26, vcc_lo
	s_wait_dscnt 0x0
	v_add_f64_e32 v[14:15], v[14:15], v[40:41]
	s_delay_alu instid0(VALU_DEP_2)
	;; [unrolled: 38-line block ×3, first 2 shown]
	v_lshlrev_b32_e32 v41, 2, v26
	ds_bpermute_b32 v26, v41, v20
	ds_bpermute_b32 v27, v41, v21
	;; [unrolled: 1-line block ×16, first 2 shown]
	s_wait_dscnt 0xe
	v_add_f64_e32 v[20:21], v[20:21], v[26:27]
	s_wait_dscnt 0xc
	v_add_f64_e32 v[12:13], v[12:13], v[28:29]
	;; [unrolled: 2-line block ×7, first 2 shown]
	v_xor_b32_e32 v10, 2, v44
	s_wait_dscnt 0x0
	v_add_f64_e32 v[30:31], v[14:15], v[40:41]
	s_delay_alu instid0(VALU_DEP_2) | instskip(SKIP_2) | instid1(VALU_DEP_1)
	v_cmp_gt_i32_e32 vcc_lo, 32, v10
	s_wait_alu 0xfffd
	v_cndmask_b32_e32 v10, v44, v10, vcc_lo
	v_lshlrev_b32_e32 v24, 2, v10
	ds_bpermute_b32 v10, v24, v20
	ds_bpermute_b32 v11, v24, v21
	;; [unrolled: 1-line block ×16, first 2 shown]
	s_wait_dscnt 0xe
	v_add_f64_e32 v[10:11], v[20:21], v[10:11]
	s_wait_dscnt 0xc
	v_add_f64_e32 v[24:25], v[12:13], v[14:15]
	;; [unrolled: 2-line block ×4, first 2 shown]
	v_xor_b32_e32 v26, 1, v44
	s_wait_dscnt 0x6
	v_add_f64_e32 v[14:15], v[16:17], v[36:37]
	s_wait_dscnt 0x4
	v_add_f64_e32 v[20:21], v[18:19], v[38:39]
	;; [unrolled: 2-line block ×3, first 2 shown]
	v_cmp_gt_i32_e32 vcc_lo, 32, v26
	s_wait_dscnt 0x0
	v_add_f64_e32 v[18:19], v[30:31], v[42:43]
	s_wait_alu 0xfffd
	v_cndmask_b32_e32 v26, v44, v26, vcc_lo
	v_cmp_eq_u32_e32 vcc_lo, 63, v0
	s_delay_alu instid0(VALU_DEP_2)
	v_lshlrev_b32_e32 v29, 2, v26
	ds_bpermute_b32 v40, v29, v10
	ds_bpermute_b32 v41, v29, v11
	;; [unrolled: 1-line block ×16, first 2 shown]
	s_and_b32 exec_lo, exec_lo, vcc_lo
	s_cbranch_execz .LBB130_21
; %bb.17:
	v_cmp_eq_f64_e32 vcc_lo, 0, v[5:6]
	v_cmp_eq_f64_e64 s2, 0, v[7:8]
	s_wait_dscnt 0xe
	v_add_f64_e32 v[10:11], v[10:11], v[40:41]
	s_wait_dscnt 0xc
	v_add_f64_e32 v[24:25], v[24:25], v[38:39]
	;; [unrolled: 2-line block ×8, first 2 shown]
	s_load_b64 s[0:1], s[0:1], 0x48
	s_and_b32 s2, vcc_lo, s2
	s_wait_alu 0xfffe
	s_and_saveexec_b32 s3, s2
	s_wait_alu 0xfffe
	s_xor_b32 s2, exec_lo, s3
	s_cbranch_execz .LBB130_19
; %bb.18:
	v_mul_f64_e64 v[5:6], v[24:25], -v[3:4]
	v_mul_f64_e32 v[7:8], v[1:2], v[24:25]
	v_mul_f64_e64 v[24:25], v[22:23], -v[3:4]
	v_mul_f64_e32 v[22:23], v[1:2], v[22:23]
	;; [unrolled: 2-line block ×4, first 2 shown]
	v_fma_f64 v[5:6], v[1:2], v[10:11], v[5:6]
	v_fma_f64 v[7:8], v[3:4], v[10:11], v[7:8]
	;; [unrolled: 1-line block ×8, first 2 shown]
	v_lshlrev_b32_e32 v14, 2, v9
                                        ; implicit-def: $vgpr9
                                        ; implicit-def: $vgpr24_vgpr25
                                        ; implicit-def: $vgpr22_vgpr23
                                        ; implicit-def: $vgpr16_vgpr17
	s_delay_alu instid0(VALU_DEP_1) | instskip(NEXT) | instid1(VALU_DEP_1)
	v_ashrrev_i32_e32 v15, 31, v14
	v_lshlrev_b64_e32 v[14:15], 4, v[14:15]
	s_wait_kmcnt 0x0
	s_delay_alu instid0(VALU_DEP_1) | instskip(SKIP_1) | instid1(VALU_DEP_2)
	v_add_co_u32 v14, vcc_lo, s0, v14
	s_wait_alu 0xfffd
	v_add_co_ci_u32_e64 v15, null, s1, v15, vcc_lo
	s_clause 0x3
	global_store_b128 v[14:15], v[5:8], off
	global_store_b128 v[14:15], v[10:13], off offset:16
	global_store_b128 v[14:15], v[18:21], off offset:32
	;; [unrolled: 1-line block ×3, first 2 shown]
                                        ; implicit-def: $vgpr10_vgpr11
                                        ; implicit-def: $vgpr12_vgpr13
                                        ; implicit-def: $vgpr14_vgpr15
                                        ; implicit-def: $vgpr20_vgpr21
                                        ; implicit-def: $vgpr18_vgpr19
                                        ; implicit-def: $vgpr7_vgpr8
                                        ; implicit-def: $vgpr3_vgpr4
.LBB130_19:
	s_wait_alu 0xfffe
	s_and_not1_saveexec_b32 s2, s2
	s_cbranch_execz .LBB130_21
; %bb.20:
	v_lshlrev_b32_e32 v26, 2, v9
	v_mul_f64_e64 v[44:45], v[24:25], -v[3:4]
	v_mul_f64_e32 v[24:25], v[1:2], v[24:25]
	v_mul_f64_e64 v[46:47], v[22:23], -v[3:4]
	v_mul_f64_e32 v[22:23], v[1:2], v[22:23]
	v_ashrrev_i32_e32 v27, 31, v26
	v_mul_f64_e64 v[48:49], v[20:21], -v[3:4]
	v_mul_f64_e32 v[20:21], v[1:2], v[20:21]
	v_mul_f64_e64 v[50:51], v[18:19], -v[3:4]
	v_mul_f64_e32 v[18:19], v[1:2], v[18:19]
	v_lshlrev_b64_e32 v[26:27], 4, v[26:27]
	s_wait_kmcnt 0x0
	s_delay_alu instid0(VALU_DEP_1) | instskip(SKIP_1) | instid1(VALU_DEP_2)
	v_add_co_u32 v42, vcc_lo, s0, v26
	s_wait_alu 0xfffd
	v_add_co_ci_u32_e64 v43, null, s1, v27, vcc_lo
	s_clause 0x3
	global_load_b128 v[26:29], v[42:43], off
	global_load_b128 v[30:33], v[42:43], off offset:16
	global_load_b128 v[34:37], v[42:43], off offset:32
	;; [unrolled: 1-line block ×3, first 2 shown]
	v_fma_f64 v[44:45], v[1:2], v[10:11], v[44:45]
	v_fma_f64 v[9:10], v[3:4], v[10:11], v[24:25]
	;; [unrolled: 1-line block ×8, first 2 shown]
	s_wait_loadcnt 0x3
	v_fma_f64 v[15:16], v[5:6], v[26:27], v[44:45]
	v_fma_f64 v[9:10], v[7:8], v[26:27], v[9:10]
	s_wait_loadcnt 0x2
	v_fma_f64 v[17:18], v[5:6], v[30:31], v[24:25]
	v_fma_f64 v[11:12], v[7:8], v[30:31], v[11:12]
	;; [unrolled: 3-line block ×4, first 2 shown]
	v_fma_f64 v[0:1], -v[7:8], v[28:29], v[15:16]
	v_fma_f64 v[2:3], v[5:6], v[28:29], v[9:10]
	v_fma_f64 v[9:10], -v[7:8], v[32:33], v[17:18]
	v_fma_f64 v[11:12], v[5:6], v[32:33], v[11:12]
	;; [unrolled: 2-line block ×4, first 2 shown]
	s_clause 0x3
	global_store_b128 v[42:43], v[0:3], off
	global_store_b128 v[42:43], v[9:12], off offset:16
	global_store_b128 v[42:43], v[13:16], off offset:32
	;; [unrolled: 1-line block ×3, first 2 shown]
.LBB130_21:
	s_nop 0
	s_sendmsg sendmsg(MSG_DEALLOC_VGPRS)
	s_endpgm
	.section	.rodata,"a",@progbits
	.p2align	6, 0x0
	.amdhsa_kernel _ZN9rocsparseL19gebsrmvn_4xn_kernelILj128ELj5ELj64E21rocsparse_complex_numIdEEEvi20rocsparse_direction_NS_24const_host_device_scalarIT2_EEPKiS8_PKS5_SA_S6_PS5_21rocsparse_index_base_b
		.amdhsa_group_segment_fixed_size 0
		.amdhsa_private_segment_fixed_size 0
		.amdhsa_kernarg_size 88
		.amdhsa_user_sgpr_count 2
		.amdhsa_user_sgpr_dispatch_ptr 0
		.amdhsa_user_sgpr_queue_ptr 0
		.amdhsa_user_sgpr_kernarg_segment_ptr 1
		.amdhsa_user_sgpr_dispatch_id 0
		.amdhsa_user_sgpr_private_segment_size 0
		.amdhsa_wavefront_size32 1
		.amdhsa_uses_dynamic_stack 0
		.amdhsa_enable_private_segment 0
		.amdhsa_system_sgpr_workgroup_id_x 1
		.amdhsa_system_sgpr_workgroup_id_y 0
		.amdhsa_system_sgpr_workgroup_id_z 0
		.amdhsa_system_sgpr_workgroup_info 0
		.amdhsa_system_vgpr_workitem_id 0
		.amdhsa_next_free_vgpr 133
		.amdhsa_next_free_sgpr 14
		.amdhsa_reserve_vcc 1
		.amdhsa_float_round_mode_32 0
		.amdhsa_float_round_mode_16_64 0
		.amdhsa_float_denorm_mode_32 3
		.amdhsa_float_denorm_mode_16_64 3
		.amdhsa_fp16_overflow 0
		.amdhsa_workgroup_processor_mode 1
		.amdhsa_memory_ordered 1
		.amdhsa_forward_progress 1
		.amdhsa_inst_pref_size 46
		.amdhsa_round_robin_scheduling 0
		.amdhsa_exception_fp_ieee_invalid_op 0
		.amdhsa_exception_fp_denorm_src 0
		.amdhsa_exception_fp_ieee_div_zero 0
		.amdhsa_exception_fp_ieee_overflow 0
		.amdhsa_exception_fp_ieee_underflow 0
		.amdhsa_exception_fp_ieee_inexact 0
		.amdhsa_exception_int_div_zero 0
	.end_amdhsa_kernel
	.section	.text._ZN9rocsparseL19gebsrmvn_4xn_kernelILj128ELj5ELj64E21rocsparse_complex_numIdEEEvi20rocsparse_direction_NS_24const_host_device_scalarIT2_EEPKiS8_PKS5_SA_S6_PS5_21rocsparse_index_base_b,"axG",@progbits,_ZN9rocsparseL19gebsrmvn_4xn_kernelILj128ELj5ELj64E21rocsparse_complex_numIdEEEvi20rocsparse_direction_NS_24const_host_device_scalarIT2_EEPKiS8_PKS5_SA_S6_PS5_21rocsparse_index_base_b,comdat
.Lfunc_end130:
	.size	_ZN9rocsparseL19gebsrmvn_4xn_kernelILj128ELj5ELj64E21rocsparse_complex_numIdEEEvi20rocsparse_direction_NS_24const_host_device_scalarIT2_EEPKiS8_PKS5_SA_S6_PS5_21rocsparse_index_base_b, .Lfunc_end130-_ZN9rocsparseL19gebsrmvn_4xn_kernelILj128ELj5ELj64E21rocsparse_complex_numIdEEEvi20rocsparse_direction_NS_24const_host_device_scalarIT2_EEPKiS8_PKS5_SA_S6_PS5_21rocsparse_index_base_b
                                        ; -- End function
	.set _ZN9rocsparseL19gebsrmvn_4xn_kernelILj128ELj5ELj64E21rocsparse_complex_numIdEEEvi20rocsparse_direction_NS_24const_host_device_scalarIT2_EEPKiS8_PKS5_SA_S6_PS5_21rocsparse_index_base_b.num_vgpr, 133
	.set _ZN9rocsparseL19gebsrmvn_4xn_kernelILj128ELj5ELj64E21rocsparse_complex_numIdEEEvi20rocsparse_direction_NS_24const_host_device_scalarIT2_EEPKiS8_PKS5_SA_S6_PS5_21rocsparse_index_base_b.num_agpr, 0
	.set _ZN9rocsparseL19gebsrmvn_4xn_kernelILj128ELj5ELj64E21rocsparse_complex_numIdEEEvi20rocsparse_direction_NS_24const_host_device_scalarIT2_EEPKiS8_PKS5_SA_S6_PS5_21rocsparse_index_base_b.numbered_sgpr, 14
	.set _ZN9rocsparseL19gebsrmvn_4xn_kernelILj128ELj5ELj64E21rocsparse_complex_numIdEEEvi20rocsparse_direction_NS_24const_host_device_scalarIT2_EEPKiS8_PKS5_SA_S6_PS5_21rocsparse_index_base_b.num_named_barrier, 0
	.set _ZN9rocsparseL19gebsrmvn_4xn_kernelILj128ELj5ELj64E21rocsparse_complex_numIdEEEvi20rocsparse_direction_NS_24const_host_device_scalarIT2_EEPKiS8_PKS5_SA_S6_PS5_21rocsparse_index_base_b.private_seg_size, 0
	.set _ZN9rocsparseL19gebsrmvn_4xn_kernelILj128ELj5ELj64E21rocsparse_complex_numIdEEEvi20rocsparse_direction_NS_24const_host_device_scalarIT2_EEPKiS8_PKS5_SA_S6_PS5_21rocsparse_index_base_b.uses_vcc, 1
	.set _ZN9rocsparseL19gebsrmvn_4xn_kernelILj128ELj5ELj64E21rocsparse_complex_numIdEEEvi20rocsparse_direction_NS_24const_host_device_scalarIT2_EEPKiS8_PKS5_SA_S6_PS5_21rocsparse_index_base_b.uses_flat_scratch, 0
	.set _ZN9rocsparseL19gebsrmvn_4xn_kernelILj128ELj5ELj64E21rocsparse_complex_numIdEEEvi20rocsparse_direction_NS_24const_host_device_scalarIT2_EEPKiS8_PKS5_SA_S6_PS5_21rocsparse_index_base_b.has_dyn_sized_stack, 0
	.set _ZN9rocsparseL19gebsrmvn_4xn_kernelILj128ELj5ELj64E21rocsparse_complex_numIdEEEvi20rocsparse_direction_NS_24const_host_device_scalarIT2_EEPKiS8_PKS5_SA_S6_PS5_21rocsparse_index_base_b.has_recursion, 0
	.set _ZN9rocsparseL19gebsrmvn_4xn_kernelILj128ELj5ELj64E21rocsparse_complex_numIdEEEvi20rocsparse_direction_NS_24const_host_device_scalarIT2_EEPKiS8_PKS5_SA_S6_PS5_21rocsparse_index_base_b.has_indirect_call, 0
	.section	.AMDGPU.csdata,"",@progbits
; Kernel info:
; codeLenInByte = 5860
; TotalNumSgprs: 16
; NumVgprs: 133
; ScratchSize: 0
; MemoryBound: 0
; FloatMode: 240
; IeeeMode: 1
; LDSByteSize: 0 bytes/workgroup (compile time only)
; SGPRBlocks: 0
; VGPRBlocks: 16
; NumSGPRsForWavesPerEU: 16
; NumVGPRsForWavesPerEU: 133
; Occupancy: 10
; WaveLimiterHint : 1
; COMPUTE_PGM_RSRC2:SCRATCH_EN: 0
; COMPUTE_PGM_RSRC2:USER_SGPR: 2
; COMPUTE_PGM_RSRC2:TRAP_HANDLER: 0
; COMPUTE_PGM_RSRC2:TGID_X_EN: 1
; COMPUTE_PGM_RSRC2:TGID_Y_EN: 0
; COMPUTE_PGM_RSRC2:TGID_Z_EN: 0
; COMPUTE_PGM_RSRC2:TIDIG_COMP_CNT: 0
	.section	.text._ZN9rocsparseL19gebsrmvn_4xn_kernelILj128ELj6ELj4E21rocsparse_complex_numIdEEEvi20rocsparse_direction_NS_24const_host_device_scalarIT2_EEPKiS8_PKS5_SA_S6_PS5_21rocsparse_index_base_b,"axG",@progbits,_ZN9rocsparseL19gebsrmvn_4xn_kernelILj128ELj6ELj4E21rocsparse_complex_numIdEEEvi20rocsparse_direction_NS_24const_host_device_scalarIT2_EEPKiS8_PKS5_SA_S6_PS5_21rocsparse_index_base_b,comdat
	.globl	_ZN9rocsparseL19gebsrmvn_4xn_kernelILj128ELj6ELj4E21rocsparse_complex_numIdEEEvi20rocsparse_direction_NS_24const_host_device_scalarIT2_EEPKiS8_PKS5_SA_S6_PS5_21rocsparse_index_base_b ; -- Begin function _ZN9rocsparseL19gebsrmvn_4xn_kernelILj128ELj6ELj4E21rocsparse_complex_numIdEEEvi20rocsparse_direction_NS_24const_host_device_scalarIT2_EEPKiS8_PKS5_SA_S6_PS5_21rocsparse_index_base_b
	.p2align	8
	.type	_ZN9rocsparseL19gebsrmvn_4xn_kernelILj128ELj6ELj4E21rocsparse_complex_numIdEEEvi20rocsparse_direction_NS_24const_host_device_scalarIT2_EEPKiS8_PKS5_SA_S6_PS5_21rocsparse_index_base_b,@function
_ZN9rocsparseL19gebsrmvn_4xn_kernelILj128ELj6ELj4E21rocsparse_complex_numIdEEEvi20rocsparse_direction_NS_24const_host_device_scalarIT2_EEPKiS8_PKS5_SA_S6_PS5_21rocsparse_index_base_b: ; @_ZN9rocsparseL19gebsrmvn_4xn_kernelILj128ELj6ELj4E21rocsparse_complex_numIdEEEvi20rocsparse_direction_NS_24const_host_device_scalarIT2_EEPKiS8_PKS5_SA_S6_PS5_21rocsparse_index_base_b
; %bb.0:
	s_clause 0x1
	s_load_b64 s[12:13], s[0:1], 0x50
	s_load_b64 s[2:3], s[0:1], 0x8
	s_add_nc_u64 s[4:5], s[0:1], 8
	s_load_b64 s[6:7], s[0:1], 0x38
	s_wait_kmcnt 0x0
	s_bitcmp1_b32 s13, 0
	s_cselect_b32 s2, s4, s2
	s_cselect_b32 s3, s5, s3
	s_delay_alu instid0(SALU_CYCLE_1)
	v_dual_mov_b32 v1, s2 :: v_dual_mov_b32 v2, s3
	s_add_nc_u64 s[2:3], s[0:1], 56
	s_wait_alu 0xfffe
	s_cselect_b32 s2, s2, s6
	s_cselect_b32 s3, s3, s7
	flat_load_b128 v[1:4], v[1:2]
	s_wait_alu 0xfffe
	v_dual_mov_b32 v5, s2 :: v_dual_mov_b32 v6, s3
	flat_load_b128 v[5:8], v[5:6]
	s_wait_loadcnt_dscnt 0x101
	v_cmp_eq_f64_e32 vcc_lo, 0, v[1:2]
	v_cmp_eq_f64_e64 s2, 0, v[3:4]
	s_and_b32 s4, vcc_lo, s2
	s_mov_b32 s2, -1
	s_and_saveexec_b32 s3, s4
	s_cbranch_execz .LBB131_2
; %bb.1:
	s_wait_loadcnt_dscnt 0x0
	v_cmp_neq_f64_e32 vcc_lo, 1.0, v[5:6]
	v_cmp_neq_f64_e64 s2, 0, v[7:8]
	s_wait_alu 0xfffe
	s_or_b32 s2, vcc_lo, s2
	s_wait_alu 0xfffe
	s_or_not1_b32 s2, s2, exec_lo
.LBB131_2:
	s_wait_alu 0xfffe
	s_or_b32 exec_lo, exec_lo, s3
	s_and_saveexec_b32 s3, s2
	s_cbranch_execz .LBB131_25
; %bb.3:
	s_load_b64 s[2:3], s[0:1], 0x0
	v_lshrrev_b32_e32 v9, 2, v0
	s_delay_alu instid0(VALU_DEP_1) | instskip(SKIP_1) | instid1(VALU_DEP_1)
	v_lshl_or_b32 v9, ttmp9, 5, v9
	s_wait_kmcnt 0x0
	v_cmp_gt_i32_e32 vcc_lo, s2, v9
	s_and_b32 exec_lo, exec_lo, vcc_lo
	s_cbranch_execz .LBB131_25
; %bb.4:
	s_load_b256 s[4:11], s[0:1], 0x18
	v_ashrrev_i32_e32 v10, 31, v9
	v_and_b32_e32 v0, 3, v0
	s_cmp_lg_u32 s3, 0
	s_delay_alu instid0(VALU_DEP_2) | instskip(SKIP_1) | instid1(VALU_DEP_1)
	v_lshlrev_b64_e32 v[10:11], 2, v[9:10]
	s_wait_kmcnt 0x0
	v_add_co_u32 v10, vcc_lo, s4, v10
	s_delay_alu instid0(VALU_DEP_1) | instskip(SKIP_4) | instid1(VALU_DEP_2)
	v_add_co_ci_u32_e64 v11, null, s5, v11, vcc_lo
	global_load_b64 v[10:11], v[10:11], off
	s_wait_loadcnt 0x0
	v_subrev_nc_u32_e32 v10, s12, v10
	v_subrev_nc_u32_e32 v33, s12, v11
	v_add_nc_u32_e32 v10, v10, v0
	s_delay_alu instid0(VALU_DEP_1)
	v_cmp_lt_i32_e64 s2, v10, v33
	s_cbranch_scc0 .LBB131_12
; %bb.5:
	v_mov_b32_e32 v12, 0
	v_mov_b32_e32 v14, 0
	v_mov_b32_e32 v20, 0
	v_dual_mov_b32 v24, 0 :: v_dual_mov_b32 v13, 0
	v_dual_mov_b32 v18, 0 :: v_dual_mov_b32 v15, 0
	;; [unrolled: 1-line block ×5, first 2 shown]
	v_mov_b32_e32 v17, 0
	v_mov_b32_e32 v23, 0
	v_mov_b32_e32 v27, 0
	s_and_saveexec_b32 s3, s2
	s_cbranch_execz .LBB131_11
; %bb.6:
	v_dual_mov_b32 v12, 0 :: v_dual_mov_b32 v29, 0
	v_dual_mov_b32 v13, 0 :: v_dual_mov_b32 v18, 0
	;; [unrolled: 1-line block ×5, first 2 shown]
	v_mul_lo_u32 v11, v10, 24
	v_dual_mov_b32 v21, 0 :: v_dual_mov_b32 v22, 0
	v_dual_mov_b32 v23, 0 :: v_dual_mov_b32 v24, 0
	;; [unrolled: 1-line block ×4, first 2 shown]
	s_mov_b32 s4, 0
.LBB131_7:                              ; =>This Loop Header: Depth=1
                                        ;     Child Loop BB131_8 Depth 2
	s_delay_alu instid0(VALU_DEP_1) | instskip(SKIP_1) | instid1(VALU_DEP_1)
	v_ashrrev_i32_e32 v31, 31, v30
	s_mov_b32 s5, 0
	v_lshlrev_b64_e32 v[31:32], 2, v[30:31]
	s_delay_alu instid0(VALU_DEP_1) | instskip(SKIP_1) | instid1(VALU_DEP_2)
	v_add_co_u32 v31, vcc_lo, s6, v31
	s_wait_alu 0xfffd
	v_add_co_ci_u32_e64 v32, null, s7, v32, vcc_lo
	global_load_b32 v28, v[31:32], off
	s_wait_loadcnt 0x0
	v_subrev_nc_u32_e32 v28, s12, v28
	s_delay_alu instid0(VALU_DEP_1)
	v_mul_lo_u32 v31, v28, 6
	v_mov_b32_e32 v28, v11
.LBB131_8:                              ;   Parent Loop BB131_7 Depth=1
                                        ; =>  This Inner Loop Header: Depth=2
	s_wait_alu 0xfffe
	s_delay_alu instid0(VALU_DEP_2) | instskip(NEXT) | instid1(VALU_DEP_2)
	v_dual_mov_b32 v35, v29 :: v_dual_add_nc_u32 v34, s5, v31
	v_lshlrev_b64_e32 v[36:37], 4, v[28:29]
	v_dual_mov_b32 v59, v29 :: v_dual_add_nc_u32 v58, 4, v28
	v_add_nc_u32_e32 v28, 8, v28
	s_delay_alu instid0(VALU_DEP_4) | instskip(SKIP_1) | instid1(VALU_DEP_4)
	v_lshlrev_b64_e32 v[34:35], 4, v[34:35]
	s_add_co_i32 s5, s5, 2
	v_add_co_u32 v46, vcc_lo, s8, v36
	s_wait_alu 0xfffd
	v_add_co_ci_u32_e64 v47, null, s9, v37, vcc_lo
	s_delay_alu instid0(VALU_DEP_3)
	v_add_co_u32 v54, vcc_lo, s10, v34
	s_wait_alu 0xfffd
	v_add_co_ci_u32_e64 v55, null, s11, v35, vcc_lo
	s_clause 0x3
	global_load_b128 v[34:37], v[46:47], off offset:48
	global_load_b128 v[38:41], v[46:47], off offset:32
	;; [unrolled: 1-line block ×3, first 2 shown]
	global_load_b128 v[46:49], v[46:47], off
	s_clause 0x1
	global_load_b128 v[50:53], v[54:55], off
	global_load_b128 v[54:57], v[54:55], off offset:16
	v_lshlrev_b64_e32 v[58:59], 4, v[58:59]
	s_wait_alu 0xfffe
	s_cmp_eq_u32 s5, 6
	s_delay_alu instid0(VALU_DEP_1) | instskip(SKIP_1) | instid1(VALU_DEP_2)
	v_add_co_u32 v70, vcc_lo, s8, v58
	s_wait_alu 0xfffd
	v_add_co_ci_u32_e64 v71, null, s9, v59, vcc_lo
	s_clause 0x3
	global_load_b128 v[58:61], v[70:71], off
	global_load_b128 v[62:65], v[70:71], off offset:16
	global_load_b128 v[66:69], v[70:71], off offset:32
	global_load_b128 v[70:73], v[70:71], off offset:48
	s_wait_loadcnt 0x5
	v_fma_f64 v[18:19], v[46:47], v[50:51], v[18:19]
	v_fma_f64 v[12:13], v[48:49], v[50:51], v[12:13]
	;; [unrolled: 1-line block ×8, first 2 shown]
	v_fma_f64 v[18:19], -v[48:49], v[52:53], v[18:19]
	v_fma_f64 v[12:13], v[46:47], v[52:53], v[12:13]
	v_fma_f64 v[24:25], -v[44:45], v[52:53], v[24:25]
	v_fma_f64 v[26:27], v[42:43], v[52:53], v[26:27]
	;; [unrolled: 2-line block ×4, first 2 shown]
	s_wait_loadcnt 0x3
	v_fma_f64 v[18:19], v[58:59], v[54:55], v[18:19]
	v_fma_f64 v[12:13], v[60:61], v[54:55], v[12:13]
	s_wait_loadcnt 0x2
	v_fma_f64 v[24:25], v[62:63], v[54:55], v[24:25]
	v_fma_f64 v[26:27], v[64:65], v[54:55], v[26:27]
	;; [unrolled: 3-line block ×4, first 2 shown]
	v_fma_f64 v[18:19], -v[60:61], v[56:57], v[18:19]
	v_fma_f64 v[12:13], v[58:59], v[56:57], v[12:13]
	v_fma_f64 v[24:25], -v[64:65], v[56:57], v[24:25]
	v_fma_f64 v[26:27], v[62:63], v[56:57], v[26:27]
	;; [unrolled: 2-line block ×4, first 2 shown]
	s_cbranch_scc0 .LBB131_8
; %bb.9:                                ;   in Loop: Header=BB131_7 Depth=1
	v_add_nc_u32_e32 v30, 4, v30
	v_add_nc_u32_e32 v11, 0x60, v11
	s_delay_alu instid0(VALU_DEP_2)
	v_cmp_ge_i32_e32 vcc_lo, v30, v33
	s_or_b32 s4, vcc_lo, s4
	s_wait_alu 0xfffe
	s_and_not1_b32 exec_lo, exec_lo, s4
	s_cbranch_execnz .LBB131_7
; %bb.10:
	s_or_b32 exec_lo, exec_lo, s4
.LBB131_11:
	s_wait_alu 0xfffe
	s_or_b32 exec_lo, exec_lo, s3
	s_cbranch_execz .LBB131_13
	s_branch .LBB131_20
.LBB131_12:
                                        ; implicit-def: $vgpr12_vgpr13
                                        ; implicit-def: $vgpr18_vgpr19
                                        ; implicit-def: $vgpr14_vgpr15
                                        ; implicit-def: $vgpr16_vgpr17
                                        ; implicit-def: $vgpr20_vgpr21
                                        ; implicit-def: $vgpr22_vgpr23
                                        ; implicit-def: $vgpr24_vgpr25
                                        ; implicit-def: $vgpr26_vgpr27
.LBB131_13:
	v_mov_b32_e32 v12, 0
	v_mov_b32_e32 v14, 0
	v_mov_b32_e32 v20, 0
	v_dual_mov_b32 v24, 0 :: v_dual_mov_b32 v13, 0
	v_dual_mov_b32 v18, 0 :: v_dual_mov_b32 v15, 0
	;; [unrolled: 1-line block ×5, first 2 shown]
	v_mov_b32_e32 v17, 0
	v_mov_b32_e32 v23, 0
	;; [unrolled: 1-line block ×3, first 2 shown]
	s_and_saveexec_b32 s4, s2
	s_cbranch_execz .LBB131_19
; %bb.14:
	v_mul_lo_u32 v28, v10, 24
	v_mov_b32_e32 v12, 0
	v_mov_b32_e32 v14, 0
	;; [unrolled: 1-line block ×3, first 2 shown]
	v_dual_mov_b32 v24, 0 :: v_dual_mov_b32 v13, 0
	v_dual_mov_b32 v18, 0 :: v_dual_mov_b32 v15, 0
	;; [unrolled: 1-line block ×5, first 2 shown]
	v_mov_b32_e32 v17, 0
	v_mov_b32_e32 v23, 0
	v_dual_mov_b32 v27, 0 :: v_dual_mov_b32 v30, 0
	s_add_nc_u64 s[2:3], s[8:9], 16
	s_mov_b32 s5, 0
.LBB131_15:                             ; =>This Loop Header: Depth=1
                                        ;     Child Loop BB131_16 Depth 2
	v_ashrrev_i32_e32 v11, 31, v10
	s_delay_alu instid0(VALU_DEP_2) | instskip(SKIP_1) | instid1(VALU_DEP_2)
	v_mov_b32_e32 v29, v30
	s_mov_b32 s13, 0
	v_lshlrev_b64_e32 v[31:32], 2, v[10:11]
	s_delay_alu instid0(VALU_DEP_1) | instskip(SKIP_1) | instid1(VALU_DEP_2)
	v_add_co_u32 v31, vcc_lo, s6, v31
	s_wait_alu 0xfffd
	v_add_co_ci_u32_e64 v32, null, s7, v32, vcc_lo
	global_load_b32 v11, v[31:32], off
	v_lshlrev_b64_e32 v[31:32], 4, v[28:29]
	s_wait_alu 0xfffe
	s_delay_alu instid0(VALU_DEP_1) | instskip(SKIP_1) | instid1(VALU_DEP_2)
	v_add_co_u32 v31, vcc_lo, s2, v31
	s_wait_alu 0xfffd
	v_add_co_ci_u32_e64 v32, null, s3, v32, vcc_lo
	s_wait_loadcnt 0x0
	v_subrev_nc_u32_e32 v11, s12, v11
	s_delay_alu instid0(VALU_DEP_1)
	v_mul_lo_u32 v11, v11, 6
.LBB131_16:                             ;   Parent Loop BB131_15 Depth=1
                                        ; =>  This Inner Loop Header: Depth=2
	s_delay_alu instid0(VALU_DEP_1)
	v_add_nc_u32_e32 v29, s13, v11
	v_add_nc_u32_e32 v48, s13, v28
	s_clause 0x1
	global_load_b128 v[34:37], v[31:32], off
	global_load_b128 v[38:41], v[31:32], off offset:-16
	s_add_co_i32 s13, s13, 2
	s_wait_alu 0xfffe
	s_cmp_eq_u32 s13, 6
	v_lshlrev_b64_e32 v[42:43], 4, v[29:30]
	v_add_nc_u32_e32 v29, 6, v48
	s_delay_alu instid0(VALU_DEP_1) | instskip(SKIP_1) | instid1(VALU_DEP_4)
	v_lshlrev_b64_e32 v[44:45], 4, v[29:30]
	v_add_nc_u32_e32 v29, 12, v48
	v_add_co_u32 v46, vcc_lo, s10, v42
	s_wait_alu 0xfffd
	v_add_co_ci_u32_e64 v47, null, s11, v43, vcc_lo
	s_delay_alu instid0(VALU_DEP_3) | instskip(SKIP_4) | instid1(VALU_DEP_3)
	v_lshlrev_b64_e32 v[54:55], 4, v[29:30]
	v_add_nc_u32_e32 v29, 18, v48
	v_add_co_u32 v56, vcc_lo, s8, v44
	s_wait_alu 0xfffd
	v_add_co_ci_u32_e64 v57, null, s9, v45, vcc_lo
	v_lshlrev_b64_e32 v[58:59], 4, v[29:30]
	v_add_co_u32 v62, vcc_lo, s8, v54
	s_wait_alu 0xfffd
	v_add_co_ci_u32_e64 v63, null, s9, v55, vcc_lo
	s_clause 0x1
	global_load_b128 v[42:45], v[46:47], off offset:16
	global_load_b128 v[46:49], v[46:47], off
	v_add_co_u32 v70, vcc_lo, s8, v58
	s_wait_alu 0xfffd
	v_add_co_ci_u32_e64 v71, null, s9, v59, vcc_lo
	s_clause 0x5
	global_load_b128 v[50:53], v[56:57], off
	global_load_b128 v[54:57], v[56:57], off offset:16
	global_load_b128 v[58:61], v[62:63], off
	global_load_b128 v[62:65], v[62:63], off offset:16
	;; [unrolled: 2-line block ×3, first 2 shown]
	v_add_co_u32 v31, vcc_lo, v31, 32
	s_wait_alu 0xfffd
	v_add_co_ci_u32_e64 v32, null, 0, v32, vcc_lo
	s_wait_loadcnt 0x6
	v_fma_f64 v[18:19], v[38:39], v[46:47], v[18:19]
	v_fma_f64 v[12:13], v[40:41], v[46:47], v[12:13]
	s_wait_loadcnt 0x3
	v_fma_f64 v[20:21], v[58:59], v[46:47], v[20:21]
	v_fma_f64 v[22:23], v[60:61], v[46:47], v[22:23]
	;; [unrolled: 1-line block ×4, first 2 shown]
	s_wait_loadcnt 0x1
	v_fma_f64 v[14:15], v[66:67], v[46:47], v[14:15]
	v_fma_f64 v[16:17], v[68:69], v[46:47], v[16:17]
	v_fma_f64 v[18:19], -v[40:41], v[48:49], v[18:19]
	v_fma_f64 v[12:13], v[38:39], v[48:49], v[12:13]
	v_fma_f64 v[20:21], -v[60:61], v[48:49], v[20:21]
	;; [unrolled: 2-line block ×4, first 2 shown]
	v_fma_f64 v[16:17], v[66:67], v[48:49], v[16:17]
	v_fma_f64 v[18:19], v[34:35], v[42:43], v[18:19]
	;; [unrolled: 1-line block ×7, first 2 shown]
	s_wait_loadcnt 0x0
	v_fma_f64 v[14:15], v[70:71], v[42:43], v[14:15]
	v_fma_f64 v[16:17], v[72:73], v[42:43], v[16:17]
	v_fma_f64 v[18:19], -v[36:37], v[44:45], v[18:19]
	v_fma_f64 v[12:13], v[34:35], v[44:45], v[12:13]
	v_fma_f64 v[20:21], -v[64:65], v[44:45], v[20:21]
	;; [unrolled: 2-line block ×4, first 2 shown]
	v_fma_f64 v[16:17], v[70:71], v[44:45], v[16:17]
	s_cbranch_scc0 .LBB131_16
; %bb.17:                               ;   in Loop: Header=BB131_15 Depth=1
	v_add_nc_u32_e32 v10, 4, v10
	v_add_nc_u32_e32 v28, 0x60, v28
	s_delay_alu instid0(VALU_DEP_2)
	v_cmp_ge_i32_e32 vcc_lo, v10, v33
	s_or_b32 s5, vcc_lo, s5
	s_wait_alu 0xfffe
	s_and_not1_b32 exec_lo, exec_lo, s5
	s_cbranch_execnz .LBB131_15
; %bb.18:
	s_or_b32 exec_lo, exec_lo, s5
.LBB131_19:
	s_wait_alu 0xfffe
	s_or_b32 exec_lo, exec_lo, s4
.LBB131_20:
	v_mbcnt_lo_u32_b32 v44, -1, 0
	s_delay_alu instid0(VALU_DEP_1) | instskip(NEXT) | instid1(VALU_DEP_1)
	v_xor_b32_e32 v10, 2, v44
	v_cmp_gt_i32_e32 vcc_lo, 32, v10
	s_wait_alu 0xfffd
	v_cndmask_b32_e32 v10, v44, v10, vcc_lo
	s_delay_alu instid0(VALU_DEP_1)
	v_lshlrev_b32_e32 v32, 2, v10
	ds_bpermute_b32 v10, v32, v18
	ds_bpermute_b32 v11, v32, v19
	ds_bpermute_b32 v28, v32, v12
	ds_bpermute_b32 v29, v32, v13
	ds_bpermute_b32 v30, v32, v24
	ds_bpermute_b32 v31, v32, v25
	ds_bpermute_b32 v34, v32, v26
	ds_bpermute_b32 v35, v32, v27
	ds_bpermute_b32 v36, v32, v20
	ds_bpermute_b32 v37, v32, v21
	ds_bpermute_b32 v38, v32, v22
	ds_bpermute_b32 v39, v32, v23
	ds_bpermute_b32 v40, v32, v14
	ds_bpermute_b32 v41, v32, v15
	ds_bpermute_b32 v42, v32, v16
	ds_bpermute_b32 v43, v32, v17
	s_wait_dscnt 0xe
	v_add_f64_e32 v[10:11], v[18:19], v[10:11]
	s_wait_dscnt 0xc
	v_add_f64_e32 v[32:33], v[12:13], v[28:29]
	;; [unrolled: 2-line block ×7, first 2 shown]
	v_xor_b32_e32 v14, 1, v44
	s_wait_dscnt 0x0
	v_add_f64_e32 v[26:27], v[16:17], v[42:43]
	s_delay_alu instid0(VALU_DEP_2) | instskip(SKIP_3) | instid1(VALU_DEP_2)
	v_cmp_gt_i32_e32 vcc_lo, 32, v14
	s_wait_alu 0xfffd
	v_cndmask_b32_e32 v14, v44, v14, vcc_lo
	v_cmp_eq_u32_e32 vcc_lo, 3, v0
	v_lshlrev_b32_e32 v35, 2, v14
	ds_bpermute_b32 v40, v35, v10
	ds_bpermute_b32 v41, v35, v11
	;; [unrolled: 1-line block ×16, first 2 shown]
	s_and_b32 exec_lo, exec_lo, vcc_lo
	s_cbranch_execz .LBB131_25
; %bb.21:
	v_cmp_eq_f64_e32 vcc_lo, 0, v[5:6]
	v_cmp_eq_f64_e64 s2, 0, v[7:8]
	s_wait_dscnt 0xe
	v_add_f64_e32 v[10:11], v[10:11], v[40:41]
	s_wait_dscnt 0xc
	v_add_f64_e32 v[24:25], v[32:33], v[24:25]
	;; [unrolled: 2-line block ×8, first 2 shown]
	s_load_b64 s[0:1], s[0:1], 0x48
	s_and_b32 s2, vcc_lo, s2
	s_wait_alu 0xfffe
	s_and_saveexec_b32 s3, s2
	s_wait_alu 0xfffe
	s_xor_b32 s2, exec_lo, s3
	s_cbranch_execz .LBB131_23
; %bb.22:
	v_mul_f64_e64 v[5:6], v[24:25], -v[3:4]
	v_mul_f64_e32 v[7:8], v[1:2], v[24:25]
	v_mul_f64_e64 v[24:25], v[22:23], -v[3:4]
	v_mul_f64_e32 v[22:23], v[1:2], v[22:23]
	;; [unrolled: 2-line block ×4, first 2 shown]
	v_fma_f64 v[5:6], v[1:2], v[10:11], v[5:6]
	v_fma_f64 v[7:8], v[3:4], v[10:11], v[7:8]
	;; [unrolled: 1-line block ×8, first 2 shown]
	v_lshlrev_b32_e32 v14, 2, v9
                                        ; implicit-def: $vgpr9
                                        ; implicit-def: $vgpr24_vgpr25
                                        ; implicit-def: $vgpr22_vgpr23
                                        ; implicit-def: $vgpr16_vgpr17
	s_delay_alu instid0(VALU_DEP_1) | instskip(NEXT) | instid1(VALU_DEP_1)
	v_ashrrev_i32_e32 v15, 31, v14
	v_lshlrev_b64_e32 v[14:15], 4, v[14:15]
	s_wait_kmcnt 0x0
	s_delay_alu instid0(VALU_DEP_1) | instskip(SKIP_1) | instid1(VALU_DEP_2)
	v_add_co_u32 v14, vcc_lo, s0, v14
	s_wait_alu 0xfffd
	v_add_co_ci_u32_e64 v15, null, s1, v15, vcc_lo
	s_clause 0x3
	global_store_b128 v[14:15], v[5:8], off
	global_store_b128 v[14:15], v[10:13], off offset:16
	global_store_b128 v[14:15], v[18:21], off offset:32
	;; [unrolled: 1-line block ×3, first 2 shown]
                                        ; implicit-def: $vgpr10_vgpr11
                                        ; implicit-def: $vgpr12_vgpr13
                                        ; implicit-def: $vgpr14_vgpr15
                                        ; implicit-def: $vgpr20_vgpr21
                                        ; implicit-def: $vgpr18_vgpr19
                                        ; implicit-def: $vgpr7_vgpr8
                                        ; implicit-def: $vgpr3_vgpr4
.LBB131_23:
	s_wait_alu 0xfffe
	s_and_not1_saveexec_b32 s2, s2
	s_cbranch_execz .LBB131_25
; %bb.24:
	v_lshlrev_b32_e32 v26, 2, v9
	v_mul_f64_e64 v[44:45], v[24:25], -v[3:4]
	v_mul_f64_e32 v[24:25], v[1:2], v[24:25]
	v_mul_f64_e64 v[46:47], v[22:23], -v[3:4]
	v_mul_f64_e32 v[22:23], v[1:2], v[22:23]
	v_ashrrev_i32_e32 v27, 31, v26
	v_mul_f64_e64 v[48:49], v[20:21], -v[3:4]
	v_mul_f64_e32 v[20:21], v[1:2], v[20:21]
	v_mul_f64_e64 v[50:51], v[18:19], -v[3:4]
	v_mul_f64_e32 v[18:19], v[1:2], v[18:19]
	v_lshlrev_b64_e32 v[26:27], 4, v[26:27]
	s_wait_kmcnt 0x0
	s_delay_alu instid0(VALU_DEP_1) | instskip(SKIP_1) | instid1(VALU_DEP_2)
	v_add_co_u32 v42, vcc_lo, s0, v26
	s_wait_alu 0xfffd
	v_add_co_ci_u32_e64 v43, null, s1, v27, vcc_lo
	s_clause 0x3
	global_load_b128 v[26:29], v[42:43], off
	global_load_b128 v[30:33], v[42:43], off offset:16
	global_load_b128 v[34:37], v[42:43], off offset:32
	;; [unrolled: 1-line block ×3, first 2 shown]
	v_fma_f64 v[44:45], v[1:2], v[10:11], v[44:45]
	v_fma_f64 v[9:10], v[3:4], v[10:11], v[24:25]
	;; [unrolled: 1-line block ×8, first 2 shown]
	s_wait_loadcnt 0x3
	v_fma_f64 v[15:16], v[5:6], v[26:27], v[44:45]
	v_fma_f64 v[9:10], v[7:8], v[26:27], v[9:10]
	s_wait_loadcnt 0x2
	v_fma_f64 v[17:18], v[5:6], v[30:31], v[24:25]
	v_fma_f64 v[11:12], v[7:8], v[30:31], v[11:12]
	;; [unrolled: 3-line block ×4, first 2 shown]
	v_fma_f64 v[0:1], -v[7:8], v[28:29], v[15:16]
	v_fma_f64 v[2:3], v[5:6], v[28:29], v[9:10]
	v_fma_f64 v[9:10], -v[7:8], v[32:33], v[17:18]
	v_fma_f64 v[11:12], v[5:6], v[32:33], v[11:12]
	;; [unrolled: 2-line block ×4, first 2 shown]
	s_clause 0x3
	global_store_b128 v[42:43], v[0:3], off
	global_store_b128 v[42:43], v[9:12], off offset:16
	global_store_b128 v[42:43], v[13:16], off offset:32
	;; [unrolled: 1-line block ×3, first 2 shown]
.LBB131_25:
	s_endpgm
	.section	.rodata,"a",@progbits
	.p2align	6, 0x0
	.amdhsa_kernel _ZN9rocsparseL19gebsrmvn_4xn_kernelILj128ELj6ELj4E21rocsparse_complex_numIdEEEvi20rocsparse_direction_NS_24const_host_device_scalarIT2_EEPKiS8_PKS5_SA_S6_PS5_21rocsparse_index_base_b
		.amdhsa_group_segment_fixed_size 0
		.amdhsa_private_segment_fixed_size 0
		.amdhsa_kernarg_size 88
		.amdhsa_user_sgpr_count 2
		.amdhsa_user_sgpr_dispatch_ptr 0
		.amdhsa_user_sgpr_queue_ptr 0
		.amdhsa_user_sgpr_kernarg_segment_ptr 1
		.amdhsa_user_sgpr_dispatch_id 0
		.amdhsa_user_sgpr_private_segment_size 0
		.amdhsa_wavefront_size32 1
		.amdhsa_uses_dynamic_stack 0
		.amdhsa_enable_private_segment 0
		.amdhsa_system_sgpr_workgroup_id_x 1
		.amdhsa_system_sgpr_workgroup_id_y 0
		.amdhsa_system_sgpr_workgroup_id_z 0
		.amdhsa_system_sgpr_workgroup_info 0
		.amdhsa_system_vgpr_workitem_id 0
		.amdhsa_next_free_vgpr 74
		.amdhsa_next_free_sgpr 14
		.amdhsa_reserve_vcc 1
		.amdhsa_float_round_mode_32 0
		.amdhsa_float_round_mode_16_64 0
		.amdhsa_float_denorm_mode_32 3
		.amdhsa_float_denorm_mode_16_64 3
		.amdhsa_fp16_overflow 0
		.amdhsa_workgroup_processor_mode 1
		.amdhsa_memory_ordered 1
		.amdhsa_forward_progress 1
		.amdhsa_inst_pref_size 25
		.amdhsa_round_robin_scheduling 0
		.amdhsa_exception_fp_ieee_invalid_op 0
		.amdhsa_exception_fp_denorm_src 0
		.amdhsa_exception_fp_ieee_div_zero 0
		.amdhsa_exception_fp_ieee_overflow 0
		.amdhsa_exception_fp_ieee_underflow 0
		.amdhsa_exception_fp_ieee_inexact 0
		.amdhsa_exception_int_div_zero 0
	.end_amdhsa_kernel
	.section	.text._ZN9rocsparseL19gebsrmvn_4xn_kernelILj128ELj6ELj4E21rocsparse_complex_numIdEEEvi20rocsparse_direction_NS_24const_host_device_scalarIT2_EEPKiS8_PKS5_SA_S6_PS5_21rocsparse_index_base_b,"axG",@progbits,_ZN9rocsparseL19gebsrmvn_4xn_kernelILj128ELj6ELj4E21rocsparse_complex_numIdEEEvi20rocsparse_direction_NS_24const_host_device_scalarIT2_EEPKiS8_PKS5_SA_S6_PS5_21rocsparse_index_base_b,comdat
.Lfunc_end131:
	.size	_ZN9rocsparseL19gebsrmvn_4xn_kernelILj128ELj6ELj4E21rocsparse_complex_numIdEEEvi20rocsparse_direction_NS_24const_host_device_scalarIT2_EEPKiS8_PKS5_SA_S6_PS5_21rocsparse_index_base_b, .Lfunc_end131-_ZN9rocsparseL19gebsrmvn_4xn_kernelILj128ELj6ELj4E21rocsparse_complex_numIdEEEvi20rocsparse_direction_NS_24const_host_device_scalarIT2_EEPKiS8_PKS5_SA_S6_PS5_21rocsparse_index_base_b
                                        ; -- End function
	.set _ZN9rocsparseL19gebsrmvn_4xn_kernelILj128ELj6ELj4E21rocsparse_complex_numIdEEEvi20rocsparse_direction_NS_24const_host_device_scalarIT2_EEPKiS8_PKS5_SA_S6_PS5_21rocsparse_index_base_b.num_vgpr, 74
	.set _ZN9rocsparseL19gebsrmvn_4xn_kernelILj128ELj6ELj4E21rocsparse_complex_numIdEEEvi20rocsparse_direction_NS_24const_host_device_scalarIT2_EEPKiS8_PKS5_SA_S6_PS5_21rocsparse_index_base_b.num_agpr, 0
	.set _ZN9rocsparseL19gebsrmvn_4xn_kernelILj128ELj6ELj4E21rocsparse_complex_numIdEEEvi20rocsparse_direction_NS_24const_host_device_scalarIT2_EEPKiS8_PKS5_SA_S6_PS5_21rocsparse_index_base_b.numbered_sgpr, 14
	.set _ZN9rocsparseL19gebsrmvn_4xn_kernelILj128ELj6ELj4E21rocsparse_complex_numIdEEEvi20rocsparse_direction_NS_24const_host_device_scalarIT2_EEPKiS8_PKS5_SA_S6_PS5_21rocsparse_index_base_b.num_named_barrier, 0
	.set _ZN9rocsparseL19gebsrmvn_4xn_kernelILj128ELj6ELj4E21rocsparse_complex_numIdEEEvi20rocsparse_direction_NS_24const_host_device_scalarIT2_EEPKiS8_PKS5_SA_S6_PS5_21rocsparse_index_base_b.private_seg_size, 0
	.set _ZN9rocsparseL19gebsrmvn_4xn_kernelILj128ELj6ELj4E21rocsparse_complex_numIdEEEvi20rocsparse_direction_NS_24const_host_device_scalarIT2_EEPKiS8_PKS5_SA_S6_PS5_21rocsparse_index_base_b.uses_vcc, 1
	.set _ZN9rocsparseL19gebsrmvn_4xn_kernelILj128ELj6ELj4E21rocsparse_complex_numIdEEEvi20rocsparse_direction_NS_24const_host_device_scalarIT2_EEPKiS8_PKS5_SA_S6_PS5_21rocsparse_index_base_b.uses_flat_scratch, 0
	.set _ZN9rocsparseL19gebsrmvn_4xn_kernelILj128ELj6ELj4E21rocsparse_complex_numIdEEEvi20rocsparse_direction_NS_24const_host_device_scalarIT2_EEPKiS8_PKS5_SA_S6_PS5_21rocsparse_index_base_b.has_dyn_sized_stack, 0
	.set _ZN9rocsparseL19gebsrmvn_4xn_kernelILj128ELj6ELj4E21rocsparse_complex_numIdEEEvi20rocsparse_direction_NS_24const_host_device_scalarIT2_EEPKiS8_PKS5_SA_S6_PS5_21rocsparse_index_base_b.has_recursion, 0
	.set _ZN9rocsparseL19gebsrmvn_4xn_kernelILj128ELj6ELj4E21rocsparse_complex_numIdEEEvi20rocsparse_direction_NS_24const_host_device_scalarIT2_EEPKiS8_PKS5_SA_S6_PS5_21rocsparse_index_base_b.has_indirect_call, 0
	.section	.AMDGPU.csdata,"",@progbits
; Kernel info:
; codeLenInByte = 3156
; TotalNumSgprs: 16
; NumVgprs: 74
; ScratchSize: 0
; MemoryBound: 0
; FloatMode: 240
; IeeeMode: 1
; LDSByteSize: 0 bytes/workgroup (compile time only)
; SGPRBlocks: 0
; VGPRBlocks: 9
; NumSGPRsForWavesPerEU: 16
; NumVGPRsForWavesPerEU: 74
; Occupancy: 16
; WaveLimiterHint : 1
; COMPUTE_PGM_RSRC2:SCRATCH_EN: 0
; COMPUTE_PGM_RSRC2:USER_SGPR: 2
; COMPUTE_PGM_RSRC2:TRAP_HANDLER: 0
; COMPUTE_PGM_RSRC2:TGID_X_EN: 1
; COMPUTE_PGM_RSRC2:TGID_Y_EN: 0
; COMPUTE_PGM_RSRC2:TGID_Z_EN: 0
; COMPUTE_PGM_RSRC2:TIDIG_COMP_CNT: 0
	.section	.text._ZN9rocsparseL19gebsrmvn_4xn_kernelILj128ELj6ELj8E21rocsparse_complex_numIdEEEvi20rocsparse_direction_NS_24const_host_device_scalarIT2_EEPKiS8_PKS5_SA_S6_PS5_21rocsparse_index_base_b,"axG",@progbits,_ZN9rocsparseL19gebsrmvn_4xn_kernelILj128ELj6ELj8E21rocsparse_complex_numIdEEEvi20rocsparse_direction_NS_24const_host_device_scalarIT2_EEPKiS8_PKS5_SA_S6_PS5_21rocsparse_index_base_b,comdat
	.globl	_ZN9rocsparseL19gebsrmvn_4xn_kernelILj128ELj6ELj8E21rocsparse_complex_numIdEEEvi20rocsparse_direction_NS_24const_host_device_scalarIT2_EEPKiS8_PKS5_SA_S6_PS5_21rocsparse_index_base_b ; -- Begin function _ZN9rocsparseL19gebsrmvn_4xn_kernelILj128ELj6ELj8E21rocsparse_complex_numIdEEEvi20rocsparse_direction_NS_24const_host_device_scalarIT2_EEPKiS8_PKS5_SA_S6_PS5_21rocsparse_index_base_b
	.p2align	8
	.type	_ZN9rocsparseL19gebsrmvn_4xn_kernelILj128ELj6ELj8E21rocsparse_complex_numIdEEEvi20rocsparse_direction_NS_24const_host_device_scalarIT2_EEPKiS8_PKS5_SA_S6_PS5_21rocsparse_index_base_b,@function
_ZN9rocsparseL19gebsrmvn_4xn_kernelILj128ELj6ELj8E21rocsparse_complex_numIdEEEvi20rocsparse_direction_NS_24const_host_device_scalarIT2_EEPKiS8_PKS5_SA_S6_PS5_21rocsparse_index_base_b: ; @_ZN9rocsparseL19gebsrmvn_4xn_kernelILj128ELj6ELj8E21rocsparse_complex_numIdEEEvi20rocsparse_direction_NS_24const_host_device_scalarIT2_EEPKiS8_PKS5_SA_S6_PS5_21rocsparse_index_base_b
; %bb.0:
	s_clause 0x1
	s_load_b64 s[12:13], s[0:1], 0x50
	s_load_b64 s[2:3], s[0:1], 0x8
	s_add_nc_u64 s[4:5], s[0:1], 8
	s_load_b64 s[6:7], s[0:1], 0x38
	s_wait_kmcnt 0x0
	s_bitcmp1_b32 s13, 0
	s_cselect_b32 s2, s4, s2
	s_cselect_b32 s3, s5, s3
	s_delay_alu instid0(SALU_CYCLE_1)
	v_dual_mov_b32 v1, s2 :: v_dual_mov_b32 v2, s3
	s_add_nc_u64 s[2:3], s[0:1], 56
	s_wait_alu 0xfffe
	s_cselect_b32 s2, s2, s6
	s_cselect_b32 s3, s3, s7
	flat_load_b128 v[1:4], v[1:2]
	s_wait_alu 0xfffe
	v_dual_mov_b32 v5, s2 :: v_dual_mov_b32 v6, s3
	flat_load_b128 v[5:8], v[5:6]
	s_wait_loadcnt_dscnt 0x101
	v_cmp_eq_f64_e32 vcc_lo, 0, v[1:2]
	v_cmp_eq_f64_e64 s2, 0, v[3:4]
	s_and_b32 s4, vcc_lo, s2
	s_mov_b32 s2, -1
	s_and_saveexec_b32 s3, s4
	s_cbranch_execz .LBB132_2
; %bb.1:
	s_wait_loadcnt_dscnt 0x0
	v_cmp_neq_f64_e32 vcc_lo, 1.0, v[5:6]
	v_cmp_neq_f64_e64 s2, 0, v[7:8]
	s_wait_alu 0xfffe
	s_or_b32 s2, vcc_lo, s2
	s_wait_alu 0xfffe
	s_or_not1_b32 s2, s2, exec_lo
.LBB132_2:
	s_wait_alu 0xfffe
	s_or_b32 exec_lo, exec_lo, s3
	s_and_saveexec_b32 s3, s2
	s_cbranch_execz .LBB132_25
; %bb.3:
	s_load_b64 s[2:3], s[0:1], 0x0
	v_lshrrev_b32_e32 v9, 3, v0
	s_delay_alu instid0(VALU_DEP_1) | instskip(SKIP_1) | instid1(VALU_DEP_1)
	v_lshl_or_b32 v9, ttmp9, 4, v9
	s_wait_kmcnt 0x0
	v_cmp_gt_i32_e32 vcc_lo, s2, v9
	s_and_b32 exec_lo, exec_lo, vcc_lo
	s_cbranch_execz .LBB132_25
; %bb.4:
	s_load_b256 s[4:11], s[0:1], 0x18
	v_ashrrev_i32_e32 v10, 31, v9
	v_and_b32_e32 v0, 7, v0
	s_cmp_lg_u32 s3, 0
	s_delay_alu instid0(VALU_DEP_2) | instskip(SKIP_1) | instid1(VALU_DEP_1)
	v_lshlrev_b64_e32 v[10:11], 2, v[9:10]
	s_wait_kmcnt 0x0
	v_add_co_u32 v10, vcc_lo, s4, v10
	s_delay_alu instid0(VALU_DEP_1) | instskip(SKIP_4) | instid1(VALU_DEP_2)
	v_add_co_ci_u32_e64 v11, null, s5, v11, vcc_lo
	global_load_b64 v[10:11], v[10:11], off
	s_wait_loadcnt 0x0
	v_subrev_nc_u32_e32 v10, s12, v10
	v_subrev_nc_u32_e32 v33, s12, v11
	v_add_nc_u32_e32 v22, v10, v0
	s_delay_alu instid0(VALU_DEP_1)
	v_cmp_lt_i32_e64 s2, v22, v33
	s_cbranch_scc0 .LBB132_12
; %bb.5:
	v_mov_b32_e32 v10, 0
	v_mov_b32_e32 v12, 0
	;; [unrolled: 1-line block ×3, first 2 shown]
	v_dual_mov_b32 v24, 0 :: v_dual_mov_b32 v11, 0
	v_dual_mov_b32 v16, 0 :: v_dual_mov_b32 v13, 0
	;; [unrolled: 1-line block ×5, first 2 shown]
	v_mov_b32_e32 v15, 0
	v_mov_b32_e32 v21, 0
	;; [unrolled: 1-line block ×3, first 2 shown]
	s_and_saveexec_b32 s3, s2
	s_cbranch_execz .LBB132_11
; %bb.6:
	v_dual_mov_b32 v10, 0 :: v_dual_mov_b32 v29, 0
	v_dual_mov_b32 v11, 0 :: v_dual_mov_b32 v16, 0
	v_dual_mov_b32 v17, 0 :: v_dual_mov_b32 v12, 0
	v_dual_mov_b32 v13, 0 :: v_dual_mov_b32 v14, 0
	v_dual_mov_b32 v15, 0 :: v_dual_mov_b32 v18, 0
	v_mul_lo_u32 v23, v22, 24
	v_dual_mov_b32 v19, 0 :: v_dual_mov_b32 v20, 0
	v_dual_mov_b32 v21, 0 :: v_dual_mov_b32 v24, 0
	;; [unrolled: 1-line block ×4, first 2 shown]
	s_mov_b32 s4, 0
.LBB132_7:                              ; =>This Loop Header: Depth=1
                                        ;     Child Loop BB132_8 Depth 2
	s_delay_alu instid0(VALU_DEP_1) | instskip(SKIP_1) | instid1(VALU_DEP_1)
	v_ashrrev_i32_e32 v31, 31, v30
	s_mov_b32 s5, 0
	v_lshlrev_b64_e32 v[31:32], 2, v[30:31]
	s_delay_alu instid0(VALU_DEP_1) | instskip(SKIP_1) | instid1(VALU_DEP_2)
	v_add_co_u32 v31, vcc_lo, s6, v31
	s_wait_alu 0xfffd
	v_add_co_ci_u32_e64 v32, null, s7, v32, vcc_lo
	global_load_b32 v28, v[31:32], off
	s_wait_loadcnt 0x0
	v_subrev_nc_u32_e32 v28, s12, v28
	s_delay_alu instid0(VALU_DEP_1)
	v_mul_lo_u32 v31, v28, 6
	v_mov_b32_e32 v28, v23
.LBB132_8:                              ;   Parent Loop BB132_7 Depth=1
                                        ; =>  This Inner Loop Header: Depth=2
	s_wait_alu 0xfffe
	s_delay_alu instid0(VALU_DEP_2) | instskip(NEXT) | instid1(VALU_DEP_2)
	v_dual_mov_b32 v35, v29 :: v_dual_add_nc_u32 v34, s5, v31
	v_lshlrev_b64_e32 v[36:37], 4, v[28:29]
	v_dual_mov_b32 v59, v29 :: v_dual_add_nc_u32 v58, 4, v28
	v_add_nc_u32_e32 v28, 8, v28
	s_delay_alu instid0(VALU_DEP_4) | instskip(SKIP_1) | instid1(VALU_DEP_4)
	v_lshlrev_b64_e32 v[34:35], 4, v[34:35]
	s_add_co_i32 s5, s5, 2
	v_add_co_u32 v46, vcc_lo, s8, v36
	s_wait_alu 0xfffd
	v_add_co_ci_u32_e64 v47, null, s9, v37, vcc_lo
	s_delay_alu instid0(VALU_DEP_3)
	v_add_co_u32 v54, vcc_lo, s10, v34
	s_wait_alu 0xfffd
	v_add_co_ci_u32_e64 v55, null, s11, v35, vcc_lo
	s_clause 0x3
	global_load_b128 v[34:37], v[46:47], off offset:48
	global_load_b128 v[38:41], v[46:47], off offset:32
	;; [unrolled: 1-line block ×3, first 2 shown]
	global_load_b128 v[46:49], v[46:47], off
	s_clause 0x1
	global_load_b128 v[50:53], v[54:55], off
	global_load_b128 v[54:57], v[54:55], off offset:16
	v_lshlrev_b64_e32 v[58:59], 4, v[58:59]
	s_wait_alu 0xfffe
	s_cmp_eq_u32 s5, 6
	s_delay_alu instid0(VALU_DEP_1) | instskip(SKIP_1) | instid1(VALU_DEP_2)
	v_add_co_u32 v70, vcc_lo, s8, v58
	s_wait_alu 0xfffd
	v_add_co_ci_u32_e64 v71, null, s9, v59, vcc_lo
	s_clause 0x3
	global_load_b128 v[58:61], v[70:71], off
	global_load_b128 v[62:65], v[70:71], off offset:16
	global_load_b128 v[66:69], v[70:71], off offset:32
	global_load_b128 v[70:73], v[70:71], off offset:48
	s_wait_loadcnt 0x5
	v_fma_f64 v[16:17], v[46:47], v[50:51], v[16:17]
	v_fma_f64 v[10:11], v[48:49], v[50:51], v[10:11]
	;; [unrolled: 1-line block ×8, first 2 shown]
	v_fma_f64 v[16:17], -v[48:49], v[52:53], v[16:17]
	v_fma_f64 v[10:11], v[46:47], v[52:53], v[10:11]
	v_fma_f64 v[24:25], -v[44:45], v[52:53], v[24:25]
	v_fma_f64 v[26:27], v[42:43], v[52:53], v[26:27]
	;; [unrolled: 2-line block ×4, first 2 shown]
	s_wait_loadcnt 0x3
	v_fma_f64 v[16:17], v[58:59], v[54:55], v[16:17]
	v_fma_f64 v[10:11], v[60:61], v[54:55], v[10:11]
	s_wait_loadcnt 0x2
	v_fma_f64 v[24:25], v[62:63], v[54:55], v[24:25]
	v_fma_f64 v[26:27], v[64:65], v[54:55], v[26:27]
	;; [unrolled: 3-line block ×4, first 2 shown]
	v_fma_f64 v[16:17], -v[60:61], v[56:57], v[16:17]
	v_fma_f64 v[10:11], v[58:59], v[56:57], v[10:11]
	v_fma_f64 v[24:25], -v[64:65], v[56:57], v[24:25]
	v_fma_f64 v[26:27], v[62:63], v[56:57], v[26:27]
	;; [unrolled: 2-line block ×4, first 2 shown]
	s_cbranch_scc0 .LBB132_8
; %bb.9:                                ;   in Loop: Header=BB132_7 Depth=1
	v_add_nc_u32_e32 v30, 8, v30
	v_add_nc_u32_e32 v23, 0xc0, v23
	s_delay_alu instid0(VALU_DEP_2)
	v_cmp_ge_i32_e32 vcc_lo, v30, v33
	s_or_b32 s4, vcc_lo, s4
	s_wait_alu 0xfffe
	s_and_not1_b32 exec_lo, exec_lo, s4
	s_cbranch_execnz .LBB132_7
; %bb.10:
	s_or_b32 exec_lo, exec_lo, s4
.LBB132_11:
	s_wait_alu 0xfffe
	s_or_b32 exec_lo, exec_lo, s3
	s_cbranch_execz .LBB132_13
	s_branch .LBB132_20
.LBB132_12:
                                        ; implicit-def: $vgpr10_vgpr11
                                        ; implicit-def: $vgpr16_vgpr17
                                        ; implicit-def: $vgpr12_vgpr13
                                        ; implicit-def: $vgpr14_vgpr15
                                        ; implicit-def: $vgpr18_vgpr19
                                        ; implicit-def: $vgpr20_vgpr21
                                        ; implicit-def: $vgpr24_vgpr25
                                        ; implicit-def: $vgpr26_vgpr27
.LBB132_13:
	v_mov_b32_e32 v10, 0
	v_mov_b32_e32 v12, 0
	;; [unrolled: 1-line block ×3, first 2 shown]
	v_dual_mov_b32 v24, 0 :: v_dual_mov_b32 v11, 0
	v_dual_mov_b32 v16, 0 :: v_dual_mov_b32 v13, 0
	;; [unrolled: 1-line block ×5, first 2 shown]
	v_mov_b32_e32 v15, 0
	v_mov_b32_e32 v21, 0
	;; [unrolled: 1-line block ×3, first 2 shown]
	s_and_saveexec_b32 s4, s2
	s_cbranch_execz .LBB132_19
; %bb.14:
	v_mul_lo_u32 v28, v22, 24
	v_mov_b32_e32 v10, 0
	v_mov_b32_e32 v12, 0
	;; [unrolled: 1-line block ×3, first 2 shown]
	v_dual_mov_b32 v24, 0 :: v_dual_mov_b32 v11, 0
	v_dual_mov_b32 v16, 0 :: v_dual_mov_b32 v13, 0
	;; [unrolled: 1-line block ×5, first 2 shown]
	v_mov_b32_e32 v15, 0
	v_mov_b32_e32 v21, 0
	v_dual_mov_b32 v27, 0 :: v_dual_mov_b32 v30, 0
	s_add_nc_u64 s[2:3], s[8:9], 16
	s_mov_b32 s5, 0
.LBB132_15:                             ; =>This Loop Header: Depth=1
                                        ;     Child Loop BB132_16 Depth 2
	v_ashrrev_i32_e32 v23, 31, v22
	s_delay_alu instid0(VALU_DEP_2) | instskip(SKIP_1) | instid1(VALU_DEP_2)
	v_mov_b32_e32 v29, v30
	s_mov_b32 s13, 0
	v_lshlrev_b64_e32 v[31:32], 2, v[22:23]
	s_delay_alu instid0(VALU_DEP_1) | instskip(SKIP_1) | instid1(VALU_DEP_2)
	v_add_co_u32 v31, vcc_lo, s6, v31
	s_wait_alu 0xfffd
	v_add_co_ci_u32_e64 v32, null, s7, v32, vcc_lo
	global_load_b32 v23, v[31:32], off
	v_lshlrev_b64_e32 v[31:32], 4, v[28:29]
	s_wait_alu 0xfffe
	s_delay_alu instid0(VALU_DEP_1) | instskip(SKIP_1) | instid1(VALU_DEP_2)
	v_add_co_u32 v31, vcc_lo, s2, v31
	s_wait_alu 0xfffd
	v_add_co_ci_u32_e64 v32, null, s3, v32, vcc_lo
	s_wait_loadcnt 0x0
	v_subrev_nc_u32_e32 v23, s12, v23
	s_delay_alu instid0(VALU_DEP_1)
	v_mul_lo_u32 v23, v23, 6
.LBB132_16:                             ;   Parent Loop BB132_15 Depth=1
                                        ; =>  This Inner Loop Header: Depth=2
	s_delay_alu instid0(VALU_DEP_1)
	v_add_nc_u32_e32 v29, s13, v23
	v_add_nc_u32_e32 v48, s13, v28
	s_clause 0x1
	global_load_b128 v[34:37], v[31:32], off
	global_load_b128 v[38:41], v[31:32], off offset:-16
	s_add_co_i32 s13, s13, 2
	s_wait_alu 0xfffe
	s_cmp_eq_u32 s13, 6
	v_lshlrev_b64_e32 v[42:43], 4, v[29:30]
	v_add_nc_u32_e32 v29, 6, v48
	s_delay_alu instid0(VALU_DEP_1) | instskip(SKIP_1) | instid1(VALU_DEP_4)
	v_lshlrev_b64_e32 v[44:45], 4, v[29:30]
	v_add_nc_u32_e32 v29, 12, v48
	v_add_co_u32 v46, vcc_lo, s10, v42
	s_wait_alu 0xfffd
	v_add_co_ci_u32_e64 v47, null, s11, v43, vcc_lo
	s_delay_alu instid0(VALU_DEP_3) | instskip(SKIP_4) | instid1(VALU_DEP_3)
	v_lshlrev_b64_e32 v[54:55], 4, v[29:30]
	v_add_nc_u32_e32 v29, 18, v48
	v_add_co_u32 v56, vcc_lo, s8, v44
	s_wait_alu 0xfffd
	v_add_co_ci_u32_e64 v57, null, s9, v45, vcc_lo
	v_lshlrev_b64_e32 v[58:59], 4, v[29:30]
	v_add_co_u32 v62, vcc_lo, s8, v54
	s_wait_alu 0xfffd
	v_add_co_ci_u32_e64 v63, null, s9, v55, vcc_lo
	s_clause 0x1
	global_load_b128 v[42:45], v[46:47], off offset:16
	global_load_b128 v[46:49], v[46:47], off
	v_add_co_u32 v70, vcc_lo, s8, v58
	s_wait_alu 0xfffd
	v_add_co_ci_u32_e64 v71, null, s9, v59, vcc_lo
	s_clause 0x5
	global_load_b128 v[50:53], v[56:57], off
	global_load_b128 v[54:57], v[56:57], off offset:16
	global_load_b128 v[58:61], v[62:63], off
	global_load_b128 v[62:65], v[62:63], off offset:16
	global_load_b128 v[66:69], v[70:71], off
	global_load_b128 v[70:73], v[70:71], off offset:16
	v_add_co_u32 v31, vcc_lo, v31, 32
	s_wait_alu 0xfffd
	v_add_co_ci_u32_e64 v32, null, 0, v32, vcc_lo
	s_wait_loadcnt 0x6
	v_fma_f64 v[16:17], v[38:39], v[46:47], v[16:17]
	v_fma_f64 v[10:11], v[40:41], v[46:47], v[10:11]
	s_wait_loadcnt 0x3
	v_fma_f64 v[18:19], v[58:59], v[46:47], v[18:19]
	v_fma_f64 v[20:21], v[60:61], v[46:47], v[20:21]
	;; [unrolled: 1-line block ×4, first 2 shown]
	s_wait_loadcnt 0x1
	v_fma_f64 v[12:13], v[66:67], v[46:47], v[12:13]
	v_fma_f64 v[14:15], v[68:69], v[46:47], v[14:15]
	v_fma_f64 v[16:17], -v[40:41], v[48:49], v[16:17]
	v_fma_f64 v[10:11], v[38:39], v[48:49], v[10:11]
	v_fma_f64 v[18:19], -v[60:61], v[48:49], v[18:19]
	;; [unrolled: 2-line block ×4, first 2 shown]
	v_fma_f64 v[14:15], v[66:67], v[48:49], v[14:15]
	v_fma_f64 v[16:17], v[34:35], v[42:43], v[16:17]
	;; [unrolled: 1-line block ×7, first 2 shown]
	s_wait_loadcnt 0x0
	v_fma_f64 v[12:13], v[70:71], v[42:43], v[12:13]
	v_fma_f64 v[14:15], v[72:73], v[42:43], v[14:15]
	v_fma_f64 v[16:17], -v[36:37], v[44:45], v[16:17]
	v_fma_f64 v[10:11], v[34:35], v[44:45], v[10:11]
	v_fma_f64 v[18:19], -v[64:65], v[44:45], v[18:19]
	;; [unrolled: 2-line block ×4, first 2 shown]
	v_fma_f64 v[14:15], v[70:71], v[44:45], v[14:15]
	s_cbranch_scc0 .LBB132_16
; %bb.17:                               ;   in Loop: Header=BB132_15 Depth=1
	v_add_nc_u32_e32 v22, 8, v22
	v_add_nc_u32_e32 v28, 0xc0, v28
	s_delay_alu instid0(VALU_DEP_2)
	v_cmp_ge_i32_e32 vcc_lo, v22, v33
	s_or_b32 s5, vcc_lo, s5
	s_wait_alu 0xfffe
	s_and_not1_b32 exec_lo, exec_lo, s5
	s_cbranch_execnz .LBB132_15
; %bb.18:
	s_or_b32 exec_lo, exec_lo, s5
.LBB132_19:
	s_wait_alu 0xfffe
	s_or_b32 exec_lo, exec_lo, s4
.LBB132_20:
	v_mbcnt_lo_u32_b32 v44, -1, 0
	s_delay_alu instid0(VALU_DEP_1) | instskip(NEXT) | instid1(VALU_DEP_1)
	v_xor_b32_e32 v22, 4, v44
	v_cmp_gt_i32_e32 vcc_lo, 32, v22
	s_wait_alu 0xfffd
	v_cndmask_b32_e32 v22, v44, v22, vcc_lo
	s_delay_alu instid0(VALU_DEP_1)
	v_lshlrev_b32_e32 v41, 2, v22
	ds_bpermute_b32 v22, v41, v16
	ds_bpermute_b32 v23, v41, v17
	;; [unrolled: 1-line block ×16, first 2 shown]
	s_wait_dscnt 0xe
	v_add_f64_e32 v[16:17], v[16:17], v[22:23]
	s_wait_dscnt 0xc
	v_add_f64_e32 v[22:23], v[10:11], v[28:29]
	v_xor_b32_e32 v10, 2, v44
	s_wait_dscnt 0xa
	v_add_f64_e32 v[28:29], v[24:25], v[30:31]
	s_wait_dscnt 0x8
	v_add_f64_e32 v[26:27], v[26:27], v[32:33]
	;; [unrolled: 2-line block ×3, first 2 shown]
	v_cmp_gt_i32_e32 vcc_lo, 32, v10
	s_wait_dscnt 0x4
	v_add_f64_e32 v[20:21], v[20:21], v[36:37]
	s_wait_dscnt 0x2
	v_add_f64_e32 v[30:31], v[12:13], v[38:39]
	;; [unrolled: 2-line block ×3, first 2 shown]
	s_wait_alu 0xfffd
	v_cndmask_b32_e32 v10, v44, v10, vcc_lo
	s_delay_alu instid0(VALU_DEP_1)
	v_lshlrev_b32_e32 v24, 2, v10
	ds_bpermute_b32 v10, v24, v16
	ds_bpermute_b32 v11, v24, v17
	;; [unrolled: 1-line block ×16, first 2 shown]
	s_wait_dscnt 0xe
	v_add_f64_e32 v[10:11], v[16:17], v[10:11]
	s_wait_dscnt 0xc
	v_add_f64_e32 v[24:25], v[22:23], v[12:13]
	;; [unrolled: 2-line block ×4, first 2 shown]
	v_xor_b32_e32 v26, 1, v44
	s_wait_dscnt 0x6
	v_add_f64_e32 v[14:15], v[18:19], v[36:37]
	s_wait_dscnt 0x4
	v_add_f64_e32 v[20:21], v[20:21], v[38:39]
	;; [unrolled: 2-line block ×3, first 2 shown]
	v_cmp_gt_i32_e32 vcc_lo, 32, v26
	s_wait_dscnt 0x0
	v_add_f64_e32 v[18:19], v[32:33], v[42:43]
	s_wait_alu 0xfffd
	v_cndmask_b32_e32 v26, v44, v26, vcc_lo
	v_cmp_eq_u32_e32 vcc_lo, 7, v0
	s_delay_alu instid0(VALU_DEP_2)
	v_lshlrev_b32_e32 v29, 2, v26
	ds_bpermute_b32 v40, v29, v10
	ds_bpermute_b32 v41, v29, v11
	;; [unrolled: 1-line block ×16, first 2 shown]
	s_and_b32 exec_lo, exec_lo, vcc_lo
	s_cbranch_execz .LBB132_25
; %bb.21:
	v_cmp_eq_f64_e32 vcc_lo, 0, v[5:6]
	v_cmp_eq_f64_e64 s2, 0, v[7:8]
	s_wait_dscnt 0xe
	v_add_f64_e32 v[10:11], v[10:11], v[40:41]
	s_wait_dscnt 0xc
	v_add_f64_e32 v[24:25], v[24:25], v[38:39]
	;; [unrolled: 2-line block ×8, first 2 shown]
	s_load_b64 s[0:1], s[0:1], 0x48
	s_and_b32 s2, vcc_lo, s2
	s_wait_alu 0xfffe
	s_and_saveexec_b32 s3, s2
	s_wait_alu 0xfffe
	s_xor_b32 s2, exec_lo, s3
	s_cbranch_execz .LBB132_23
; %bb.22:
	v_mul_f64_e64 v[5:6], v[24:25], -v[3:4]
	v_mul_f64_e32 v[7:8], v[1:2], v[24:25]
	v_mul_f64_e64 v[24:25], v[22:23], -v[3:4]
	v_mul_f64_e32 v[22:23], v[1:2], v[22:23]
	;; [unrolled: 2-line block ×4, first 2 shown]
	v_fma_f64 v[5:6], v[1:2], v[10:11], v[5:6]
	v_fma_f64 v[7:8], v[3:4], v[10:11], v[7:8]
	;; [unrolled: 1-line block ×8, first 2 shown]
	v_lshlrev_b32_e32 v14, 2, v9
                                        ; implicit-def: $vgpr9
                                        ; implicit-def: $vgpr24_vgpr25
                                        ; implicit-def: $vgpr22_vgpr23
                                        ; implicit-def: $vgpr16_vgpr17
	s_delay_alu instid0(VALU_DEP_1) | instskip(NEXT) | instid1(VALU_DEP_1)
	v_ashrrev_i32_e32 v15, 31, v14
	v_lshlrev_b64_e32 v[14:15], 4, v[14:15]
	s_wait_kmcnt 0x0
	s_delay_alu instid0(VALU_DEP_1) | instskip(SKIP_1) | instid1(VALU_DEP_2)
	v_add_co_u32 v14, vcc_lo, s0, v14
	s_wait_alu 0xfffd
	v_add_co_ci_u32_e64 v15, null, s1, v15, vcc_lo
	s_clause 0x3
	global_store_b128 v[14:15], v[5:8], off
	global_store_b128 v[14:15], v[10:13], off offset:16
	global_store_b128 v[14:15], v[18:21], off offset:32
	;; [unrolled: 1-line block ×3, first 2 shown]
                                        ; implicit-def: $vgpr10_vgpr11
                                        ; implicit-def: $vgpr12_vgpr13
                                        ; implicit-def: $vgpr14_vgpr15
                                        ; implicit-def: $vgpr20_vgpr21
                                        ; implicit-def: $vgpr18_vgpr19
                                        ; implicit-def: $vgpr7_vgpr8
                                        ; implicit-def: $vgpr3_vgpr4
.LBB132_23:
	s_wait_alu 0xfffe
	s_and_not1_saveexec_b32 s2, s2
	s_cbranch_execz .LBB132_25
; %bb.24:
	v_lshlrev_b32_e32 v26, 2, v9
	v_mul_f64_e64 v[44:45], v[24:25], -v[3:4]
	v_mul_f64_e32 v[24:25], v[1:2], v[24:25]
	v_mul_f64_e64 v[46:47], v[22:23], -v[3:4]
	v_mul_f64_e32 v[22:23], v[1:2], v[22:23]
	v_ashrrev_i32_e32 v27, 31, v26
	v_mul_f64_e64 v[48:49], v[20:21], -v[3:4]
	v_mul_f64_e32 v[20:21], v[1:2], v[20:21]
	v_mul_f64_e64 v[50:51], v[18:19], -v[3:4]
	v_mul_f64_e32 v[18:19], v[1:2], v[18:19]
	v_lshlrev_b64_e32 v[26:27], 4, v[26:27]
	s_wait_kmcnt 0x0
	s_delay_alu instid0(VALU_DEP_1) | instskip(SKIP_1) | instid1(VALU_DEP_2)
	v_add_co_u32 v42, vcc_lo, s0, v26
	s_wait_alu 0xfffd
	v_add_co_ci_u32_e64 v43, null, s1, v27, vcc_lo
	s_clause 0x3
	global_load_b128 v[26:29], v[42:43], off
	global_load_b128 v[30:33], v[42:43], off offset:16
	global_load_b128 v[34:37], v[42:43], off offset:32
	global_load_b128 v[38:41], v[42:43], off offset:48
	v_fma_f64 v[44:45], v[1:2], v[10:11], v[44:45]
	v_fma_f64 v[9:10], v[3:4], v[10:11], v[24:25]
	;; [unrolled: 1-line block ×8, first 2 shown]
	s_wait_loadcnt 0x3
	v_fma_f64 v[15:16], v[5:6], v[26:27], v[44:45]
	v_fma_f64 v[9:10], v[7:8], v[26:27], v[9:10]
	s_wait_loadcnt 0x2
	v_fma_f64 v[17:18], v[5:6], v[30:31], v[24:25]
	v_fma_f64 v[11:12], v[7:8], v[30:31], v[11:12]
	;; [unrolled: 3-line block ×4, first 2 shown]
	v_fma_f64 v[0:1], -v[7:8], v[28:29], v[15:16]
	v_fma_f64 v[2:3], v[5:6], v[28:29], v[9:10]
	v_fma_f64 v[9:10], -v[7:8], v[32:33], v[17:18]
	v_fma_f64 v[11:12], v[5:6], v[32:33], v[11:12]
	;; [unrolled: 2-line block ×4, first 2 shown]
	s_clause 0x3
	global_store_b128 v[42:43], v[0:3], off
	global_store_b128 v[42:43], v[9:12], off offset:16
	global_store_b128 v[42:43], v[13:16], off offset:32
	;; [unrolled: 1-line block ×3, first 2 shown]
.LBB132_25:
	s_endpgm
	.section	.rodata,"a",@progbits
	.p2align	6, 0x0
	.amdhsa_kernel _ZN9rocsparseL19gebsrmvn_4xn_kernelILj128ELj6ELj8E21rocsparse_complex_numIdEEEvi20rocsparse_direction_NS_24const_host_device_scalarIT2_EEPKiS8_PKS5_SA_S6_PS5_21rocsparse_index_base_b
		.amdhsa_group_segment_fixed_size 0
		.amdhsa_private_segment_fixed_size 0
		.amdhsa_kernarg_size 88
		.amdhsa_user_sgpr_count 2
		.amdhsa_user_sgpr_dispatch_ptr 0
		.amdhsa_user_sgpr_queue_ptr 0
		.amdhsa_user_sgpr_kernarg_segment_ptr 1
		.amdhsa_user_sgpr_dispatch_id 0
		.amdhsa_user_sgpr_private_segment_size 0
		.amdhsa_wavefront_size32 1
		.amdhsa_uses_dynamic_stack 0
		.amdhsa_enable_private_segment 0
		.amdhsa_system_sgpr_workgroup_id_x 1
		.amdhsa_system_sgpr_workgroup_id_y 0
		.amdhsa_system_sgpr_workgroup_id_z 0
		.amdhsa_system_sgpr_workgroup_info 0
		.amdhsa_system_vgpr_workitem_id 0
		.amdhsa_next_free_vgpr 74
		.amdhsa_next_free_sgpr 14
		.amdhsa_reserve_vcc 1
		.amdhsa_float_round_mode_32 0
		.amdhsa_float_round_mode_16_64 0
		.amdhsa_float_denorm_mode_32 3
		.amdhsa_float_denorm_mode_16_64 3
		.amdhsa_fp16_overflow 0
		.amdhsa_workgroup_processor_mode 1
		.amdhsa_memory_ordered 1
		.amdhsa_forward_progress 1
		.amdhsa_inst_pref_size 27
		.amdhsa_round_robin_scheduling 0
		.amdhsa_exception_fp_ieee_invalid_op 0
		.amdhsa_exception_fp_denorm_src 0
		.amdhsa_exception_fp_ieee_div_zero 0
		.amdhsa_exception_fp_ieee_overflow 0
		.amdhsa_exception_fp_ieee_underflow 0
		.amdhsa_exception_fp_ieee_inexact 0
		.amdhsa_exception_int_div_zero 0
	.end_amdhsa_kernel
	.section	.text._ZN9rocsparseL19gebsrmvn_4xn_kernelILj128ELj6ELj8E21rocsparse_complex_numIdEEEvi20rocsparse_direction_NS_24const_host_device_scalarIT2_EEPKiS8_PKS5_SA_S6_PS5_21rocsparse_index_base_b,"axG",@progbits,_ZN9rocsparseL19gebsrmvn_4xn_kernelILj128ELj6ELj8E21rocsparse_complex_numIdEEEvi20rocsparse_direction_NS_24const_host_device_scalarIT2_EEPKiS8_PKS5_SA_S6_PS5_21rocsparse_index_base_b,comdat
.Lfunc_end132:
	.size	_ZN9rocsparseL19gebsrmvn_4xn_kernelILj128ELj6ELj8E21rocsparse_complex_numIdEEEvi20rocsparse_direction_NS_24const_host_device_scalarIT2_EEPKiS8_PKS5_SA_S6_PS5_21rocsparse_index_base_b, .Lfunc_end132-_ZN9rocsparseL19gebsrmvn_4xn_kernelILj128ELj6ELj8E21rocsparse_complex_numIdEEEvi20rocsparse_direction_NS_24const_host_device_scalarIT2_EEPKiS8_PKS5_SA_S6_PS5_21rocsparse_index_base_b
                                        ; -- End function
	.set _ZN9rocsparseL19gebsrmvn_4xn_kernelILj128ELj6ELj8E21rocsparse_complex_numIdEEEvi20rocsparse_direction_NS_24const_host_device_scalarIT2_EEPKiS8_PKS5_SA_S6_PS5_21rocsparse_index_base_b.num_vgpr, 74
	.set _ZN9rocsparseL19gebsrmvn_4xn_kernelILj128ELj6ELj8E21rocsparse_complex_numIdEEEvi20rocsparse_direction_NS_24const_host_device_scalarIT2_EEPKiS8_PKS5_SA_S6_PS5_21rocsparse_index_base_b.num_agpr, 0
	.set _ZN9rocsparseL19gebsrmvn_4xn_kernelILj128ELj6ELj8E21rocsparse_complex_numIdEEEvi20rocsparse_direction_NS_24const_host_device_scalarIT2_EEPKiS8_PKS5_SA_S6_PS5_21rocsparse_index_base_b.numbered_sgpr, 14
	.set _ZN9rocsparseL19gebsrmvn_4xn_kernelILj128ELj6ELj8E21rocsparse_complex_numIdEEEvi20rocsparse_direction_NS_24const_host_device_scalarIT2_EEPKiS8_PKS5_SA_S6_PS5_21rocsparse_index_base_b.num_named_barrier, 0
	.set _ZN9rocsparseL19gebsrmvn_4xn_kernelILj128ELj6ELj8E21rocsparse_complex_numIdEEEvi20rocsparse_direction_NS_24const_host_device_scalarIT2_EEPKiS8_PKS5_SA_S6_PS5_21rocsparse_index_base_b.private_seg_size, 0
	.set _ZN9rocsparseL19gebsrmvn_4xn_kernelILj128ELj6ELj8E21rocsparse_complex_numIdEEEvi20rocsparse_direction_NS_24const_host_device_scalarIT2_EEPKiS8_PKS5_SA_S6_PS5_21rocsparse_index_base_b.uses_vcc, 1
	.set _ZN9rocsparseL19gebsrmvn_4xn_kernelILj128ELj6ELj8E21rocsparse_complex_numIdEEEvi20rocsparse_direction_NS_24const_host_device_scalarIT2_EEPKiS8_PKS5_SA_S6_PS5_21rocsparse_index_base_b.uses_flat_scratch, 0
	.set _ZN9rocsparseL19gebsrmvn_4xn_kernelILj128ELj6ELj8E21rocsparse_complex_numIdEEEvi20rocsparse_direction_NS_24const_host_device_scalarIT2_EEPKiS8_PKS5_SA_S6_PS5_21rocsparse_index_base_b.has_dyn_sized_stack, 0
	.set _ZN9rocsparseL19gebsrmvn_4xn_kernelILj128ELj6ELj8E21rocsparse_complex_numIdEEEvi20rocsparse_direction_NS_24const_host_device_scalarIT2_EEPKiS8_PKS5_SA_S6_PS5_21rocsparse_index_base_b.has_recursion, 0
	.set _ZN9rocsparseL19gebsrmvn_4xn_kernelILj128ELj6ELj8E21rocsparse_complex_numIdEEEvi20rocsparse_direction_NS_24const_host_device_scalarIT2_EEPKiS8_PKS5_SA_S6_PS5_21rocsparse_index_base_b.has_indirect_call, 0
	.section	.AMDGPU.csdata,"",@progbits
; Kernel info:
; codeLenInByte = 3372
; TotalNumSgprs: 16
; NumVgprs: 74
; ScratchSize: 0
; MemoryBound: 0
; FloatMode: 240
; IeeeMode: 1
; LDSByteSize: 0 bytes/workgroup (compile time only)
; SGPRBlocks: 0
; VGPRBlocks: 9
; NumSGPRsForWavesPerEU: 16
; NumVGPRsForWavesPerEU: 74
; Occupancy: 16
; WaveLimiterHint : 1
; COMPUTE_PGM_RSRC2:SCRATCH_EN: 0
; COMPUTE_PGM_RSRC2:USER_SGPR: 2
; COMPUTE_PGM_RSRC2:TRAP_HANDLER: 0
; COMPUTE_PGM_RSRC2:TGID_X_EN: 1
; COMPUTE_PGM_RSRC2:TGID_Y_EN: 0
; COMPUTE_PGM_RSRC2:TGID_Z_EN: 0
; COMPUTE_PGM_RSRC2:TIDIG_COMP_CNT: 0
	.section	.text._ZN9rocsparseL19gebsrmvn_4xn_kernelILj128ELj6ELj16E21rocsparse_complex_numIdEEEvi20rocsparse_direction_NS_24const_host_device_scalarIT2_EEPKiS8_PKS5_SA_S6_PS5_21rocsparse_index_base_b,"axG",@progbits,_ZN9rocsparseL19gebsrmvn_4xn_kernelILj128ELj6ELj16E21rocsparse_complex_numIdEEEvi20rocsparse_direction_NS_24const_host_device_scalarIT2_EEPKiS8_PKS5_SA_S6_PS5_21rocsparse_index_base_b,comdat
	.globl	_ZN9rocsparseL19gebsrmvn_4xn_kernelILj128ELj6ELj16E21rocsparse_complex_numIdEEEvi20rocsparse_direction_NS_24const_host_device_scalarIT2_EEPKiS8_PKS5_SA_S6_PS5_21rocsparse_index_base_b ; -- Begin function _ZN9rocsparseL19gebsrmvn_4xn_kernelILj128ELj6ELj16E21rocsparse_complex_numIdEEEvi20rocsparse_direction_NS_24const_host_device_scalarIT2_EEPKiS8_PKS5_SA_S6_PS5_21rocsparse_index_base_b
	.p2align	8
	.type	_ZN9rocsparseL19gebsrmvn_4xn_kernelILj128ELj6ELj16E21rocsparse_complex_numIdEEEvi20rocsparse_direction_NS_24const_host_device_scalarIT2_EEPKiS8_PKS5_SA_S6_PS5_21rocsparse_index_base_b,@function
_ZN9rocsparseL19gebsrmvn_4xn_kernelILj128ELj6ELj16E21rocsparse_complex_numIdEEEvi20rocsparse_direction_NS_24const_host_device_scalarIT2_EEPKiS8_PKS5_SA_S6_PS5_21rocsparse_index_base_b: ; @_ZN9rocsparseL19gebsrmvn_4xn_kernelILj128ELj6ELj16E21rocsparse_complex_numIdEEEvi20rocsparse_direction_NS_24const_host_device_scalarIT2_EEPKiS8_PKS5_SA_S6_PS5_21rocsparse_index_base_b
; %bb.0:
	s_clause 0x1
	s_load_b64 s[12:13], s[0:1], 0x50
	s_load_b64 s[2:3], s[0:1], 0x8
	s_add_nc_u64 s[4:5], s[0:1], 8
	s_load_b64 s[6:7], s[0:1], 0x38
	s_wait_kmcnt 0x0
	s_bitcmp1_b32 s13, 0
	s_cselect_b32 s2, s4, s2
	s_cselect_b32 s3, s5, s3
	s_delay_alu instid0(SALU_CYCLE_1)
	v_dual_mov_b32 v1, s2 :: v_dual_mov_b32 v2, s3
	s_add_nc_u64 s[2:3], s[0:1], 56
	s_wait_alu 0xfffe
	s_cselect_b32 s2, s2, s6
	s_cselect_b32 s3, s3, s7
	flat_load_b128 v[1:4], v[1:2]
	s_wait_alu 0xfffe
	v_dual_mov_b32 v5, s2 :: v_dual_mov_b32 v6, s3
	flat_load_b128 v[5:8], v[5:6]
	s_wait_loadcnt_dscnt 0x101
	v_cmp_eq_f64_e32 vcc_lo, 0, v[1:2]
	v_cmp_eq_f64_e64 s2, 0, v[3:4]
	s_and_b32 s4, vcc_lo, s2
	s_mov_b32 s2, -1
	s_and_saveexec_b32 s3, s4
	s_cbranch_execz .LBB133_2
; %bb.1:
	s_wait_loadcnt_dscnt 0x0
	v_cmp_neq_f64_e32 vcc_lo, 1.0, v[5:6]
	v_cmp_neq_f64_e64 s2, 0, v[7:8]
	s_wait_alu 0xfffe
	s_or_b32 s2, vcc_lo, s2
	s_wait_alu 0xfffe
	s_or_not1_b32 s2, s2, exec_lo
.LBB133_2:
	s_wait_alu 0xfffe
	s_or_b32 exec_lo, exec_lo, s3
	s_and_saveexec_b32 s3, s2
	s_cbranch_execz .LBB133_25
; %bb.3:
	s_load_b64 s[2:3], s[0:1], 0x0
	v_lshrrev_b32_e32 v9, 4, v0
	s_delay_alu instid0(VALU_DEP_1) | instskip(SKIP_1) | instid1(VALU_DEP_1)
	v_lshl_or_b32 v9, ttmp9, 3, v9
	s_wait_kmcnt 0x0
	v_cmp_gt_i32_e32 vcc_lo, s2, v9
	s_and_b32 exec_lo, exec_lo, vcc_lo
	s_cbranch_execz .LBB133_25
; %bb.4:
	s_load_b256 s[4:11], s[0:1], 0x18
	v_ashrrev_i32_e32 v10, 31, v9
	v_and_b32_e32 v0, 15, v0
	s_cmp_lg_u32 s3, 0
	s_delay_alu instid0(VALU_DEP_2) | instskip(SKIP_1) | instid1(VALU_DEP_1)
	v_lshlrev_b64_e32 v[10:11], 2, v[9:10]
	s_wait_kmcnt 0x0
	v_add_co_u32 v10, vcc_lo, s4, v10
	s_delay_alu instid0(VALU_DEP_1) | instskip(SKIP_4) | instid1(VALU_DEP_2)
	v_add_co_ci_u32_e64 v11, null, s5, v11, vcc_lo
	global_load_b64 v[10:11], v[10:11], off
	s_wait_loadcnt 0x0
	v_subrev_nc_u32_e32 v10, s12, v10
	v_subrev_nc_u32_e32 v33, s12, v11
	v_add_nc_u32_e32 v26, v10, v0
	s_delay_alu instid0(VALU_DEP_1)
	v_cmp_lt_i32_e64 s2, v26, v33
	s_cbranch_scc0 .LBB133_12
; %bb.5:
	v_mov_b32_e32 v10, 0
	v_mov_b32_e32 v12, 0
	;; [unrolled: 1-line block ×3, first 2 shown]
	v_dual_mov_b32 v22, 0 :: v_dual_mov_b32 v11, 0
	v_dual_mov_b32 v16, 0 :: v_dual_mov_b32 v13, 0
	;; [unrolled: 1-line block ×5, first 2 shown]
	v_mov_b32_e32 v15, 0
	v_mov_b32_e32 v21, 0
	;; [unrolled: 1-line block ×3, first 2 shown]
	s_and_saveexec_b32 s3, s2
	s_cbranch_execz .LBB133_11
; %bb.6:
	v_mul_lo_u32 v31, v26, 24
	v_mov_b32_e32 v10, 0
	v_mov_b32_e32 v16, 0
	;; [unrolled: 1-line block ×7, first 2 shown]
	v_dual_mov_b32 v24, 0 :: v_dual_mov_b32 v29, v26
	v_dual_mov_b32 v11, 0 :: v_dual_mov_b32 v28, 0
	v_mov_b32_e32 v17, 0
	v_mov_b32_e32 v13, 0
	v_mov_b32_e32 v15, 0
	v_mov_b32_e32 v19, 0
	v_mov_b32_e32 v21, 0
	v_mov_b32_e32 v23, 0
	v_mov_b32_e32 v25, 0
	s_mov_b32 s4, 0
.LBB133_7:                              ; =>This Loop Header: Depth=1
                                        ;     Child Loop BB133_8 Depth 2
	v_ashrrev_i32_e32 v30, 31, v29
	s_mov_b32 s5, 0
	s_delay_alu instid0(VALU_DEP_1) | instskip(NEXT) | instid1(VALU_DEP_1)
	v_lshlrev_b64_e32 v[34:35], 2, v[29:30]
	v_add_co_u32 v34, vcc_lo, s6, v34
	s_wait_alu 0xfffd
	s_delay_alu instid0(VALU_DEP_2) | instskip(SKIP_3) | instid1(VALU_DEP_1)
	v_add_co_ci_u32_e64 v35, null, s7, v35, vcc_lo
	global_load_b32 v27, v[34:35], off
	s_wait_loadcnt 0x0
	v_subrev_nc_u32_e32 v27, s12, v27
	v_mul_lo_u32 v30, v27, 6
	v_mov_b32_e32 v27, v31
.LBB133_8:                              ;   Parent Loop BB133_7 Depth=1
                                        ; =>  This Inner Loop Header: Depth=2
	s_wait_alu 0xfffe
	s_delay_alu instid0(VALU_DEP_2) | instskip(NEXT) | instid1(VALU_DEP_2)
	v_dual_mov_b32 v35, v28 :: v_dual_add_nc_u32 v34, s5, v30
	v_lshlrev_b64_e32 v[36:37], 4, v[27:28]
	v_dual_mov_b32 v59, v28 :: v_dual_add_nc_u32 v58, 4, v27
	v_add_nc_u32_e32 v27, 8, v27
	s_delay_alu instid0(VALU_DEP_4) | instskip(SKIP_1) | instid1(VALU_DEP_4)
	v_lshlrev_b64_e32 v[34:35], 4, v[34:35]
	s_add_co_i32 s5, s5, 2
	v_add_co_u32 v46, vcc_lo, s8, v36
	s_wait_alu 0xfffd
	v_add_co_ci_u32_e64 v47, null, s9, v37, vcc_lo
	s_delay_alu instid0(VALU_DEP_3)
	v_add_co_u32 v54, vcc_lo, s10, v34
	s_wait_alu 0xfffd
	v_add_co_ci_u32_e64 v55, null, s11, v35, vcc_lo
	s_clause 0x3
	global_load_b128 v[34:37], v[46:47], off offset:48
	global_load_b128 v[38:41], v[46:47], off offset:32
	;; [unrolled: 1-line block ×3, first 2 shown]
	global_load_b128 v[46:49], v[46:47], off
	s_clause 0x1
	global_load_b128 v[50:53], v[54:55], off
	global_load_b128 v[54:57], v[54:55], off offset:16
	v_lshlrev_b64_e32 v[58:59], 4, v[58:59]
	s_wait_alu 0xfffe
	s_cmp_eq_u32 s5, 6
	s_delay_alu instid0(VALU_DEP_1) | instskip(SKIP_1) | instid1(VALU_DEP_2)
	v_add_co_u32 v70, vcc_lo, s8, v58
	s_wait_alu 0xfffd
	v_add_co_ci_u32_e64 v71, null, s9, v59, vcc_lo
	s_clause 0x3
	global_load_b128 v[58:61], v[70:71], off
	global_load_b128 v[62:65], v[70:71], off offset:16
	global_load_b128 v[66:69], v[70:71], off offset:32
	;; [unrolled: 1-line block ×3, first 2 shown]
	s_wait_loadcnt 0x5
	v_fma_f64 v[16:17], v[46:47], v[50:51], v[16:17]
	v_fma_f64 v[10:11], v[48:49], v[50:51], v[10:11]
	;; [unrolled: 1-line block ×8, first 2 shown]
	v_fma_f64 v[16:17], -v[48:49], v[52:53], v[16:17]
	v_fma_f64 v[10:11], v[46:47], v[52:53], v[10:11]
	v_fma_f64 v[22:23], -v[44:45], v[52:53], v[22:23]
	v_fma_f64 v[24:25], v[42:43], v[52:53], v[24:25]
	;; [unrolled: 2-line block ×4, first 2 shown]
	s_wait_loadcnt 0x3
	v_fma_f64 v[16:17], v[58:59], v[54:55], v[16:17]
	v_fma_f64 v[10:11], v[60:61], v[54:55], v[10:11]
	s_wait_loadcnt 0x2
	v_fma_f64 v[22:23], v[62:63], v[54:55], v[22:23]
	v_fma_f64 v[24:25], v[64:65], v[54:55], v[24:25]
	;; [unrolled: 3-line block ×4, first 2 shown]
	v_fma_f64 v[16:17], -v[60:61], v[56:57], v[16:17]
	v_fma_f64 v[10:11], v[58:59], v[56:57], v[10:11]
	v_fma_f64 v[22:23], -v[64:65], v[56:57], v[22:23]
	v_fma_f64 v[24:25], v[62:63], v[56:57], v[24:25]
	;; [unrolled: 2-line block ×4, first 2 shown]
	s_cbranch_scc0 .LBB133_8
; %bb.9:                                ;   in Loop: Header=BB133_7 Depth=1
	v_add_nc_u32_e32 v29, 16, v29
	v_add_nc_u32_e32 v31, 0x180, v31
	s_delay_alu instid0(VALU_DEP_2)
	v_cmp_ge_i32_e32 vcc_lo, v29, v33
	s_or_b32 s4, vcc_lo, s4
	s_wait_alu 0xfffe
	s_and_not1_b32 exec_lo, exec_lo, s4
	s_cbranch_execnz .LBB133_7
; %bb.10:
	s_or_b32 exec_lo, exec_lo, s4
.LBB133_11:
	s_wait_alu 0xfffe
	s_or_b32 exec_lo, exec_lo, s3
	s_cbranch_execz .LBB133_13
	s_branch .LBB133_20
.LBB133_12:
                                        ; implicit-def: $vgpr10_vgpr11
                                        ; implicit-def: $vgpr16_vgpr17
                                        ; implicit-def: $vgpr12_vgpr13
                                        ; implicit-def: $vgpr14_vgpr15
                                        ; implicit-def: $vgpr18_vgpr19
                                        ; implicit-def: $vgpr20_vgpr21
                                        ; implicit-def: $vgpr22_vgpr23
                                        ; implicit-def: $vgpr24_vgpr25
.LBB133_13:
	v_mov_b32_e32 v10, 0
	v_mov_b32_e32 v12, 0
	;; [unrolled: 1-line block ×3, first 2 shown]
	v_dual_mov_b32 v22, 0 :: v_dual_mov_b32 v11, 0
	v_dual_mov_b32 v16, 0 :: v_dual_mov_b32 v13, 0
	;; [unrolled: 1-line block ×5, first 2 shown]
	v_mov_b32_e32 v15, 0
	v_mov_b32_e32 v21, 0
	;; [unrolled: 1-line block ×3, first 2 shown]
	s_and_saveexec_b32 s4, s2
	s_cbranch_execz .LBB133_19
; %bb.14:
	v_mul_lo_u32 v28, v26, 24
	v_mov_b32_e32 v10, 0
	v_mov_b32_e32 v12, 0
	;; [unrolled: 1-line block ×3, first 2 shown]
	v_dual_mov_b32 v22, 0 :: v_dual_mov_b32 v11, 0
	v_dual_mov_b32 v16, 0 :: v_dual_mov_b32 v13, 0
	;; [unrolled: 1-line block ×5, first 2 shown]
	v_mov_b32_e32 v15, 0
	v_mov_b32_e32 v21, 0
	v_dual_mov_b32 v25, 0 :: v_dual_mov_b32 v30, 0
	s_add_nc_u64 s[2:3], s[8:9], 16
	s_mov_b32 s5, 0
.LBB133_15:                             ; =>This Loop Header: Depth=1
                                        ;     Child Loop BB133_16 Depth 2
	v_ashrrev_i32_e32 v27, 31, v26
	s_delay_alu instid0(VALU_DEP_2) | instskip(SKIP_1) | instid1(VALU_DEP_2)
	v_mov_b32_e32 v29, v30
	s_mov_b32 s13, 0
	v_lshlrev_b64_e32 v[31:32], 2, v[26:27]
	s_delay_alu instid0(VALU_DEP_1) | instskip(SKIP_1) | instid1(VALU_DEP_2)
	v_add_co_u32 v31, vcc_lo, s6, v31
	s_wait_alu 0xfffd
	v_add_co_ci_u32_e64 v32, null, s7, v32, vcc_lo
	global_load_b32 v27, v[31:32], off
	v_lshlrev_b64_e32 v[31:32], 4, v[28:29]
	s_wait_alu 0xfffe
	s_delay_alu instid0(VALU_DEP_1) | instskip(SKIP_1) | instid1(VALU_DEP_2)
	v_add_co_u32 v31, vcc_lo, s2, v31
	s_wait_alu 0xfffd
	v_add_co_ci_u32_e64 v32, null, s3, v32, vcc_lo
	s_wait_loadcnt 0x0
	v_subrev_nc_u32_e32 v27, s12, v27
	s_delay_alu instid0(VALU_DEP_1)
	v_mul_lo_u32 v27, v27, 6
.LBB133_16:                             ;   Parent Loop BB133_15 Depth=1
                                        ; =>  This Inner Loop Header: Depth=2
	s_delay_alu instid0(VALU_DEP_1)
	v_add_nc_u32_e32 v29, s13, v27
	v_add_nc_u32_e32 v48, s13, v28
	s_clause 0x1
	global_load_b128 v[34:37], v[31:32], off
	global_load_b128 v[38:41], v[31:32], off offset:-16
	s_add_co_i32 s13, s13, 2
	s_wait_alu 0xfffe
	s_cmp_eq_u32 s13, 6
	v_lshlrev_b64_e32 v[42:43], 4, v[29:30]
	v_add_nc_u32_e32 v29, 6, v48
	s_delay_alu instid0(VALU_DEP_1) | instskip(SKIP_1) | instid1(VALU_DEP_4)
	v_lshlrev_b64_e32 v[44:45], 4, v[29:30]
	v_add_nc_u32_e32 v29, 12, v48
	v_add_co_u32 v46, vcc_lo, s10, v42
	s_wait_alu 0xfffd
	v_add_co_ci_u32_e64 v47, null, s11, v43, vcc_lo
	s_delay_alu instid0(VALU_DEP_3) | instskip(SKIP_4) | instid1(VALU_DEP_3)
	v_lshlrev_b64_e32 v[54:55], 4, v[29:30]
	v_add_nc_u32_e32 v29, 18, v48
	v_add_co_u32 v56, vcc_lo, s8, v44
	s_wait_alu 0xfffd
	v_add_co_ci_u32_e64 v57, null, s9, v45, vcc_lo
	v_lshlrev_b64_e32 v[58:59], 4, v[29:30]
	v_add_co_u32 v62, vcc_lo, s8, v54
	s_wait_alu 0xfffd
	v_add_co_ci_u32_e64 v63, null, s9, v55, vcc_lo
	s_clause 0x1
	global_load_b128 v[42:45], v[46:47], off offset:16
	global_load_b128 v[46:49], v[46:47], off
	v_add_co_u32 v70, vcc_lo, s8, v58
	s_wait_alu 0xfffd
	v_add_co_ci_u32_e64 v71, null, s9, v59, vcc_lo
	s_clause 0x5
	global_load_b128 v[50:53], v[56:57], off
	global_load_b128 v[54:57], v[56:57], off offset:16
	global_load_b128 v[58:61], v[62:63], off
	global_load_b128 v[62:65], v[62:63], off offset:16
	;; [unrolled: 2-line block ×3, first 2 shown]
	v_add_co_u32 v31, vcc_lo, v31, 32
	s_wait_alu 0xfffd
	v_add_co_ci_u32_e64 v32, null, 0, v32, vcc_lo
	s_wait_loadcnt 0x6
	v_fma_f64 v[16:17], v[38:39], v[46:47], v[16:17]
	v_fma_f64 v[10:11], v[40:41], v[46:47], v[10:11]
	s_wait_loadcnt 0x3
	v_fma_f64 v[18:19], v[58:59], v[46:47], v[18:19]
	v_fma_f64 v[20:21], v[60:61], v[46:47], v[20:21]
	;; [unrolled: 1-line block ×4, first 2 shown]
	s_wait_loadcnt 0x1
	v_fma_f64 v[12:13], v[66:67], v[46:47], v[12:13]
	v_fma_f64 v[14:15], v[68:69], v[46:47], v[14:15]
	v_fma_f64 v[16:17], -v[40:41], v[48:49], v[16:17]
	v_fma_f64 v[10:11], v[38:39], v[48:49], v[10:11]
	v_fma_f64 v[18:19], -v[60:61], v[48:49], v[18:19]
	;; [unrolled: 2-line block ×4, first 2 shown]
	v_fma_f64 v[14:15], v[66:67], v[48:49], v[14:15]
	v_fma_f64 v[16:17], v[34:35], v[42:43], v[16:17]
	;; [unrolled: 1-line block ×7, first 2 shown]
	s_wait_loadcnt 0x0
	v_fma_f64 v[12:13], v[70:71], v[42:43], v[12:13]
	v_fma_f64 v[14:15], v[72:73], v[42:43], v[14:15]
	v_fma_f64 v[16:17], -v[36:37], v[44:45], v[16:17]
	v_fma_f64 v[10:11], v[34:35], v[44:45], v[10:11]
	v_fma_f64 v[18:19], -v[64:65], v[44:45], v[18:19]
	;; [unrolled: 2-line block ×4, first 2 shown]
	v_fma_f64 v[14:15], v[70:71], v[44:45], v[14:15]
	s_cbranch_scc0 .LBB133_16
; %bb.17:                               ;   in Loop: Header=BB133_15 Depth=1
	v_add_nc_u32_e32 v26, 16, v26
	v_add_nc_u32_e32 v28, 0x180, v28
	s_delay_alu instid0(VALU_DEP_2)
	v_cmp_ge_i32_e32 vcc_lo, v26, v33
	s_or_b32 s5, vcc_lo, s5
	s_wait_alu 0xfffe
	s_and_not1_b32 exec_lo, exec_lo, s5
	s_cbranch_execnz .LBB133_15
; %bb.18:
	s_or_b32 exec_lo, exec_lo, s5
.LBB133_19:
	s_wait_alu 0xfffe
	s_or_b32 exec_lo, exec_lo, s4
.LBB133_20:
	v_mbcnt_lo_u32_b32 v44, -1, 0
	s_delay_alu instid0(VALU_DEP_1) | instskip(NEXT) | instid1(VALU_DEP_1)
	v_xor_b32_e32 v26, 8, v44
	v_cmp_gt_i32_e32 vcc_lo, 32, v26
	s_wait_alu 0xfffd
	v_cndmask_b32_e32 v26, v44, v26, vcc_lo
	s_delay_alu instid0(VALU_DEP_1)
	v_lshlrev_b32_e32 v41, 2, v26
	ds_bpermute_b32 v26, v41, v16
	ds_bpermute_b32 v27, v41, v17
	;; [unrolled: 1-line block ×16, first 2 shown]
	s_wait_dscnt 0xe
	v_add_f64_e32 v[16:17], v[16:17], v[26:27]
	v_xor_b32_e32 v26, 4, v44
	s_wait_dscnt 0xc
	v_add_f64_e32 v[10:11], v[10:11], v[28:29]
	s_wait_dscnt 0xa
	v_add_f64_e32 v[22:23], v[22:23], v[30:31]
	;; [unrolled: 2-line block ×3, first 2 shown]
	v_cmp_gt_i32_e32 vcc_lo, 32, v26
	s_wait_dscnt 0x6
	v_add_f64_e32 v[18:19], v[18:19], v[34:35]
	s_wait_dscnt 0x4
	v_add_f64_e32 v[20:21], v[20:21], v[36:37]
	;; [unrolled: 2-line block ×3, first 2 shown]
	s_wait_alu 0xfffd
	v_cndmask_b32_e32 v26, v44, v26, vcc_lo
	s_wait_dscnt 0x0
	v_add_f64_e32 v[14:15], v[14:15], v[40:41]
	s_delay_alu instid0(VALU_DEP_2)
	v_lshlrev_b32_e32 v41, 2, v26
	ds_bpermute_b32 v26, v41, v16
	ds_bpermute_b32 v27, v41, v17
	;; [unrolled: 1-line block ×16, first 2 shown]
	s_wait_dscnt 0xe
	v_add_f64_e32 v[16:17], v[16:17], v[26:27]
	s_wait_dscnt 0xc
	v_add_f64_e32 v[26:27], v[10:11], v[28:29]
	v_xor_b32_e32 v10, 2, v44
	s_wait_dscnt 0xa
	v_add_f64_e32 v[22:23], v[22:23], v[30:31]
	s_wait_dscnt 0x8
	v_add_f64_e32 v[28:29], v[24:25], v[32:33]
	;; [unrolled: 2-line block ×3, first 2 shown]
	v_cmp_gt_i32_e32 vcc_lo, 32, v10
	s_wait_dscnt 0x4
	v_add_f64_e32 v[20:21], v[20:21], v[36:37]
	s_wait_dscnt 0x2
	v_add_f64_e32 v[30:31], v[12:13], v[38:39]
	;; [unrolled: 2-line block ×3, first 2 shown]
	s_wait_alu 0xfffd
	v_cndmask_b32_e32 v10, v44, v10, vcc_lo
	s_delay_alu instid0(VALU_DEP_1)
	v_lshlrev_b32_e32 v24, 2, v10
	ds_bpermute_b32 v10, v24, v16
	ds_bpermute_b32 v11, v24, v17
	;; [unrolled: 1-line block ×16, first 2 shown]
	s_wait_dscnt 0xe
	v_add_f64_e32 v[10:11], v[16:17], v[10:11]
	s_wait_dscnt 0xc
	v_add_f64_e32 v[24:25], v[26:27], v[12:13]
	v_xor_b32_e32 v26, 1, v44
	s_wait_dscnt 0xa
	v_add_f64_e32 v[12:13], v[22:23], v[14:15]
	s_wait_dscnt 0x8
	v_add_f64_e32 v[22:23], v[28:29], v[34:35]
	;; [unrolled: 2-line block ×3, first 2 shown]
	v_cmp_gt_i32_e32 vcc_lo, 32, v26
	s_wait_dscnt 0x4
	v_add_f64_e32 v[20:21], v[20:21], v[38:39]
	s_wait_dscnt 0x2
	v_add_f64_e32 v[16:17], v[30:31], v[40:41]
	;; [unrolled: 2-line block ×3, first 2 shown]
	s_wait_alu 0xfffd
	v_cndmask_b32_e32 v26, v44, v26, vcc_lo
	v_cmp_eq_u32_e32 vcc_lo, 15, v0
	s_delay_alu instid0(VALU_DEP_2)
	v_lshlrev_b32_e32 v29, 2, v26
	ds_bpermute_b32 v40, v29, v10
	ds_bpermute_b32 v41, v29, v11
	;; [unrolled: 1-line block ×16, first 2 shown]
	s_and_b32 exec_lo, exec_lo, vcc_lo
	s_cbranch_execz .LBB133_25
; %bb.21:
	v_cmp_eq_f64_e32 vcc_lo, 0, v[5:6]
	v_cmp_eq_f64_e64 s2, 0, v[7:8]
	s_wait_dscnt 0xe
	v_add_f64_e32 v[10:11], v[10:11], v[40:41]
	s_wait_dscnt 0xc
	v_add_f64_e32 v[24:25], v[24:25], v[38:39]
	;; [unrolled: 2-line block ×8, first 2 shown]
	s_load_b64 s[0:1], s[0:1], 0x48
	s_and_b32 s2, vcc_lo, s2
	s_wait_alu 0xfffe
	s_and_saveexec_b32 s3, s2
	s_wait_alu 0xfffe
	s_xor_b32 s2, exec_lo, s3
	s_cbranch_execz .LBB133_23
; %bb.22:
	v_mul_f64_e64 v[5:6], v[24:25], -v[3:4]
	v_mul_f64_e32 v[7:8], v[1:2], v[24:25]
	v_mul_f64_e64 v[24:25], v[22:23], -v[3:4]
	v_mul_f64_e32 v[22:23], v[1:2], v[22:23]
	;; [unrolled: 2-line block ×4, first 2 shown]
	v_fma_f64 v[5:6], v[1:2], v[10:11], v[5:6]
	v_fma_f64 v[7:8], v[3:4], v[10:11], v[7:8]
	;; [unrolled: 1-line block ×8, first 2 shown]
	v_lshlrev_b32_e32 v14, 2, v9
                                        ; implicit-def: $vgpr9
                                        ; implicit-def: $vgpr24_vgpr25
                                        ; implicit-def: $vgpr22_vgpr23
                                        ; implicit-def: $vgpr16_vgpr17
	s_delay_alu instid0(VALU_DEP_1) | instskip(NEXT) | instid1(VALU_DEP_1)
	v_ashrrev_i32_e32 v15, 31, v14
	v_lshlrev_b64_e32 v[14:15], 4, v[14:15]
	s_wait_kmcnt 0x0
	s_delay_alu instid0(VALU_DEP_1) | instskip(SKIP_1) | instid1(VALU_DEP_2)
	v_add_co_u32 v14, vcc_lo, s0, v14
	s_wait_alu 0xfffd
	v_add_co_ci_u32_e64 v15, null, s1, v15, vcc_lo
	s_clause 0x3
	global_store_b128 v[14:15], v[5:8], off
	global_store_b128 v[14:15], v[10:13], off offset:16
	global_store_b128 v[14:15], v[18:21], off offset:32
	;; [unrolled: 1-line block ×3, first 2 shown]
                                        ; implicit-def: $vgpr10_vgpr11
                                        ; implicit-def: $vgpr12_vgpr13
                                        ; implicit-def: $vgpr14_vgpr15
                                        ; implicit-def: $vgpr20_vgpr21
                                        ; implicit-def: $vgpr18_vgpr19
                                        ; implicit-def: $vgpr7_vgpr8
                                        ; implicit-def: $vgpr3_vgpr4
.LBB133_23:
	s_wait_alu 0xfffe
	s_and_not1_saveexec_b32 s2, s2
	s_cbranch_execz .LBB133_25
; %bb.24:
	v_lshlrev_b32_e32 v26, 2, v9
	v_mul_f64_e64 v[44:45], v[24:25], -v[3:4]
	v_mul_f64_e32 v[24:25], v[1:2], v[24:25]
	v_mul_f64_e64 v[46:47], v[22:23], -v[3:4]
	v_mul_f64_e32 v[22:23], v[1:2], v[22:23]
	v_ashrrev_i32_e32 v27, 31, v26
	v_mul_f64_e64 v[48:49], v[20:21], -v[3:4]
	v_mul_f64_e32 v[20:21], v[1:2], v[20:21]
	v_mul_f64_e64 v[50:51], v[18:19], -v[3:4]
	v_mul_f64_e32 v[18:19], v[1:2], v[18:19]
	v_lshlrev_b64_e32 v[26:27], 4, v[26:27]
	s_wait_kmcnt 0x0
	s_delay_alu instid0(VALU_DEP_1) | instskip(SKIP_1) | instid1(VALU_DEP_2)
	v_add_co_u32 v42, vcc_lo, s0, v26
	s_wait_alu 0xfffd
	v_add_co_ci_u32_e64 v43, null, s1, v27, vcc_lo
	s_clause 0x3
	global_load_b128 v[26:29], v[42:43], off
	global_load_b128 v[30:33], v[42:43], off offset:16
	global_load_b128 v[34:37], v[42:43], off offset:32
	;; [unrolled: 1-line block ×3, first 2 shown]
	v_fma_f64 v[44:45], v[1:2], v[10:11], v[44:45]
	v_fma_f64 v[9:10], v[3:4], v[10:11], v[24:25]
	;; [unrolled: 1-line block ×8, first 2 shown]
	s_wait_loadcnt 0x3
	v_fma_f64 v[15:16], v[5:6], v[26:27], v[44:45]
	v_fma_f64 v[9:10], v[7:8], v[26:27], v[9:10]
	s_wait_loadcnt 0x2
	v_fma_f64 v[17:18], v[5:6], v[30:31], v[24:25]
	v_fma_f64 v[11:12], v[7:8], v[30:31], v[11:12]
	;; [unrolled: 3-line block ×4, first 2 shown]
	v_fma_f64 v[0:1], -v[7:8], v[28:29], v[15:16]
	v_fma_f64 v[2:3], v[5:6], v[28:29], v[9:10]
	v_fma_f64 v[9:10], -v[7:8], v[32:33], v[17:18]
	v_fma_f64 v[11:12], v[5:6], v[32:33], v[11:12]
	;; [unrolled: 2-line block ×4, first 2 shown]
	s_clause 0x3
	global_store_b128 v[42:43], v[0:3], off
	global_store_b128 v[42:43], v[9:12], off offset:16
	global_store_b128 v[42:43], v[13:16], off offset:32
	;; [unrolled: 1-line block ×3, first 2 shown]
.LBB133_25:
	s_endpgm
	.section	.rodata,"a",@progbits
	.p2align	6, 0x0
	.amdhsa_kernel _ZN9rocsparseL19gebsrmvn_4xn_kernelILj128ELj6ELj16E21rocsparse_complex_numIdEEEvi20rocsparse_direction_NS_24const_host_device_scalarIT2_EEPKiS8_PKS5_SA_S6_PS5_21rocsparse_index_base_b
		.amdhsa_group_segment_fixed_size 0
		.amdhsa_private_segment_fixed_size 0
		.amdhsa_kernarg_size 88
		.amdhsa_user_sgpr_count 2
		.amdhsa_user_sgpr_dispatch_ptr 0
		.amdhsa_user_sgpr_queue_ptr 0
		.amdhsa_user_sgpr_kernarg_segment_ptr 1
		.amdhsa_user_sgpr_dispatch_id 0
		.amdhsa_user_sgpr_private_segment_size 0
		.amdhsa_wavefront_size32 1
		.amdhsa_uses_dynamic_stack 0
		.amdhsa_enable_private_segment 0
		.amdhsa_system_sgpr_workgroup_id_x 1
		.amdhsa_system_sgpr_workgroup_id_y 0
		.amdhsa_system_sgpr_workgroup_id_z 0
		.amdhsa_system_sgpr_workgroup_info 0
		.amdhsa_system_vgpr_workitem_id 0
		.amdhsa_next_free_vgpr 74
		.amdhsa_next_free_sgpr 14
		.amdhsa_reserve_vcc 1
		.amdhsa_float_round_mode_32 0
		.amdhsa_float_round_mode_16_64 0
		.amdhsa_float_denorm_mode_32 3
		.amdhsa_float_denorm_mode_16_64 3
		.amdhsa_fp16_overflow 0
		.amdhsa_workgroup_processor_mode 1
		.amdhsa_memory_ordered 1
		.amdhsa_forward_progress 1
		.amdhsa_inst_pref_size 28
		.amdhsa_round_robin_scheduling 0
		.amdhsa_exception_fp_ieee_invalid_op 0
		.amdhsa_exception_fp_denorm_src 0
		.amdhsa_exception_fp_ieee_div_zero 0
		.amdhsa_exception_fp_ieee_overflow 0
		.amdhsa_exception_fp_ieee_underflow 0
		.amdhsa_exception_fp_ieee_inexact 0
		.amdhsa_exception_int_div_zero 0
	.end_amdhsa_kernel
	.section	.text._ZN9rocsparseL19gebsrmvn_4xn_kernelILj128ELj6ELj16E21rocsparse_complex_numIdEEEvi20rocsparse_direction_NS_24const_host_device_scalarIT2_EEPKiS8_PKS5_SA_S6_PS5_21rocsparse_index_base_b,"axG",@progbits,_ZN9rocsparseL19gebsrmvn_4xn_kernelILj128ELj6ELj16E21rocsparse_complex_numIdEEEvi20rocsparse_direction_NS_24const_host_device_scalarIT2_EEPKiS8_PKS5_SA_S6_PS5_21rocsparse_index_base_b,comdat
.Lfunc_end133:
	.size	_ZN9rocsparseL19gebsrmvn_4xn_kernelILj128ELj6ELj16E21rocsparse_complex_numIdEEEvi20rocsparse_direction_NS_24const_host_device_scalarIT2_EEPKiS8_PKS5_SA_S6_PS5_21rocsparse_index_base_b, .Lfunc_end133-_ZN9rocsparseL19gebsrmvn_4xn_kernelILj128ELj6ELj16E21rocsparse_complex_numIdEEEvi20rocsparse_direction_NS_24const_host_device_scalarIT2_EEPKiS8_PKS5_SA_S6_PS5_21rocsparse_index_base_b
                                        ; -- End function
	.set _ZN9rocsparseL19gebsrmvn_4xn_kernelILj128ELj6ELj16E21rocsparse_complex_numIdEEEvi20rocsparse_direction_NS_24const_host_device_scalarIT2_EEPKiS8_PKS5_SA_S6_PS5_21rocsparse_index_base_b.num_vgpr, 74
	.set _ZN9rocsparseL19gebsrmvn_4xn_kernelILj128ELj6ELj16E21rocsparse_complex_numIdEEEvi20rocsparse_direction_NS_24const_host_device_scalarIT2_EEPKiS8_PKS5_SA_S6_PS5_21rocsparse_index_base_b.num_agpr, 0
	.set _ZN9rocsparseL19gebsrmvn_4xn_kernelILj128ELj6ELj16E21rocsparse_complex_numIdEEEvi20rocsparse_direction_NS_24const_host_device_scalarIT2_EEPKiS8_PKS5_SA_S6_PS5_21rocsparse_index_base_b.numbered_sgpr, 14
	.set _ZN9rocsparseL19gebsrmvn_4xn_kernelILj128ELj6ELj16E21rocsparse_complex_numIdEEEvi20rocsparse_direction_NS_24const_host_device_scalarIT2_EEPKiS8_PKS5_SA_S6_PS5_21rocsparse_index_base_b.num_named_barrier, 0
	.set _ZN9rocsparseL19gebsrmvn_4xn_kernelILj128ELj6ELj16E21rocsparse_complex_numIdEEEvi20rocsparse_direction_NS_24const_host_device_scalarIT2_EEPKiS8_PKS5_SA_S6_PS5_21rocsparse_index_base_b.private_seg_size, 0
	.set _ZN9rocsparseL19gebsrmvn_4xn_kernelILj128ELj6ELj16E21rocsparse_complex_numIdEEEvi20rocsparse_direction_NS_24const_host_device_scalarIT2_EEPKiS8_PKS5_SA_S6_PS5_21rocsparse_index_base_b.uses_vcc, 1
	.set _ZN9rocsparseL19gebsrmvn_4xn_kernelILj128ELj6ELj16E21rocsparse_complex_numIdEEEvi20rocsparse_direction_NS_24const_host_device_scalarIT2_EEPKiS8_PKS5_SA_S6_PS5_21rocsparse_index_base_b.uses_flat_scratch, 0
	.set _ZN9rocsparseL19gebsrmvn_4xn_kernelILj128ELj6ELj16E21rocsparse_complex_numIdEEEvi20rocsparse_direction_NS_24const_host_device_scalarIT2_EEPKiS8_PKS5_SA_S6_PS5_21rocsparse_index_base_b.has_dyn_sized_stack, 0
	.set _ZN9rocsparseL19gebsrmvn_4xn_kernelILj128ELj6ELj16E21rocsparse_complex_numIdEEEvi20rocsparse_direction_NS_24const_host_device_scalarIT2_EEPKiS8_PKS5_SA_S6_PS5_21rocsparse_index_base_b.has_recursion, 0
	.set _ZN9rocsparseL19gebsrmvn_4xn_kernelILj128ELj6ELj16E21rocsparse_complex_numIdEEEvi20rocsparse_direction_NS_24const_host_device_scalarIT2_EEPKiS8_PKS5_SA_S6_PS5_21rocsparse_index_base_b.has_indirect_call, 0
	.section	.AMDGPU.csdata,"",@progbits
; Kernel info:
; codeLenInByte = 3584
; TotalNumSgprs: 16
; NumVgprs: 74
; ScratchSize: 0
; MemoryBound: 0
; FloatMode: 240
; IeeeMode: 1
; LDSByteSize: 0 bytes/workgroup (compile time only)
; SGPRBlocks: 0
; VGPRBlocks: 9
; NumSGPRsForWavesPerEU: 16
; NumVGPRsForWavesPerEU: 74
; Occupancy: 16
; WaveLimiterHint : 1
; COMPUTE_PGM_RSRC2:SCRATCH_EN: 0
; COMPUTE_PGM_RSRC2:USER_SGPR: 2
; COMPUTE_PGM_RSRC2:TRAP_HANDLER: 0
; COMPUTE_PGM_RSRC2:TGID_X_EN: 1
; COMPUTE_PGM_RSRC2:TGID_Y_EN: 0
; COMPUTE_PGM_RSRC2:TGID_Z_EN: 0
; COMPUTE_PGM_RSRC2:TIDIG_COMP_CNT: 0
	.section	.text._ZN9rocsparseL19gebsrmvn_4xn_kernelILj128ELj6ELj32E21rocsparse_complex_numIdEEEvi20rocsparse_direction_NS_24const_host_device_scalarIT2_EEPKiS8_PKS5_SA_S6_PS5_21rocsparse_index_base_b,"axG",@progbits,_ZN9rocsparseL19gebsrmvn_4xn_kernelILj128ELj6ELj32E21rocsparse_complex_numIdEEEvi20rocsparse_direction_NS_24const_host_device_scalarIT2_EEPKiS8_PKS5_SA_S6_PS5_21rocsparse_index_base_b,comdat
	.globl	_ZN9rocsparseL19gebsrmvn_4xn_kernelILj128ELj6ELj32E21rocsparse_complex_numIdEEEvi20rocsparse_direction_NS_24const_host_device_scalarIT2_EEPKiS8_PKS5_SA_S6_PS5_21rocsparse_index_base_b ; -- Begin function _ZN9rocsparseL19gebsrmvn_4xn_kernelILj128ELj6ELj32E21rocsparse_complex_numIdEEEvi20rocsparse_direction_NS_24const_host_device_scalarIT2_EEPKiS8_PKS5_SA_S6_PS5_21rocsparse_index_base_b
	.p2align	8
	.type	_ZN9rocsparseL19gebsrmvn_4xn_kernelILj128ELj6ELj32E21rocsparse_complex_numIdEEEvi20rocsparse_direction_NS_24const_host_device_scalarIT2_EEPKiS8_PKS5_SA_S6_PS5_21rocsparse_index_base_b,@function
_ZN9rocsparseL19gebsrmvn_4xn_kernelILj128ELj6ELj32E21rocsparse_complex_numIdEEEvi20rocsparse_direction_NS_24const_host_device_scalarIT2_EEPKiS8_PKS5_SA_S6_PS5_21rocsparse_index_base_b: ; @_ZN9rocsparseL19gebsrmvn_4xn_kernelILj128ELj6ELj32E21rocsparse_complex_numIdEEEvi20rocsparse_direction_NS_24const_host_device_scalarIT2_EEPKiS8_PKS5_SA_S6_PS5_21rocsparse_index_base_b
; %bb.0:
	s_clause 0x1
	s_load_b64 s[12:13], s[0:1], 0x50
	s_load_b64 s[2:3], s[0:1], 0x8
	s_add_nc_u64 s[4:5], s[0:1], 8
	s_load_b64 s[6:7], s[0:1], 0x38
	s_wait_kmcnt 0x0
	s_bitcmp1_b32 s13, 0
	s_cselect_b32 s2, s4, s2
	s_cselect_b32 s3, s5, s3
	s_delay_alu instid0(SALU_CYCLE_1)
	v_dual_mov_b32 v1, s2 :: v_dual_mov_b32 v2, s3
	s_add_nc_u64 s[2:3], s[0:1], 56
	s_wait_alu 0xfffe
	s_cselect_b32 s2, s2, s6
	s_cselect_b32 s3, s3, s7
	flat_load_b128 v[1:4], v[1:2]
	s_wait_alu 0xfffe
	v_dual_mov_b32 v5, s2 :: v_dual_mov_b32 v6, s3
	flat_load_b128 v[5:8], v[5:6]
	s_wait_loadcnt_dscnt 0x101
	v_cmp_eq_f64_e32 vcc_lo, 0, v[1:2]
	v_cmp_eq_f64_e64 s2, 0, v[3:4]
	s_and_b32 s4, vcc_lo, s2
	s_mov_b32 s2, -1
	s_and_saveexec_b32 s3, s4
	s_cbranch_execz .LBB134_2
; %bb.1:
	s_wait_loadcnt_dscnt 0x0
	v_cmp_neq_f64_e32 vcc_lo, 1.0, v[5:6]
	v_cmp_neq_f64_e64 s2, 0, v[7:8]
	s_wait_alu 0xfffe
	s_or_b32 s2, vcc_lo, s2
	s_wait_alu 0xfffe
	s_or_not1_b32 s2, s2, exec_lo
.LBB134_2:
	s_wait_alu 0xfffe
	s_or_b32 exec_lo, exec_lo, s3
	s_and_saveexec_b32 s3, s2
	s_cbranch_execz .LBB134_25
; %bb.3:
	s_load_b64 s[2:3], s[0:1], 0x0
	v_lshrrev_b32_e32 v9, 5, v0
	s_delay_alu instid0(VALU_DEP_1) | instskip(SKIP_1) | instid1(VALU_DEP_1)
	v_lshl_or_b32 v9, ttmp9, 2, v9
	s_wait_kmcnt 0x0
	v_cmp_gt_i32_e32 vcc_lo, s2, v9
	s_and_b32 exec_lo, exec_lo, vcc_lo
	s_cbranch_execz .LBB134_25
; %bb.4:
	s_load_b256 s[4:11], s[0:1], 0x18
	v_ashrrev_i32_e32 v10, 31, v9
	v_and_b32_e32 v0, 31, v0
	s_cmp_lg_u32 s3, 0
	s_delay_alu instid0(VALU_DEP_2) | instskip(SKIP_1) | instid1(VALU_DEP_1)
	v_lshlrev_b64_e32 v[10:11], 2, v[9:10]
	s_wait_kmcnt 0x0
	v_add_co_u32 v10, vcc_lo, s4, v10
	s_delay_alu instid0(VALU_DEP_1) | instskip(SKIP_4) | instid1(VALU_DEP_2)
	v_add_co_ci_u32_e64 v11, null, s5, v11, vcc_lo
	global_load_b64 v[10:11], v[10:11], off
	s_wait_loadcnt 0x0
	v_subrev_nc_u32_e32 v10, s12, v10
	v_subrev_nc_u32_e32 v33, s12, v11
	v_add_nc_u32_e32 v26, v10, v0
	s_delay_alu instid0(VALU_DEP_1)
	v_cmp_lt_i32_e64 s2, v26, v33
	s_cbranch_scc0 .LBB134_12
; %bb.5:
	v_mov_b32_e32 v10, 0
	v_mov_b32_e32 v12, 0
	;; [unrolled: 1-line block ×3, first 2 shown]
	v_dual_mov_b32 v22, 0 :: v_dual_mov_b32 v11, 0
	v_dual_mov_b32 v16, 0 :: v_dual_mov_b32 v13, 0
	;; [unrolled: 1-line block ×5, first 2 shown]
	v_mov_b32_e32 v15, 0
	v_mov_b32_e32 v21, 0
	;; [unrolled: 1-line block ×3, first 2 shown]
	s_and_saveexec_b32 s3, s2
	s_cbranch_execz .LBB134_11
; %bb.6:
	v_mul_lo_u32 v31, v26, 24
	v_mov_b32_e32 v10, 0
	v_mov_b32_e32 v16, 0
	;; [unrolled: 1-line block ×7, first 2 shown]
	v_dual_mov_b32 v24, 0 :: v_dual_mov_b32 v29, v26
	v_dual_mov_b32 v11, 0 :: v_dual_mov_b32 v28, 0
	v_mov_b32_e32 v17, 0
	v_mov_b32_e32 v13, 0
	;; [unrolled: 1-line block ×7, first 2 shown]
	s_mov_b32 s4, 0
.LBB134_7:                              ; =>This Loop Header: Depth=1
                                        ;     Child Loop BB134_8 Depth 2
	v_ashrrev_i32_e32 v30, 31, v29
	s_mov_b32 s5, 0
	s_delay_alu instid0(VALU_DEP_1) | instskip(NEXT) | instid1(VALU_DEP_1)
	v_lshlrev_b64_e32 v[34:35], 2, v[29:30]
	v_add_co_u32 v34, vcc_lo, s6, v34
	s_wait_alu 0xfffd
	s_delay_alu instid0(VALU_DEP_2) | instskip(SKIP_3) | instid1(VALU_DEP_1)
	v_add_co_ci_u32_e64 v35, null, s7, v35, vcc_lo
	global_load_b32 v27, v[34:35], off
	s_wait_loadcnt 0x0
	v_subrev_nc_u32_e32 v27, s12, v27
	v_mul_lo_u32 v30, v27, 6
	v_mov_b32_e32 v27, v31
.LBB134_8:                              ;   Parent Loop BB134_7 Depth=1
                                        ; =>  This Inner Loop Header: Depth=2
	s_wait_alu 0xfffe
	s_delay_alu instid0(VALU_DEP_2) | instskip(NEXT) | instid1(VALU_DEP_2)
	v_dual_mov_b32 v35, v28 :: v_dual_add_nc_u32 v34, s5, v30
	v_lshlrev_b64_e32 v[36:37], 4, v[27:28]
	v_dual_mov_b32 v59, v28 :: v_dual_add_nc_u32 v58, 4, v27
	v_add_nc_u32_e32 v27, 8, v27
	s_delay_alu instid0(VALU_DEP_4) | instskip(SKIP_1) | instid1(VALU_DEP_4)
	v_lshlrev_b64_e32 v[34:35], 4, v[34:35]
	s_add_co_i32 s5, s5, 2
	v_add_co_u32 v46, vcc_lo, s8, v36
	s_wait_alu 0xfffd
	v_add_co_ci_u32_e64 v47, null, s9, v37, vcc_lo
	s_delay_alu instid0(VALU_DEP_3)
	v_add_co_u32 v54, vcc_lo, s10, v34
	s_wait_alu 0xfffd
	v_add_co_ci_u32_e64 v55, null, s11, v35, vcc_lo
	s_clause 0x3
	global_load_b128 v[34:37], v[46:47], off offset:48
	global_load_b128 v[38:41], v[46:47], off offset:32
	;; [unrolled: 1-line block ×3, first 2 shown]
	global_load_b128 v[46:49], v[46:47], off
	s_clause 0x1
	global_load_b128 v[50:53], v[54:55], off
	global_load_b128 v[54:57], v[54:55], off offset:16
	v_lshlrev_b64_e32 v[58:59], 4, v[58:59]
	s_wait_alu 0xfffe
	s_cmp_eq_u32 s5, 6
	s_delay_alu instid0(VALU_DEP_1) | instskip(SKIP_1) | instid1(VALU_DEP_2)
	v_add_co_u32 v70, vcc_lo, s8, v58
	s_wait_alu 0xfffd
	v_add_co_ci_u32_e64 v71, null, s9, v59, vcc_lo
	s_clause 0x3
	global_load_b128 v[58:61], v[70:71], off
	global_load_b128 v[62:65], v[70:71], off offset:16
	global_load_b128 v[66:69], v[70:71], off offset:32
	;; [unrolled: 1-line block ×3, first 2 shown]
	s_wait_loadcnt 0x5
	v_fma_f64 v[16:17], v[46:47], v[50:51], v[16:17]
	v_fma_f64 v[10:11], v[48:49], v[50:51], v[10:11]
	;; [unrolled: 1-line block ×8, first 2 shown]
	v_fma_f64 v[16:17], -v[48:49], v[52:53], v[16:17]
	v_fma_f64 v[10:11], v[46:47], v[52:53], v[10:11]
	v_fma_f64 v[22:23], -v[44:45], v[52:53], v[22:23]
	v_fma_f64 v[24:25], v[42:43], v[52:53], v[24:25]
	;; [unrolled: 2-line block ×4, first 2 shown]
	s_wait_loadcnt 0x3
	v_fma_f64 v[16:17], v[58:59], v[54:55], v[16:17]
	v_fma_f64 v[10:11], v[60:61], v[54:55], v[10:11]
	s_wait_loadcnt 0x2
	v_fma_f64 v[22:23], v[62:63], v[54:55], v[22:23]
	v_fma_f64 v[24:25], v[64:65], v[54:55], v[24:25]
	;; [unrolled: 3-line block ×4, first 2 shown]
	v_fma_f64 v[16:17], -v[60:61], v[56:57], v[16:17]
	v_fma_f64 v[10:11], v[58:59], v[56:57], v[10:11]
	v_fma_f64 v[22:23], -v[64:65], v[56:57], v[22:23]
	v_fma_f64 v[24:25], v[62:63], v[56:57], v[24:25]
	v_fma_f64 v[18:19], -v[68:69], v[56:57], v[18:19]
	v_fma_f64 v[20:21], v[66:67], v[56:57], v[20:21]
	v_fma_f64 v[12:13], -v[72:73], v[56:57], v[12:13]
	v_fma_f64 v[14:15], v[70:71], v[56:57], v[14:15]
	s_cbranch_scc0 .LBB134_8
; %bb.9:                                ;   in Loop: Header=BB134_7 Depth=1
	v_add_nc_u32_e32 v29, 32, v29
	v_add_nc_u32_e32 v31, 0x300, v31
	s_delay_alu instid0(VALU_DEP_2)
	v_cmp_ge_i32_e32 vcc_lo, v29, v33
	s_or_b32 s4, vcc_lo, s4
	s_wait_alu 0xfffe
	s_and_not1_b32 exec_lo, exec_lo, s4
	s_cbranch_execnz .LBB134_7
; %bb.10:
	s_or_b32 exec_lo, exec_lo, s4
.LBB134_11:
	s_wait_alu 0xfffe
	s_or_b32 exec_lo, exec_lo, s3
	s_cbranch_execz .LBB134_13
	s_branch .LBB134_20
.LBB134_12:
                                        ; implicit-def: $vgpr10_vgpr11
                                        ; implicit-def: $vgpr16_vgpr17
                                        ; implicit-def: $vgpr12_vgpr13
                                        ; implicit-def: $vgpr14_vgpr15
                                        ; implicit-def: $vgpr18_vgpr19
                                        ; implicit-def: $vgpr20_vgpr21
                                        ; implicit-def: $vgpr22_vgpr23
                                        ; implicit-def: $vgpr24_vgpr25
.LBB134_13:
	v_mov_b32_e32 v10, 0
	v_mov_b32_e32 v12, 0
	;; [unrolled: 1-line block ×3, first 2 shown]
	v_dual_mov_b32 v22, 0 :: v_dual_mov_b32 v11, 0
	v_dual_mov_b32 v16, 0 :: v_dual_mov_b32 v13, 0
	;; [unrolled: 1-line block ×5, first 2 shown]
	v_mov_b32_e32 v15, 0
	v_mov_b32_e32 v21, 0
	;; [unrolled: 1-line block ×3, first 2 shown]
	s_and_saveexec_b32 s4, s2
	s_cbranch_execz .LBB134_19
; %bb.14:
	v_mul_lo_u32 v28, v26, 24
	v_mov_b32_e32 v10, 0
	v_mov_b32_e32 v12, 0
	;; [unrolled: 1-line block ×3, first 2 shown]
	v_dual_mov_b32 v22, 0 :: v_dual_mov_b32 v11, 0
	v_dual_mov_b32 v16, 0 :: v_dual_mov_b32 v13, 0
	;; [unrolled: 1-line block ×5, first 2 shown]
	v_mov_b32_e32 v15, 0
	v_mov_b32_e32 v21, 0
	v_dual_mov_b32 v25, 0 :: v_dual_mov_b32 v30, 0
	s_add_nc_u64 s[2:3], s[8:9], 16
	s_mov_b32 s5, 0
.LBB134_15:                             ; =>This Loop Header: Depth=1
                                        ;     Child Loop BB134_16 Depth 2
	v_ashrrev_i32_e32 v27, 31, v26
	s_delay_alu instid0(VALU_DEP_2) | instskip(SKIP_1) | instid1(VALU_DEP_2)
	v_mov_b32_e32 v29, v30
	s_mov_b32 s13, 0
	v_lshlrev_b64_e32 v[31:32], 2, v[26:27]
	s_delay_alu instid0(VALU_DEP_1) | instskip(SKIP_1) | instid1(VALU_DEP_2)
	v_add_co_u32 v31, vcc_lo, s6, v31
	s_wait_alu 0xfffd
	v_add_co_ci_u32_e64 v32, null, s7, v32, vcc_lo
	global_load_b32 v27, v[31:32], off
	v_lshlrev_b64_e32 v[31:32], 4, v[28:29]
	s_wait_alu 0xfffe
	s_delay_alu instid0(VALU_DEP_1) | instskip(SKIP_1) | instid1(VALU_DEP_2)
	v_add_co_u32 v31, vcc_lo, s2, v31
	s_wait_alu 0xfffd
	v_add_co_ci_u32_e64 v32, null, s3, v32, vcc_lo
	s_wait_loadcnt 0x0
	v_subrev_nc_u32_e32 v27, s12, v27
	s_delay_alu instid0(VALU_DEP_1)
	v_mul_lo_u32 v27, v27, 6
.LBB134_16:                             ;   Parent Loop BB134_15 Depth=1
                                        ; =>  This Inner Loop Header: Depth=2
	s_delay_alu instid0(VALU_DEP_1)
	v_add_nc_u32_e32 v29, s13, v27
	v_add_nc_u32_e32 v48, s13, v28
	s_clause 0x1
	global_load_b128 v[34:37], v[31:32], off
	global_load_b128 v[38:41], v[31:32], off offset:-16
	s_add_co_i32 s13, s13, 2
	s_wait_alu 0xfffe
	s_cmp_eq_u32 s13, 6
	v_lshlrev_b64_e32 v[42:43], 4, v[29:30]
	v_add_nc_u32_e32 v29, 6, v48
	s_delay_alu instid0(VALU_DEP_1) | instskip(SKIP_1) | instid1(VALU_DEP_4)
	v_lshlrev_b64_e32 v[44:45], 4, v[29:30]
	v_add_nc_u32_e32 v29, 12, v48
	v_add_co_u32 v46, vcc_lo, s10, v42
	s_wait_alu 0xfffd
	v_add_co_ci_u32_e64 v47, null, s11, v43, vcc_lo
	s_delay_alu instid0(VALU_DEP_3) | instskip(SKIP_4) | instid1(VALU_DEP_3)
	v_lshlrev_b64_e32 v[54:55], 4, v[29:30]
	v_add_nc_u32_e32 v29, 18, v48
	v_add_co_u32 v56, vcc_lo, s8, v44
	s_wait_alu 0xfffd
	v_add_co_ci_u32_e64 v57, null, s9, v45, vcc_lo
	v_lshlrev_b64_e32 v[58:59], 4, v[29:30]
	v_add_co_u32 v62, vcc_lo, s8, v54
	s_wait_alu 0xfffd
	v_add_co_ci_u32_e64 v63, null, s9, v55, vcc_lo
	s_clause 0x1
	global_load_b128 v[42:45], v[46:47], off offset:16
	global_load_b128 v[46:49], v[46:47], off
	v_add_co_u32 v70, vcc_lo, s8, v58
	s_wait_alu 0xfffd
	v_add_co_ci_u32_e64 v71, null, s9, v59, vcc_lo
	s_clause 0x5
	global_load_b128 v[50:53], v[56:57], off
	global_load_b128 v[54:57], v[56:57], off offset:16
	global_load_b128 v[58:61], v[62:63], off
	global_load_b128 v[62:65], v[62:63], off offset:16
	;; [unrolled: 2-line block ×3, first 2 shown]
	v_add_co_u32 v31, vcc_lo, v31, 32
	s_wait_alu 0xfffd
	v_add_co_ci_u32_e64 v32, null, 0, v32, vcc_lo
	s_wait_loadcnt 0x6
	v_fma_f64 v[16:17], v[38:39], v[46:47], v[16:17]
	v_fma_f64 v[10:11], v[40:41], v[46:47], v[10:11]
	s_wait_loadcnt 0x3
	v_fma_f64 v[18:19], v[58:59], v[46:47], v[18:19]
	v_fma_f64 v[20:21], v[60:61], v[46:47], v[20:21]
	;; [unrolled: 1-line block ×4, first 2 shown]
	s_wait_loadcnt 0x1
	v_fma_f64 v[12:13], v[66:67], v[46:47], v[12:13]
	v_fma_f64 v[14:15], v[68:69], v[46:47], v[14:15]
	v_fma_f64 v[16:17], -v[40:41], v[48:49], v[16:17]
	v_fma_f64 v[10:11], v[38:39], v[48:49], v[10:11]
	v_fma_f64 v[18:19], -v[60:61], v[48:49], v[18:19]
	;; [unrolled: 2-line block ×4, first 2 shown]
	v_fma_f64 v[14:15], v[66:67], v[48:49], v[14:15]
	v_fma_f64 v[16:17], v[34:35], v[42:43], v[16:17]
	;; [unrolled: 1-line block ×7, first 2 shown]
	s_wait_loadcnt 0x0
	v_fma_f64 v[12:13], v[70:71], v[42:43], v[12:13]
	v_fma_f64 v[14:15], v[72:73], v[42:43], v[14:15]
	v_fma_f64 v[16:17], -v[36:37], v[44:45], v[16:17]
	v_fma_f64 v[10:11], v[34:35], v[44:45], v[10:11]
	v_fma_f64 v[18:19], -v[64:65], v[44:45], v[18:19]
	;; [unrolled: 2-line block ×4, first 2 shown]
	v_fma_f64 v[14:15], v[70:71], v[44:45], v[14:15]
	s_cbranch_scc0 .LBB134_16
; %bb.17:                               ;   in Loop: Header=BB134_15 Depth=1
	v_add_nc_u32_e32 v26, 32, v26
	v_add_nc_u32_e32 v28, 0x300, v28
	s_delay_alu instid0(VALU_DEP_2)
	v_cmp_ge_i32_e32 vcc_lo, v26, v33
	s_or_b32 s5, vcc_lo, s5
	s_wait_alu 0xfffe
	s_and_not1_b32 exec_lo, exec_lo, s5
	s_cbranch_execnz .LBB134_15
; %bb.18:
	s_or_b32 exec_lo, exec_lo, s5
.LBB134_19:
	s_wait_alu 0xfffe
	s_or_b32 exec_lo, exec_lo, s4
.LBB134_20:
	v_mbcnt_lo_u32_b32 v44, -1, 0
	s_delay_alu instid0(VALU_DEP_1) | instskip(NEXT) | instid1(VALU_DEP_1)
	v_xor_b32_e32 v26, 16, v44
	v_cmp_gt_i32_e32 vcc_lo, 32, v26
	s_wait_alu 0xfffd
	v_cndmask_b32_e32 v26, v44, v26, vcc_lo
	s_delay_alu instid0(VALU_DEP_1)
	v_lshlrev_b32_e32 v41, 2, v26
	ds_bpermute_b32 v26, v41, v16
	ds_bpermute_b32 v27, v41, v17
	;; [unrolled: 1-line block ×16, first 2 shown]
	s_wait_dscnt 0xe
	v_add_f64_e32 v[16:17], v[16:17], v[26:27]
	v_xor_b32_e32 v26, 8, v44
	s_wait_dscnt 0xc
	v_add_f64_e32 v[10:11], v[10:11], v[28:29]
	s_wait_dscnt 0xa
	v_add_f64_e32 v[22:23], v[22:23], v[30:31]
	;; [unrolled: 2-line block ×3, first 2 shown]
	v_cmp_gt_i32_e32 vcc_lo, 32, v26
	s_wait_dscnt 0x6
	v_add_f64_e32 v[18:19], v[18:19], v[34:35]
	s_wait_dscnt 0x4
	v_add_f64_e32 v[20:21], v[20:21], v[36:37]
	;; [unrolled: 2-line block ×3, first 2 shown]
	s_wait_alu 0xfffd
	v_cndmask_b32_e32 v26, v44, v26, vcc_lo
	s_wait_dscnt 0x0
	v_add_f64_e32 v[14:15], v[14:15], v[40:41]
	s_delay_alu instid0(VALU_DEP_2)
	v_lshlrev_b32_e32 v41, 2, v26
	ds_bpermute_b32 v26, v41, v16
	ds_bpermute_b32 v27, v41, v17
	;; [unrolled: 1-line block ×16, first 2 shown]
	s_wait_dscnt 0xe
	v_add_f64_e32 v[16:17], v[16:17], v[26:27]
	v_xor_b32_e32 v26, 4, v44
	s_wait_dscnt 0xc
	v_add_f64_e32 v[10:11], v[10:11], v[28:29]
	s_wait_dscnt 0xa
	v_add_f64_e32 v[22:23], v[22:23], v[30:31]
	;; [unrolled: 2-line block ×3, first 2 shown]
	v_cmp_gt_i32_e32 vcc_lo, 32, v26
	s_wait_dscnt 0x6
	v_add_f64_e32 v[18:19], v[18:19], v[34:35]
	s_wait_dscnt 0x4
	v_add_f64_e32 v[20:21], v[20:21], v[36:37]
	;; [unrolled: 2-line block ×3, first 2 shown]
	s_wait_alu 0xfffd
	v_cndmask_b32_e32 v26, v44, v26, vcc_lo
	s_wait_dscnt 0x0
	v_add_f64_e32 v[14:15], v[14:15], v[40:41]
	s_delay_alu instid0(VALU_DEP_2)
	v_lshlrev_b32_e32 v41, 2, v26
	ds_bpermute_b32 v26, v41, v16
	ds_bpermute_b32 v27, v41, v17
	;; [unrolled: 1-line block ×16, first 2 shown]
	s_wait_dscnt 0xe
	v_add_f64_e32 v[16:17], v[16:17], v[26:27]
	s_wait_dscnt 0xc
	v_add_f64_e32 v[26:27], v[10:11], v[28:29]
	v_xor_b32_e32 v10, 2, v44
	s_wait_dscnt 0xa
	v_add_f64_e32 v[22:23], v[22:23], v[30:31]
	s_wait_dscnt 0x8
	v_add_f64_e32 v[28:29], v[24:25], v[32:33]
	;; [unrolled: 2-line block ×3, first 2 shown]
	v_cmp_gt_i32_e32 vcc_lo, 32, v10
	s_wait_dscnt 0x4
	v_add_f64_e32 v[20:21], v[20:21], v[36:37]
	s_wait_dscnt 0x2
	v_add_f64_e32 v[30:31], v[12:13], v[38:39]
	s_wait_dscnt 0x0
	v_add_f64_e32 v[32:33], v[14:15], v[40:41]
	s_wait_alu 0xfffd
	v_cndmask_b32_e32 v10, v44, v10, vcc_lo
	s_delay_alu instid0(VALU_DEP_1)
	v_lshlrev_b32_e32 v24, 2, v10
	ds_bpermute_b32 v10, v24, v16
	ds_bpermute_b32 v11, v24, v17
	ds_bpermute_b32 v12, v24, v26
	ds_bpermute_b32 v13, v24, v27
	ds_bpermute_b32 v14, v24, v22
	ds_bpermute_b32 v15, v24, v23
	ds_bpermute_b32 v34, v24, v28
	ds_bpermute_b32 v35, v24, v29
	ds_bpermute_b32 v36, v24, v18
	ds_bpermute_b32 v37, v24, v19
	ds_bpermute_b32 v38, v24, v20
	ds_bpermute_b32 v39, v24, v21
	ds_bpermute_b32 v40, v24, v30
	ds_bpermute_b32 v41, v24, v31
	ds_bpermute_b32 v42, v24, v32
	ds_bpermute_b32 v43, v24, v33
	s_wait_dscnt 0xe
	v_add_f64_e32 v[10:11], v[16:17], v[10:11]
	s_wait_dscnt 0xc
	v_add_f64_e32 v[24:25], v[26:27], v[12:13]
	v_xor_b32_e32 v26, 1, v44
	s_wait_dscnt 0xa
	v_add_f64_e32 v[12:13], v[22:23], v[14:15]
	s_wait_dscnt 0x8
	v_add_f64_e32 v[22:23], v[28:29], v[34:35]
	;; [unrolled: 2-line block ×3, first 2 shown]
	v_cmp_gt_i32_e32 vcc_lo, 32, v26
	s_wait_dscnt 0x4
	v_add_f64_e32 v[20:21], v[20:21], v[38:39]
	s_wait_dscnt 0x2
	v_add_f64_e32 v[16:17], v[30:31], v[40:41]
	;; [unrolled: 2-line block ×3, first 2 shown]
	s_wait_alu 0xfffd
	v_cndmask_b32_e32 v26, v44, v26, vcc_lo
	v_cmp_eq_u32_e32 vcc_lo, 31, v0
	s_delay_alu instid0(VALU_DEP_2)
	v_lshlrev_b32_e32 v29, 2, v26
	ds_bpermute_b32 v40, v29, v10
	ds_bpermute_b32 v41, v29, v11
	;; [unrolled: 1-line block ×16, first 2 shown]
	s_and_b32 exec_lo, exec_lo, vcc_lo
	s_cbranch_execz .LBB134_25
; %bb.21:
	v_cmp_eq_f64_e32 vcc_lo, 0, v[5:6]
	v_cmp_eq_f64_e64 s2, 0, v[7:8]
	s_wait_dscnt 0xe
	v_add_f64_e32 v[10:11], v[10:11], v[40:41]
	s_wait_dscnt 0xc
	v_add_f64_e32 v[24:25], v[24:25], v[38:39]
	;; [unrolled: 2-line block ×8, first 2 shown]
	s_load_b64 s[0:1], s[0:1], 0x48
	s_and_b32 s2, vcc_lo, s2
	s_wait_alu 0xfffe
	s_and_saveexec_b32 s3, s2
	s_wait_alu 0xfffe
	s_xor_b32 s2, exec_lo, s3
	s_cbranch_execz .LBB134_23
; %bb.22:
	v_mul_f64_e64 v[5:6], v[24:25], -v[3:4]
	v_mul_f64_e32 v[7:8], v[1:2], v[24:25]
	v_mul_f64_e64 v[24:25], v[22:23], -v[3:4]
	v_mul_f64_e32 v[22:23], v[1:2], v[22:23]
	;; [unrolled: 2-line block ×4, first 2 shown]
	v_fma_f64 v[5:6], v[1:2], v[10:11], v[5:6]
	v_fma_f64 v[7:8], v[3:4], v[10:11], v[7:8]
	v_fma_f64 v[10:11], v[1:2], v[12:13], v[24:25]
	v_fma_f64 v[12:13], v[3:4], v[12:13], v[22:23]
	v_fma_f64 v[18:19], v[1:2], v[14:15], v[26:27]
	v_fma_f64 v[20:21], v[3:4], v[14:15], v[20:21]
	v_fma_f64 v[0:1], v[1:2], v[16:17], v[28:29]
	v_fma_f64 v[2:3], v[3:4], v[16:17], v[30:31]
	v_lshlrev_b32_e32 v14, 2, v9
                                        ; implicit-def: $vgpr9
                                        ; implicit-def: $vgpr24_vgpr25
                                        ; implicit-def: $vgpr22_vgpr23
                                        ; implicit-def: $vgpr16_vgpr17
	s_delay_alu instid0(VALU_DEP_1) | instskip(NEXT) | instid1(VALU_DEP_1)
	v_ashrrev_i32_e32 v15, 31, v14
	v_lshlrev_b64_e32 v[14:15], 4, v[14:15]
	s_wait_kmcnt 0x0
	s_delay_alu instid0(VALU_DEP_1) | instskip(SKIP_1) | instid1(VALU_DEP_2)
	v_add_co_u32 v14, vcc_lo, s0, v14
	s_wait_alu 0xfffd
	v_add_co_ci_u32_e64 v15, null, s1, v15, vcc_lo
	s_clause 0x3
	global_store_b128 v[14:15], v[5:8], off
	global_store_b128 v[14:15], v[10:13], off offset:16
	global_store_b128 v[14:15], v[18:21], off offset:32
	;; [unrolled: 1-line block ×3, first 2 shown]
                                        ; implicit-def: $vgpr10_vgpr11
                                        ; implicit-def: $vgpr12_vgpr13
                                        ; implicit-def: $vgpr14_vgpr15
                                        ; implicit-def: $vgpr20_vgpr21
                                        ; implicit-def: $vgpr18_vgpr19
                                        ; implicit-def: $vgpr7_vgpr8
                                        ; implicit-def: $vgpr3_vgpr4
.LBB134_23:
	s_wait_alu 0xfffe
	s_and_not1_saveexec_b32 s2, s2
	s_cbranch_execz .LBB134_25
; %bb.24:
	v_lshlrev_b32_e32 v26, 2, v9
	v_mul_f64_e64 v[44:45], v[24:25], -v[3:4]
	v_mul_f64_e32 v[24:25], v[1:2], v[24:25]
	v_mul_f64_e64 v[46:47], v[22:23], -v[3:4]
	v_mul_f64_e32 v[22:23], v[1:2], v[22:23]
	v_ashrrev_i32_e32 v27, 31, v26
	v_mul_f64_e64 v[48:49], v[20:21], -v[3:4]
	v_mul_f64_e32 v[20:21], v[1:2], v[20:21]
	v_mul_f64_e64 v[50:51], v[18:19], -v[3:4]
	v_mul_f64_e32 v[18:19], v[1:2], v[18:19]
	v_lshlrev_b64_e32 v[26:27], 4, v[26:27]
	s_wait_kmcnt 0x0
	s_delay_alu instid0(VALU_DEP_1) | instskip(SKIP_1) | instid1(VALU_DEP_2)
	v_add_co_u32 v42, vcc_lo, s0, v26
	s_wait_alu 0xfffd
	v_add_co_ci_u32_e64 v43, null, s1, v27, vcc_lo
	s_clause 0x3
	global_load_b128 v[26:29], v[42:43], off
	global_load_b128 v[30:33], v[42:43], off offset:16
	global_load_b128 v[34:37], v[42:43], off offset:32
	;; [unrolled: 1-line block ×3, first 2 shown]
	v_fma_f64 v[44:45], v[1:2], v[10:11], v[44:45]
	v_fma_f64 v[9:10], v[3:4], v[10:11], v[24:25]
	;; [unrolled: 1-line block ×8, first 2 shown]
	s_wait_loadcnt 0x3
	v_fma_f64 v[15:16], v[5:6], v[26:27], v[44:45]
	v_fma_f64 v[9:10], v[7:8], v[26:27], v[9:10]
	s_wait_loadcnt 0x2
	v_fma_f64 v[17:18], v[5:6], v[30:31], v[24:25]
	v_fma_f64 v[11:12], v[7:8], v[30:31], v[11:12]
	;; [unrolled: 3-line block ×4, first 2 shown]
	v_fma_f64 v[0:1], -v[7:8], v[28:29], v[15:16]
	v_fma_f64 v[2:3], v[5:6], v[28:29], v[9:10]
	v_fma_f64 v[9:10], -v[7:8], v[32:33], v[17:18]
	v_fma_f64 v[11:12], v[5:6], v[32:33], v[11:12]
	;; [unrolled: 2-line block ×4, first 2 shown]
	s_clause 0x3
	global_store_b128 v[42:43], v[0:3], off
	global_store_b128 v[42:43], v[9:12], off offset:16
	global_store_b128 v[42:43], v[13:16], off offset:32
	;; [unrolled: 1-line block ×3, first 2 shown]
.LBB134_25:
	s_endpgm
	.section	.rodata,"a",@progbits
	.p2align	6, 0x0
	.amdhsa_kernel _ZN9rocsparseL19gebsrmvn_4xn_kernelILj128ELj6ELj32E21rocsparse_complex_numIdEEEvi20rocsparse_direction_NS_24const_host_device_scalarIT2_EEPKiS8_PKS5_SA_S6_PS5_21rocsparse_index_base_b
		.amdhsa_group_segment_fixed_size 0
		.amdhsa_private_segment_fixed_size 0
		.amdhsa_kernarg_size 88
		.amdhsa_user_sgpr_count 2
		.amdhsa_user_sgpr_dispatch_ptr 0
		.amdhsa_user_sgpr_queue_ptr 0
		.amdhsa_user_sgpr_kernarg_segment_ptr 1
		.amdhsa_user_sgpr_dispatch_id 0
		.amdhsa_user_sgpr_private_segment_size 0
		.amdhsa_wavefront_size32 1
		.amdhsa_uses_dynamic_stack 0
		.amdhsa_enable_private_segment 0
		.amdhsa_system_sgpr_workgroup_id_x 1
		.amdhsa_system_sgpr_workgroup_id_y 0
		.amdhsa_system_sgpr_workgroup_id_z 0
		.amdhsa_system_sgpr_workgroup_info 0
		.amdhsa_system_vgpr_workitem_id 0
		.amdhsa_next_free_vgpr 74
		.amdhsa_next_free_sgpr 14
		.amdhsa_reserve_vcc 1
		.amdhsa_float_round_mode_32 0
		.amdhsa_float_round_mode_16_64 0
		.amdhsa_float_denorm_mode_32 3
		.amdhsa_float_denorm_mode_16_64 3
		.amdhsa_fp16_overflow 0
		.amdhsa_workgroup_processor_mode 1
		.amdhsa_memory_ordered 1
		.amdhsa_forward_progress 1
		.amdhsa_inst_pref_size 30
		.amdhsa_round_robin_scheduling 0
		.amdhsa_exception_fp_ieee_invalid_op 0
		.amdhsa_exception_fp_denorm_src 0
		.amdhsa_exception_fp_ieee_div_zero 0
		.amdhsa_exception_fp_ieee_overflow 0
		.amdhsa_exception_fp_ieee_underflow 0
		.amdhsa_exception_fp_ieee_inexact 0
		.amdhsa_exception_int_div_zero 0
	.end_amdhsa_kernel
	.section	.text._ZN9rocsparseL19gebsrmvn_4xn_kernelILj128ELj6ELj32E21rocsparse_complex_numIdEEEvi20rocsparse_direction_NS_24const_host_device_scalarIT2_EEPKiS8_PKS5_SA_S6_PS5_21rocsparse_index_base_b,"axG",@progbits,_ZN9rocsparseL19gebsrmvn_4xn_kernelILj128ELj6ELj32E21rocsparse_complex_numIdEEEvi20rocsparse_direction_NS_24const_host_device_scalarIT2_EEPKiS8_PKS5_SA_S6_PS5_21rocsparse_index_base_b,comdat
.Lfunc_end134:
	.size	_ZN9rocsparseL19gebsrmvn_4xn_kernelILj128ELj6ELj32E21rocsparse_complex_numIdEEEvi20rocsparse_direction_NS_24const_host_device_scalarIT2_EEPKiS8_PKS5_SA_S6_PS5_21rocsparse_index_base_b, .Lfunc_end134-_ZN9rocsparseL19gebsrmvn_4xn_kernelILj128ELj6ELj32E21rocsparse_complex_numIdEEEvi20rocsparse_direction_NS_24const_host_device_scalarIT2_EEPKiS8_PKS5_SA_S6_PS5_21rocsparse_index_base_b
                                        ; -- End function
	.set _ZN9rocsparseL19gebsrmvn_4xn_kernelILj128ELj6ELj32E21rocsparse_complex_numIdEEEvi20rocsparse_direction_NS_24const_host_device_scalarIT2_EEPKiS8_PKS5_SA_S6_PS5_21rocsparse_index_base_b.num_vgpr, 74
	.set _ZN9rocsparseL19gebsrmvn_4xn_kernelILj128ELj6ELj32E21rocsparse_complex_numIdEEEvi20rocsparse_direction_NS_24const_host_device_scalarIT2_EEPKiS8_PKS5_SA_S6_PS5_21rocsparse_index_base_b.num_agpr, 0
	.set _ZN9rocsparseL19gebsrmvn_4xn_kernelILj128ELj6ELj32E21rocsparse_complex_numIdEEEvi20rocsparse_direction_NS_24const_host_device_scalarIT2_EEPKiS8_PKS5_SA_S6_PS5_21rocsparse_index_base_b.numbered_sgpr, 14
	.set _ZN9rocsparseL19gebsrmvn_4xn_kernelILj128ELj6ELj32E21rocsparse_complex_numIdEEEvi20rocsparse_direction_NS_24const_host_device_scalarIT2_EEPKiS8_PKS5_SA_S6_PS5_21rocsparse_index_base_b.num_named_barrier, 0
	.set _ZN9rocsparseL19gebsrmvn_4xn_kernelILj128ELj6ELj32E21rocsparse_complex_numIdEEEvi20rocsparse_direction_NS_24const_host_device_scalarIT2_EEPKiS8_PKS5_SA_S6_PS5_21rocsparse_index_base_b.private_seg_size, 0
	.set _ZN9rocsparseL19gebsrmvn_4xn_kernelILj128ELj6ELj32E21rocsparse_complex_numIdEEEvi20rocsparse_direction_NS_24const_host_device_scalarIT2_EEPKiS8_PKS5_SA_S6_PS5_21rocsparse_index_base_b.uses_vcc, 1
	.set _ZN9rocsparseL19gebsrmvn_4xn_kernelILj128ELj6ELj32E21rocsparse_complex_numIdEEEvi20rocsparse_direction_NS_24const_host_device_scalarIT2_EEPKiS8_PKS5_SA_S6_PS5_21rocsparse_index_base_b.uses_flat_scratch, 0
	.set _ZN9rocsparseL19gebsrmvn_4xn_kernelILj128ELj6ELj32E21rocsparse_complex_numIdEEEvi20rocsparse_direction_NS_24const_host_device_scalarIT2_EEPKiS8_PKS5_SA_S6_PS5_21rocsparse_index_base_b.has_dyn_sized_stack, 0
	.set _ZN9rocsparseL19gebsrmvn_4xn_kernelILj128ELj6ELj32E21rocsparse_complex_numIdEEEvi20rocsparse_direction_NS_24const_host_device_scalarIT2_EEPKiS8_PKS5_SA_S6_PS5_21rocsparse_index_base_b.has_recursion, 0
	.set _ZN9rocsparseL19gebsrmvn_4xn_kernelILj128ELj6ELj32E21rocsparse_complex_numIdEEEvi20rocsparse_direction_NS_24const_host_device_scalarIT2_EEPKiS8_PKS5_SA_S6_PS5_21rocsparse_index_base_b.has_indirect_call, 0
	.section	.AMDGPU.csdata,"",@progbits
; Kernel info:
; codeLenInByte = 3800
; TotalNumSgprs: 16
; NumVgprs: 74
; ScratchSize: 0
; MemoryBound: 0
; FloatMode: 240
; IeeeMode: 1
; LDSByteSize: 0 bytes/workgroup (compile time only)
; SGPRBlocks: 0
; VGPRBlocks: 9
; NumSGPRsForWavesPerEU: 16
; NumVGPRsForWavesPerEU: 74
; Occupancy: 16
; WaveLimiterHint : 1
; COMPUTE_PGM_RSRC2:SCRATCH_EN: 0
; COMPUTE_PGM_RSRC2:USER_SGPR: 2
; COMPUTE_PGM_RSRC2:TRAP_HANDLER: 0
; COMPUTE_PGM_RSRC2:TGID_X_EN: 1
; COMPUTE_PGM_RSRC2:TGID_Y_EN: 0
; COMPUTE_PGM_RSRC2:TGID_Z_EN: 0
; COMPUTE_PGM_RSRC2:TIDIG_COMP_CNT: 0
	.section	.text._ZN9rocsparseL19gebsrmvn_4xn_kernelILj128ELj6ELj64E21rocsparse_complex_numIdEEEvi20rocsparse_direction_NS_24const_host_device_scalarIT2_EEPKiS8_PKS5_SA_S6_PS5_21rocsparse_index_base_b,"axG",@progbits,_ZN9rocsparseL19gebsrmvn_4xn_kernelILj128ELj6ELj64E21rocsparse_complex_numIdEEEvi20rocsparse_direction_NS_24const_host_device_scalarIT2_EEPKiS8_PKS5_SA_S6_PS5_21rocsparse_index_base_b,comdat
	.globl	_ZN9rocsparseL19gebsrmvn_4xn_kernelILj128ELj6ELj64E21rocsparse_complex_numIdEEEvi20rocsparse_direction_NS_24const_host_device_scalarIT2_EEPKiS8_PKS5_SA_S6_PS5_21rocsparse_index_base_b ; -- Begin function _ZN9rocsparseL19gebsrmvn_4xn_kernelILj128ELj6ELj64E21rocsparse_complex_numIdEEEvi20rocsparse_direction_NS_24const_host_device_scalarIT2_EEPKiS8_PKS5_SA_S6_PS5_21rocsparse_index_base_b
	.p2align	8
	.type	_ZN9rocsparseL19gebsrmvn_4xn_kernelILj128ELj6ELj64E21rocsparse_complex_numIdEEEvi20rocsparse_direction_NS_24const_host_device_scalarIT2_EEPKiS8_PKS5_SA_S6_PS5_21rocsparse_index_base_b,@function
_ZN9rocsparseL19gebsrmvn_4xn_kernelILj128ELj6ELj64E21rocsparse_complex_numIdEEEvi20rocsparse_direction_NS_24const_host_device_scalarIT2_EEPKiS8_PKS5_SA_S6_PS5_21rocsparse_index_base_b: ; @_ZN9rocsparseL19gebsrmvn_4xn_kernelILj128ELj6ELj64E21rocsparse_complex_numIdEEEvi20rocsparse_direction_NS_24const_host_device_scalarIT2_EEPKiS8_PKS5_SA_S6_PS5_21rocsparse_index_base_b
; %bb.0:
	s_clause 0x1
	s_load_b64 s[12:13], s[0:1], 0x50
	s_load_b64 s[2:3], s[0:1], 0x8
	s_add_nc_u64 s[4:5], s[0:1], 8
	s_load_b64 s[6:7], s[0:1], 0x38
	s_wait_kmcnt 0x0
	s_bitcmp1_b32 s13, 0
	s_cselect_b32 s2, s4, s2
	s_cselect_b32 s3, s5, s3
	s_delay_alu instid0(SALU_CYCLE_1)
	v_dual_mov_b32 v1, s2 :: v_dual_mov_b32 v2, s3
	s_add_nc_u64 s[2:3], s[0:1], 56
	s_wait_alu 0xfffe
	s_cselect_b32 s2, s2, s6
	s_cselect_b32 s3, s3, s7
	flat_load_b128 v[1:4], v[1:2]
	s_wait_alu 0xfffe
	v_dual_mov_b32 v5, s2 :: v_dual_mov_b32 v6, s3
	flat_load_b128 v[5:8], v[5:6]
	s_wait_loadcnt_dscnt 0x101
	v_cmp_eq_f64_e32 vcc_lo, 0, v[1:2]
	v_cmp_eq_f64_e64 s2, 0, v[3:4]
	s_and_b32 s4, vcc_lo, s2
	s_mov_b32 s2, -1
	s_and_saveexec_b32 s3, s4
	s_cbranch_execz .LBB135_2
; %bb.1:
	s_wait_loadcnt_dscnt 0x0
	v_cmp_neq_f64_e32 vcc_lo, 1.0, v[5:6]
	v_cmp_neq_f64_e64 s2, 0, v[7:8]
	s_wait_alu 0xfffe
	s_or_b32 s2, vcc_lo, s2
	s_wait_alu 0xfffe
	s_or_not1_b32 s2, s2, exec_lo
.LBB135_2:
	s_wait_alu 0xfffe
	s_or_b32 exec_lo, exec_lo, s3
	s_and_saveexec_b32 s3, s2
	s_cbranch_execz .LBB135_25
; %bb.3:
	s_load_b64 s[2:3], s[0:1], 0x0
	v_lshrrev_b32_e32 v9, 6, v0
	s_delay_alu instid0(VALU_DEP_1) | instskip(SKIP_1) | instid1(VALU_DEP_1)
	v_lshl_or_b32 v9, ttmp9, 1, v9
	s_wait_kmcnt 0x0
	v_cmp_gt_i32_e32 vcc_lo, s2, v9
	s_and_b32 exec_lo, exec_lo, vcc_lo
	s_cbranch_execz .LBB135_25
; %bb.4:
	s_load_b256 s[4:11], s[0:1], 0x18
	v_ashrrev_i32_e32 v10, 31, v9
	v_and_b32_e32 v0, 63, v0
	s_cmp_lg_u32 s3, 0
	s_delay_alu instid0(VALU_DEP_2) | instskip(SKIP_1) | instid1(VALU_DEP_1)
	v_lshlrev_b64_e32 v[10:11], 2, v[9:10]
	s_wait_kmcnt 0x0
	v_add_co_u32 v10, vcc_lo, s4, v10
	s_delay_alu instid0(VALU_DEP_1) | instskip(SKIP_4) | instid1(VALU_DEP_2)
	v_add_co_ci_u32_e64 v11, null, s5, v11, vcc_lo
	global_load_b64 v[10:11], v[10:11], off
	s_wait_loadcnt 0x0
	v_subrev_nc_u32_e32 v10, s12, v10
	v_subrev_nc_u32_e32 v33, s12, v11
	v_add_nc_u32_e32 v26, v10, v0
	s_delay_alu instid0(VALU_DEP_1)
	v_cmp_lt_i32_e64 s2, v26, v33
	s_cbranch_scc0 .LBB135_12
; %bb.5:
	v_mov_b32_e32 v10, 0
	v_mov_b32_e32 v12, 0
	;; [unrolled: 1-line block ×3, first 2 shown]
	v_dual_mov_b32 v22, 0 :: v_dual_mov_b32 v11, 0
	v_dual_mov_b32 v16, 0 :: v_dual_mov_b32 v13, 0
	;; [unrolled: 1-line block ×5, first 2 shown]
	v_mov_b32_e32 v15, 0
	v_mov_b32_e32 v21, 0
	;; [unrolled: 1-line block ×3, first 2 shown]
	s_and_saveexec_b32 s3, s2
	s_cbranch_execz .LBB135_11
; %bb.6:
	v_mul_lo_u32 v31, v26, 24
	v_mov_b32_e32 v10, 0
	v_mov_b32_e32 v16, 0
	;; [unrolled: 1-line block ×7, first 2 shown]
	v_dual_mov_b32 v24, 0 :: v_dual_mov_b32 v29, v26
	v_dual_mov_b32 v11, 0 :: v_dual_mov_b32 v28, 0
	v_mov_b32_e32 v17, 0
	v_mov_b32_e32 v13, 0
	;; [unrolled: 1-line block ×7, first 2 shown]
	s_mov_b32 s4, 0
.LBB135_7:                              ; =>This Loop Header: Depth=1
                                        ;     Child Loop BB135_8 Depth 2
	v_ashrrev_i32_e32 v30, 31, v29
	s_mov_b32 s5, 0
	s_delay_alu instid0(VALU_DEP_1) | instskip(NEXT) | instid1(VALU_DEP_1)
	v_lshlrev_b64_e32 v[34:35], 2, v[29:30]
	v_add_co_u32 v34, vcc_lo, s6, v34
	s_wait_alu 0xfffd
	s_delay_alu instid0(VALU_DEP_2) | instskip(SKIP_3) | instid1(VALU_DEP_1)
	v_add_co_ci_u32_e64 v35, null, s7, v35, vcc_lo
	global_load_b32 v27, v[34:35], off
	s_wait_loadcnt 0x0
	v_subrev_nc_u32_e32 v27, s12, v27
	v_mul_lo_u32 v30, v27, 6
	v_mov_b32_e32 v27, v31
.LBB135_8:                              ;   Parent Loop BB135_7 Depth=1
                                        ; =>  This Inner Loop Header: Depth=2
	s_wait_alu 0xfffe
	s_delay_alu instid0(VALU_DEP_2) | instskip(NEXT) | instid1(VALU_DEP_2)
	v_dual_mov_b32 v35, v28 :: v_dual_add_nc_u32 v34, s5, v30
	v_lshlrev_b64_e32 v[36:37], 4, v[27:28]
	v_dual_mov_b32 v59, v28 :: v_dual_add_nc_u32 v58, 4, v27
	v_add_nc_u32_e32 v27, 8, v27
	s_delay_alu instid0(VALU_DEP_4) | instskip(SKIP_1) | instid1(VALU_DEP_4)
	v_lshlrev_b64_e32 v[34:35], 4, v[34:35]
	s_add_co_i32 s5, s5, 2
	v_add_co_u32 v46, vcc_lo, s8, v36
	s_wait_alu 0xfffd
	v_add_co_ci_u32_e64 v47, null, s9, v37, vcc_lo
	s_delay_alu instid0(VALU_DEP_3)
	v_add_co_u32 v54, vcc_lo, s10, v34
	s_wait_alu 0xfffd
	v_add_co_ci_u32_e64 v55, null, s11, v35, vcc_lo
	s_clause 0x3
	global_load_b128 v[34:37], v[46:47], off offset:48
	global_load_b128 v[38:41], v[46:47], off offset:32
	;; [unrolled: 1-line block ×3, first 2 shown]
	global_load_b128 v[46:49], v[46:47], off
	s_clause 0x1
	global_load_b128 v[50:53], v[54:55], off
	global_load_b128 v[54:57], v[54:55], off offset:16
	v_lshlrev_b64_e32 v[58:59], 4, v[58:59]
	s_wait_alu 0xfffe
	s_cmp_eq_u32 s5, 6
	s_delay_alu instid0(VALU_DEP_1) | instskip(SKIP_1) | instid1(VALU_DEP_2)
	v_add_co_u32 v70, vcc_lo, s8, v58
	s_wait_alu 0xfffd
	v_add_co_ci_u32_e64 v71, null, s9, v59, vcc_lo
	s_clause 0x3
	global_load_b128 v[58:61], v[70:71], off
	global_load_b128 v[62:65], v[70:71], off offset:16
	global_load_b128 v[66:69], v[70:71], off offset:32
	;; [unrolled: 1-line block ×3, first 2 shown]
	s_wait_loadcnt 0x5
	v_fma_f64 v[16:17], v[46:47], v[50:51], v[16:17]
	v_fma_f64 v[10:11], v[48:49], v[50:51], v[10:11]
	;; [unrolled: 1-line block ×8, first 2 shown]
	v_fma_f64 v[16:17], -v[48:49], v[52:53], v[16:17]
	v_fma_f64 v[10:11], v[46:47], v[52:53], v[10:11]
	v_fma_f64 v[22:23], -v[44:45], v[52:53], v[22:23]
	v_fma_f64 v[24:25], v[42:43], v[52:53], v[24:25]
	v_fma_f64 v[18:19], -v[40:41], v[52:53], v[18:19]
	v_fma_f64 v[20:21], v[38:39], v[52:53], v[20:21]
	v_fma_f64 v[12:13], -v[36:37], v[52:53], v[12:13]
	v_fma_f64 v[14:15], v[34:35], v[52:53], v[14:15]
	s_wait_loadcnt 0x3
	v_fma_f64 v[16:17], v[58:59], v[54:55], v[16:17]
	v_fma_f64 v[10:11], v[60:61], v[54:55], v[10:11]
	s_wait_loadcnt 0x2
	v_fma_f64 v[22:23], v[62:63], v[54:55], v[22:23]
	v_fma_f64 v[24:25], v[64:65], v[54:55], v[24:25]
	;; [unrolled: 3-line block ×4, first 2 shown]
	v_fma_f64 v[16:17], -v[60:61], v[56:57], v[16:17]
	v_fma_f64 v[10:11], v[58:59], v[56:57], v[10:11]
	v_fma_f64 v[22:23], -v[64:65], v[56:57], v[22:23]
	v_fma_f64 v[24:25], v[62:63], v[56:57], v[24:25]
	;; [unrolled: 2-line block ×4, first 2 shown]
	s_cbranch_scc0 .LBB135_8
; %bb.9:                                ;   in Loop: Header=BB135_7 Depth=1
	v_add_nc_u32_e32 v29, 64, v29
	v_add_nc_u32_e32 v31, 0x600, v31
	s_delay_alu instid0(VALU_DEP_2)
	v_cmp_ge_i32_e32 vcc_lo, v29, v33
	s_or_b32 s4, vcc_lo, s4
	s_wait_alu 0xfffe
	s_and_not1_b32 exec_lo, exec_lo, s4
	s_cbranch_execnz .LBB135_7
; %bb.10:
	s_or_b32 exec_lo, exec_lo, s4
.LBB135_11:
	s_wait_alu 0xfffe
	s_or_b32 exec_lo, exec_lo, s3
	s_cbranch_execz .LBB135_13
	s_branch .LBB135_20
.LBB135_12:
                                        ; implicit-def: $vgpr10_vgpr11
                                        ; implicit-def: $vgpr16_vgpr17
                                        ; implicit-def: $vgpr12_vgpr13
                                        ; implicit-def: $vgpr14_vgpr15
                                        ; implicit-def: $vgpr18_vgpr19
                                        ; implicit-def: $vgpr20_vgpr21
                                        ; implicit-def: $vgpr22_vgpr23
                                        ; implicit-def: $vgpr24_vgpr25
.LBB135_13:
	v_mov_b32_e32 v10, 0
	v_mov_b32_e32 v12, 0
	;; [unrolled: 1-line block ×3, first 2 shown]
	v_dual_mov_b32 v22, 0 :: v_dual_mov_b32 v11, 0
	v_dual_mov_b32 v16, 0 :: v_dual_mov_b32 v13, 0
	;; [unrolled: 1-line block ×5, first 2 shown]
	v_mov_b32_e32 v15, 0
	v_mov_b32_e32 v21, 0
	;; [unrolled: 1-line block ×3, first 2 shown]
	s_and_saveexec_b32 s4, s2
	s_cbranch_execz .LBB135_19
; %bb.14:
	v_mul_lo_u32 v28, v26, 24
	v_mov_b32_e32 v10, 0
	v_mov_b32_e32 v12, 0
	;; [unrolled: 1-line block ×3, first 2 shown]
	v_dual_mov_b32 v22, 0 :: v_dual_mov_b32 v11, 0
	v_dual_mov_b32 v16, 0 :: v_dual_mov_b32 v13, 0
	;; [unrolled: 1-line block ×5, first 2 shown]
	v_mov_b32_e32 v15, 0
	v_mov_b32_e32 v21, 0
	v_dual_mov_b32 v25, 0 :: v_dual_mov_b32 v30, 0
	s_add_nc_u64 s[2:3], s[8:9], 16
	s_mov_b32 s5, 0
.LBB135_15:                             ; =>This Loop Header: Depth=1
                                        ;     Child Loop BB135_16 Depth 2
	v_ashrrev_i32_e32 v27, 31, v26
	s_delay_alu instid0(VALU_DEP_2) | instskip(SKIP_1) | instid1(VALU_DEP_2)
	v_mov_b32_e32 v29, v30
	s_mov_b32 s13, 0
	v_lshlrev_b64_e32 v[31:32], 2, v[26:27]
	s_delay_alu instid0(VALU_DEP_1) | instskip(SKIP_1) | instid1(VALU_DEP_2)
	v_add_co_u32 v31, vcc_lo, s6, v31
	s_wait_alu 0xfffd
	v_add_co_ci_u32_e64 v32, null, s7, v32, vcc_lo
	global_load_b32 v27, v[31:32], off
	v_lshlrev_b64_e32 v[31:32], 4, v[28:29]
	s_wait_alu 0xfffe
	s_delay_alu instid0(VALU_DEP_1) | instskip(SKIP_1) | instid1(VALU_DEP_2)
	v_add_co_u32 v31, vcc_lo, s2, v31
	s_wait_alu 0xfffd
	v_add_co_ci_u32_e64 v32, null, s3, v32, vcc_lo
	s_wait_loadcnt 0x0
	v_subrev_nc_u32_e32 v27, s12, v27
	s_delay_alu instid0(VALU_DEP_1)
	v_mul_lo_u32 v27, v27, 6
.LBB135_16:                             ;   Parent Loop BB135_15 Depth=1
                                        ; =>  This Inner Loop Header: Depth=2
	s_delay_alu instid0(VALU_DEP_1)
	v_add_nc_u32_e32 v29, s13, v27
	v_add_nc_u32_e32 v48, s13, v28
	s_clause 0x1
	global_load_b128 v[34:37], v[31:32], off
	global_load_b128 v[38:41], v[31:32], off offset:-16
	s_add_co_i32 s13, s13, 2
	s_wait_alu 0xfffe
	s_cmp_eq_u32 s13, 6
	v_lshlrev_b64_e32 v[42:43], 4, v[29:30]
	v_add_nc_u32_e32 v29, 6, v48
	s_delay_alu instid0(VALU_DEP_1) | instskip(SKIP_1) | instid1(VALU_DEP_4)
	v_lshlrev_b64_e32 v[44:45], 4, v[29:30]
	v_add_nc_u32_e32 v29, 12, v48
	v_add_co_u32 v46, vcc_lo, s10, v42
	s_wait_alu 0xfffd
	v_add_co_ci_u32_e64 v47, null, s11, v43, vcc_lo
	s_delay_alu instid0(VALU_DEP_3) | instskip(SKIP_4) | instid1(VALU_DEP_3)
	v_lshlrev_b64_e32 v[54:55], 4, v[29:30]
	v_add_nc_u32_e32 v29, 18, v48
	v_add_co_u32 v56, vcc_lo, s8, v44
	s_wait_alu 0xfffd
	v_add_co_ci_u32_e64 v57, null, s9, v45, vcc_lo
	v_lshlrev_b64_e32 v[58:59], 4, v[29:30]
	v_add_co_u32 v62, vcc_lo, s8, v54
	s_wait_alu 0xfffd
	v_add_co_ci_u32_e64 v63, null, s9, v55, vcc_lo
	s_clause 0x1
	global_load_b128 v[42:45], v[46:47], off offset:16
	global_load_b128 v[46:49], v[46:47], off
	v_add_co_u32 v70, vcc_lo, s8, v58
	s_wait_alu 0xfffd
	v_add_co_ci_u32_e64 v71, null, s9, v59, vcc_lo
	s_clause 0x5
	global_load_b128 v[50:53], v[56:57], off
	global_load_b128 v[54:57], v[56:57], off offset:16
	global_load_b128 v[58:61], v[62:63], off
	global_load_b128 v[62:65], v[62:63], off offset:16
	;; [unrolled: 2-line block ×3, first 2 shown]
	v_add_co_u32 v31, vcc_lo, v31, 32
	s_wait_alu 0xfffd
	v_add_co_ci_u32_e64 v32, null, 0, v32, vcc_lo
	s_wait_loadcnt 0x6
	v_fma_f64 v[16:17], v[38:39], v[46:47], v[16:17]
	v_fma_f64 v[10:11], v[40:41], v[46:47], v[10:11]
	s_wait_loadcnt 0x3
	v_fma_f64 v[18:19], v[58:59], v[46:47], v[18:19]
	v_fma_f64 v[20:21], v[60:61], v[46:47], v[20:21]
	;; [unrolled: 1-line block ×4, first 2 shown]
	s_wait_loadcnt 0x1
	v_fma_f64 v[12:13], v[66:67], v[46:47], v[12:13]
	v_fma_f64 v[14:15], v[68:69], v[46:47], v[14:15]
	v_fma_f64 v[16:17], -v[40:41], v[48:49], v[16:17]
	v_fma_f64 v[10:11], v[38:39], v[48:49], v[10:11]
	v_fma_f64 v[18:19], -v[60:61], v[48:49], v[18:19]
	;; [unrolled: 2-line block ×4, first 2 shown]
	v_fma_f64 v[14:15], v[66:67], v[48:49], v[14:15]
	v_fma_f64 v[16:17], v[34:35], v[42:43], v[16:17]
	;; [unrolled: 1-line block ×7, first 2 shown]
	s_wait_loadcnt 0x0
	v_fma_f64 v[12:13], v[70:71], v[42:43], v[12:13]
	v_fma_f64 v[14:15], v[72:73], v[42:43], v[14:15]
	v_fma_f64 v[16:17], -v[36:37], v[44:45], v[16:17]
	v_fma_f64 v[10:11], v[34:35], v[44:45], v[10:11]
	v_fma_f64 v[18:19], -v[64:65], v[44:45], v[18:19]
	;; [unrolled: 2-line block ×4, first 2 shown]
	v_fma_f64 v[14:15], v[70:71], v[44:45], v[14:15]
	s_cbranch_scc0 .LBB135_16
; %bb.17:                               ;   in Loop: Header=BB135_15 Depth=1
	v_add_nc_u32_e32 v26, 64, v26
	v_add_nc_u32_e32 v28, 0x600, v28
	s_delay_alu instid0(VALU_DEP_2)
	v_cmp_ge_i32_e32 vcc_lo, v26, v33
	s_or_b32 s5, vcc_lo, s5
	s_wait_alu 0xfffe
	s_and_not1_b32 exec_lo, exec_lo, s5
	s_cbranch_execnz .LBB135_15
; %bb.18:
	s_or_b32 exec_lo, exec_lo, s5
.LBB135_19:
	s_wait_alu 0xfffe
	s_or_b32 exec_lo, exec_lo, s4
.LBB135_20:
	v_mbcnt_lo_u32_b32 v44, -1, 0
	s_delay_alu instid0(VALU_DEP_1) | instskip(NEXT) | instid1(VALU_DEP_1)
	v_or_b32_e32 v26, 32, v44
	v_cmp_gt_i32_e32 vcc_lo, 32, v26
	s_wait_alu 0xfffd
	v_cndmask_b32_e32 v26, v44, v26, vcc_lo
	s_delay_alu instid0(VALU_DEP_1)
	v_lshlrev_b32_e32 v41, 2, v26
	ds_bpermute_b32 v26, v41, v16
	ds_bpermute_b32 v27, v41, v17
	ds_bpermute_b32 v28, v41, v10
	ds_bpermute_b32 v29, v41, v11
	ds_bpermute_b32 v30, v41, v22
	ds_bpermute_b32 v31, v41, v23
	ds_bpermute_b32 v32, v41, v24
	ds_bpermute_b32 v33, v41, v25
	ds_bpermute_b32 v34, v41, v18
	ds_bpermute_b32 v35, v41, v19
	ds_bpermute_b32 v36, v41, v20
	ds_bpermute_b32 v37, v41, v21
	ds_bpermute_b32 v38, v41, v12
	ds_bpermute_b32 v39, v41, v13
	ds_bpermute_b32 v40, v41, v14
	ds_bpermute_b32 v41, v41, v15
	s_wait_dscnt 0xe
	v_add_f64_e32 v[16:17], v[16:17], v[26:27]
	v_xor_b32_e32 v26, 16, v44
	s_wait_dscnt 0xc
	v_add_f64_e32 v[10:11], v[10:11], v[28:29]
	s_wait_dscnt 0xa
	v_add_f64_e32 v[22:23], v[22:23], v[30:31]
	s_wait_dscnt 0x8
	v_add_f64_e32 v[24:25], v[24:25], v[32:33]
	v_cmp_gt_i32_e32 vcc_lo, 32, v26
	s_wait_dscnt 0x6
	v_add_f64_e32 v[18:19], v[18:19], v[34:35]
	s_wait_dscnt 0x4
	v_add_f64_e32 v[20:21], v[20:21], v[36:37]
	s_wait_dscnt 0x2
	v_add_f64_e32 v[12:13], v[12:13], v[38:39]
	s_wait_alu 0xfffd
	v_cndmask_b32_e32 v26, v44, v26, vcc_lo
	s_wait_dscnt 0x0
	v_add_f64_e32 v[14:15], v[14:15], v[40:41]
	s_delay_alu instid0(VALU_DEP_2)
	v_lshlrev_b32_e32 v41, 2, v26
	ds_bpermute_b32 v26, v41, v16
	ds_bpermute_b32 v27, v41, v17
	ds_bpermute_b32 v28, v41, v10
	ds_bpermute_b32 v29, v41, v11
	ds_bpermute_b32 v30, v41, v22
	ds_bpermute_b32 v31, v41, v23
	ds_bpermute_b32 v32, v41, v24
	ds_bpermute_b32 v33, v41, v25
	ds_bpermute_b32 v34, v41, v18
	ds_bpermute_b32 v35, v41, v19
	ds_bpermute_b32 v36, v41, v20
	ds_bpermute_b32 v37, v41, v21
	ds_bpermute_b32 v38, v41, v12
	ds_bpermute_b32 v39, v41, v13
	ds_bpermute_b32 v40, v41, v14
	ds_bpermute_b32 v41, v41, v15
	s_wait_dscnt 0xe
	v_add_f64_e32 v[16:17], v[16:17], v[26:27]
	v_xor_b32_e32 v26, 8, v44
	s_wait_dscnt 0xc
	v_add_f64_e32 v[10:11], v[10:11], v[28:29]
	s_wait_dscnt 0xa
	v_add_f64_e32 v[22:23], v[22:23], v[30:31]
	s_wait_dscnt 0x8
	v_add_f64_e32 v[24:25], v[24:25], v[32:33]
	v_cmp_gt_i32_e32 vcc_lo, 32, v26
	s_wait_dscnt 0x6
	v_add_f64_e32 v[18:19], v[18:19], v[34:35]
	s_wait_dscnt 0x4
	v_add_f64_e32 v[20:21], v[20:21], v[36:37]
	s_wait_dscnt 0x2
	v_add_f64_e32 v[12:13], v[12:13], v[38:39]
	s_wait_alu 0xfffd
	v_cndmask_b32_e32 v26, v44, v26, vcc_lo
	s_wait_dscnt 0x0
	v_add_f64_e32 v[14:15], v[14:15], v[40:41]
	s_delay_alu instid0(VALU_DEP_2)
	v_lshlrev_b32_e32 v41, 2, v26
	ds_bpermute_b32 v26, v41, v16
	ds_bpermute_b32 v27, v41, v17
	ds_bpermute_b32 v28, v41, v10
	ds_bpermute_b32 v29, v41, v11
	ds_bpermute_b32 v30, v41, v22
	ds_bpermute_b32 v31, v41, v23
	ds_bpermute_b32 v32, v41, v24
	ds_bpermute_b32 v33, v41, v25
	ds_bpermute_b32 v34, v41, v18
	ds_bpermute_b32 v35, v41, v19
	ds_bpermute_b32 v36, v41, v20
	ds_bpermute_b32 v37, v41, v21
	ds_bpermute_b32 v38, v41, v12
	ds_bpermute_b32 v39, v41, v13
	ds_bpermute_b32 v40, v41, v14
	ds_bpermute_b32 v41, v41, v15
	s_wait_dscnt 0xe
	v_add_f64_e32 v[16:17], v[16:17], v[26:27]
	v_xor_b32_e32 v26, 4, v44
	s_wait_dscnt 0xc
	v_add_f64_e32 v[10:11], v[10:11], v[28:29]
	s_wait_dscnt 0xa
	v_add_f64_e32 v[22:23], v[22:23], v[30:31]
	s_wait_dscnt 0x8
	v_add_f64_e32 v[24:25], v[24:25], v[32:33]
	v_cmp_gt_i32_e32 vcc_lo, 32, v26
	s_wait_dscnt 0x6
	v_add_f64_e32 v[18:19], v[18:19], v[34:35]
	s_wait_dscnt 0x4
	v_add_f64_e32 v[20:21], v[20:21], v[36:37]
	s_wait_dscnt 0x2
	v_add_f64_e32 v[12:13], v[12:13], v[38:39]
	s_wait_alu 0xfffd
	v_cndmask_b32_e32 v26, v44, v26, vcc_lo
	s_wait_dscnt 0x0
	v_add_f64_e32 v[14:15], v[14:15], v[40:41]
	s_delay_alu instid0(VALU_DEP_2)
	v_lshlrev_b32_e32 v41, 2, v26
	ds_bpermute_b32 v26, v41, v16
	ds_bpermute_b32 v27, v41, v17
	ds_bpermute_b32 v28, v41, v10
	ds_bpermute_b32 v29, v41, v11
	ds_bpermute_b32 v30, v41, v22
	ds_bpermute_b32 v31, v41, v23
	ds_bpermute_b32 v32, v41, v24
	ds_bpermute_b32 v33, v41, v25
	ds_bpermute_b32 v34, v41, v18
	ds_bpermute_b32 v35, v41, v19
	ds_bpermute_b32 v36, v41, v20
	ds_bpermute_b32 v37, v41, v21
	ds_bpermute_b32 v38, v41, v12
	ds_bpermute_b32 v39, v41, v13
	ds_bpermute_b32 v40, v41, v14
	ds_bpermute_b32 v41, v41, v15
	s_wait_dscnt 0xe
	v_add_f64_e32 v[16:17], v[16:17], v[26:27]
	s_wait_dscnt 0xc
	v_add_f64_e32 v[26:27], v[10:11], v[28:29]
	v_xor_b32_e32 v10, 2, v44
	s_wait_dscnt 0xa
	v_add_f64_e32 v[22:23], v[22:23], v[30:31]
	s_wait_dscnt 0x8
	v_add_f64_e32 v[28:29], v[24:25], v[32:33]
	;; [unrolled: 2-line block ×3, first 2 shown]
	v_cmp_gt_i32_e32 vcc_lo, 32, v10
	s_wait_dscnt 0x4
	v_add_f64_e32 v[20:21], v[20:21], v[36:37]
	s_wait_dscnt 0x2
	v_add_f64_e32 v[30:31], v[12:13], v[38:39]
	;; [unrolled: 2-line block ×3, first 2 shown]
	s_wait_alu 0xfffd
	v_cndmask_b32_e32 v10, v44, v10, vcc_lo
	s_delay_alu instid0(VALU_DEP_1)
	v_lshlrev_b32_e32 v24, 2, v10
	ds_bpermute_b32 v10, v24, v16
	ds_bpermute_b32 v11, v24, v17
	;; [unrolled: 1-line block ×16, first 2 shown]
	s_wait_dscnt 0xe
	v_add_f64_e32 v[10:11], v[16:17], v[10:11]
	s_wait_dscnt 0xc
	v_add_f64_e32 v[24:25], v[26:27], v[12:13]
	v_xor_b32_e32 v26, 1, v44
	s_wait_dscnt 0xa
	v_add_f64_e32 v[12:13], v[22:23], v[14:15]
	s_wait_dscnt 0x8
	v_add_f64_e32 v[22:23], v[28:29], v[34:35]
	;; [unrolled: 2-line block ×3, first 2 shown]
	v_cmp_gt_i32_e32 vcc_lo, 32, v26
	s_wait_dscnt 0x4
	v_add_f64_e32 v[20:21], v[20:21], v[38:39]
	s_wait_dscnt 0x2
	v_add_f64_e32 v[16:17], v[30:31], v[40:41]
	;; [unrolled: 2-line block ×3, first 2 shown]
	s_wait_alu 0xfffd
	v_cndmask_b32_e32 v26, v44, v26, vcc_lo
	v_cmp_eq_u32_e32 vcc_lo, 63, v0
	s_delay_alu instid0(VALU_DEP_2)
	v_lshlrev_b32_e32 v29, 2, v26
	ds_bpermute_b32 v40, v29, v10
	ds_bpermute_b32 v41, v29, v11
	;; [unrolled: 1-line block ×16, first 2 shown]
	s_and_b32 exec_lo, exec_lo, vcc_lo
	s_cbranch_execz .LBB135_25
; %bb.21:
	v_cmp_eq_f64_e32 vcc_lo, 0, v[5:6]
	v_cmp_eq_f64_e64 s2, 0, v[7:8]
	s_wait_dscnt 0xe
	v_add_f64_e32 v[10:11], v[10:11], v[40:41]
	s_wait_dscnt 0xc
	v_add_f64_e32 v[24:25], v[24:25], v[38:39]
	;; [unrolled: 2-line block ×8, first 2 shown]
	s_load_b64 s[0:1], s[0:1], 0x48
	s_and_b32 s2, vcc_lo, s2
	s_wait_alu 0xfffe
	s_and_saveexec_b32 s3, s2
	s_wait_alu 0xfffe
	s_xor_b32 s2, exec_lo, s3
	s_cbranch_execz .LBB135_23
; %bb.22:
	v_mul_f64_e64 v[5:6], v[24:25], -v[3:4]
	v_mul_f64_e32 v[7:8], v[1:2], v[24:25]
	v_mul_f64_e64 v[24:25], v[22:23], -v[3:4]
	v_mul_f64_e32 v[22:23], v[1:2], v[22:23]
	;; [unrolled: 2-line block ×4, first 2 shown]
	v_fma_f64 v[5:6], v[1:2], v[10:11], v[5:6]
	v_fma_f64 v[7:8], v[3:4], v[10:11], v[7:8]
	;; [unrolled: 1-line block ×8, first 2 shown]
	v_lshlrev_b32_e32 v14, 2, v9
                                        ; implicit-def: $vgpr9
                                        ; implicit-def: $vgpr24_vgpr25
                                        ; implicit-def: $vgpr22_vgpr23
                                        ; implicit-def: $vgpr16_vgpr17
	s_delay_alu instid0(VALU_DEP_1) | instskip(NEXT) | instid1(VALU_DEP_1)
	v_ashrrev_i32_e32 v15, 31, v14
	v_lshlrev_b64_e32 v[14:15], 4, v[14:15]
	s_wait_kmcnt 0x0
	s_delay_alu instid0(VALU_DEP_1) | instskip(SKIP_1) | instid1(VALU_DEP_2)
	v_add_co_u32 v14, vcc_lo, s0, v14
	s_wait_alu 0xfffd
	v_add_co_ci_u32_e64 v15, null, s1, v15, vcc_lo
	s_clause 0x3
	global_store_b128 v[14:15], v[5:8], off
	global_store_b128 v[14:15], v[10:13], off offset:16
	global_store_b128 v[14:15], v[18:21], off offset:32
	;; [unrolled: 1-line block ×3, first 2 shown]
                                        ; implicit-def: $vgpr10_vgpr11
                                        ; implicit-def: $vgpr12_vgpr13
                                        ; implicit-def: $vgpr14_vgpr15
                                        ; implicit-def: $vgpr20_vgpr21
                                        ; implicit-def: $vgpr18_vgpr19
                                        ; implicit-def: $vgpr7_vgpr8
                                        ; implicit-def: $vgpr3_vgpr4
.LBB135_23:
	s_wait_alu 0xfffe
	s_and_not1_saveexec_b32 s2, s2
	s_cbranch_execz .LBB135_25
; %bb.24:
	v_lshlrev_b32_e32 v26, 2, v9
	v_mul_f64_e64 v[44:45], v[24:25], -v[3:4]
	v_mul_f64_e32 v[24:25], v[1:2], v[24:25]
	v_mul_f64_e64 v[46:47], v[22:23], -v[3:4]
	v_mul_f64_e32 v[22:23], v[1:2], v[22:23]
	v_ashrrev_i32_e32 v27, 31, v26
	v_mul_f64_e64 v[48:49], v[20:21], -v[3:4]
	v_mul_f64_e32 v[20:21], v[1:2], v[20:21]
	v_mul_f64_e64 v[50:51], v[18:19], -v[3:4]
	v_mul_f64_e32 v[18:19], v[1:2], v[18:19]
	v_lshlrev_b64_e32 v[26:27], 4, v[26:27]
	s_wait_kmcnt 0x0
	s_delay_alu instid0(VALU_DEP_1) | instskip(SKIP_1) | instid1(VALU_DEP_2)
	v_add_co_u32 v42, vcc_lo, s0, v26
	s_wait_alu 0xfffd
	v_add_co_ci_u32_e64 v43, null, s1, v27, vcc_lo
	s_clause 0x3
	global_load_b128 v[26:29], v[42:43], off
	global_load_b128 v[30:33], v[42:43], off offset:16
	global_load_b128 v[34:37], v[42:43], off offset:32
	;; [unrolled: 1-line block ×3, first 2 shown]
	v_fma_f64 v[44:45], v[1:2], v[10:11], v[44:45]
	v_fma_f64 v[9:10], v[3:4], v[10:11], v[24:25]
	;; [unrolled: 1-line block ×8, first 2 shown]
	s_wait_loadcnt 0x3
	v_fma_f64 v[15:16], v[5:6], v[26:27], v[44:45]
	v_fma_f64 v[9:10], v[7:8], v[26:27], v[9:10]
	s_wait_loadcnt 0x2
	v_fma_f64 v[17:18], v[5:6], v[30:31], v[24:25]
	v_fma_f64 v[11:12], v[7:8], v[30:31], v[11:12]
	;; [unrolled: 3-line block ×4, first 2 shown]
	v_fma_f64 v[0:1], -v[7:8], v[28:29], v[15:16]
	v_fma_f64 v[2:3], v[5:6], v[28:29], v[9:10]
	v_fma_f64 v[9:10], -v[7:8], v[32:33], v[17:18]
	v_fma_f64 v[11:12], v[5:6], v[32:33], v[11:12]
	;; [unrolled: 2-line block ×4, first 2 shown]
	s_clause 0x3
	global_store_b128 v[42:43], v[0:3], off
	global_store_b128 v[42:43], v[9:12], off offset:16
	global_store_b128 v[42:43], v[13:16], off offset:32
	;; [unrolled: 1-line block ×3, first 2 shown]
.LBB135_25:
	s_endpgm
	.section	.rodata,"a",@progbits
	.p2align	6, 0x0
	.amdhsa_kernel _ZN9rocsparseL19gebsrmvn_4xn_kernelILj128ELj6ELj64E21rocsparse_complex_numIdEEEvi20rocsparse_direction_NS_24const_host_device_scalarIT2_EEPKiS8_PKS5_SA_S6_PS5_21rocsparse_index_base_b
		.amdhsa_group_segment_fixed_size 0
		.amdhsa_private_segment_fixed_size 0
		.amdhsa_kernarg_size 88
		.amdhsa_user_sgpr_count 2
		.amdhsa_user_sgpr_dispatch_ptr 0
		.amdhsa_user_sgpr_queue_ptr 0
		.amdhsa_user_sgpr_kernarg_segment_ptr 1
		.amdhsa_user_sgpr_dispatch_id 0
		.amdhsa_user_sgpr_private_segment_size 0
		.amdhsa_wavefront_size32 1
		.amdhsa_uses_dynamic_stack 0
		.amdhsa_enable_private_segment 0
		.amdhsa_system_sgpr_workgroup_id_x 1
		.amdhsa_system_sgpr_workgroup_id_y 0
		.amdhsa_system_sgpr_workgroup_id_z 0
		.amdhsa_system_sgpr_workgroup_info 0
		.amdhsa_system_vgpr_workitem_id 0
		.amdhsa_next_free_vgpr 74
		.amdhsa_next_free_sgpr 14
		.amdhsa_reserve_vcc 1
		.amdhsa_float_round_mode_32 0
		.amdhsa_float_round_mode_16_64 0
		.amdhsa_float_denorm_mode_32 3
		.amdhsa_float_denorm_mode_16_64 3
		.amdhsa_fp16_overflow 0
		.amdhsa_workgroup_processor_mode 1
		.amdhsa_memory_ordered 1
		.amdhsa_forward_progress 1
		.amdhsa_inst_pref_size 32
		.amdhsa_round_robin_scheduling 0
		.amdhsa_exception_fp_ieee_invalid_op 0
		.amdhsa_exception_fp_denorm_src 0
		.amdhsa_exception_fp_ieee_div_zero 0
		.amdhsa_exception_fp_ieee_overflow 0
		.amdhsa_exception_fp_ieee_underflow 0
		.amdhsa_exception_fp_ieee_inexact 0
		.amdhsa_exception_int_div_zero 0
	.end_amdhsa_kernel
	.section	.text._ZN9rocsparseL19gebsrmvn_4xn_kernelILj128ELj6ELj64E21rocsparse_complex_numIdEEEvi20rocsparse_direction_NS_24const_host_device_scalarIT2_EEPKiS8_PKS5_SA_S6_PS5_21rocsparse_index_base_b,"axG",@progbits,_ZN9rocsparseL19gebsrmvn_4xn_kernelILj128ELj6ELj64E21rocsparse_complex_numIdEEEvi20rocsparse_direction_NS_24const_host_device_scalarIT2_EEPKiS8_PKS5_SA_S6_PS5_21rocsparse_index_base_b,comdat
.Lfunc_end135:
	.size	_ZN9rocsparseL19gebsrmvn_4xn_kernelILj128ELj6ELj64E21rocsparse_complex_numIdEEEvi20rocsparse_direction_NS_24const_host_device_scalarIT2_EEPKiS8_PKS5_SA_S6_PS5_21rocsparse_index_base_b, .Lfunc_end135-_ZN9rocsparseL19gebsrmvn_4xn_kernelILj128ELj6ELj64E21rocsparse_complex_numIdEEEvi20rocsparse_direction_NS_24const_host_device_scalarIT2_EEPKiS8_PKS5_SA_S6_PS5_21rocsparse_index_base_b
                                        ; -- End function
	.set _ZN9rocsparseL19gebsrmvn_4xn_kernelILj128ELj6ELj64E21rocsparse_complex_numIdEEEvi20rocsparse_direction_NS_24const_host_device_scalarIT2_EEPKiS8_PKS5_SA_S6_PS5_21rocsparse_index_base_b.num_vgpr, 74
	.set _ZN9rocsparseL19gebsrmvn_4xn_kernelILj128ELj6ELj64E21rocsparse_complex_numIdEEEvi20rocsparse_direction_NS_24const_host_device_scalarIT2_EEPKiS8_PKS5_SA_S6_PS5_21rocsparse_index_base_b.num_agpr, 0
	.set _ZN9rocsparseL19gebsrmvn_4xn_kernelILj128ELj6ELj64E21rocsparse_complex_numIdEEEvi20rocsparse_direction_NS_24const_host_device_scalarIT2_EEPKiS8_PKS5_SA_S6_PS5_21rocsparse_index_base_b.numbered_sgpr, 14
	.set _ZN9rocsparseL19gebsrmvn_4xn_kernelILj128ELj6ELj64E21rocsparse_complex_numIdEEEvi20rocsparse_direction_NS_24const_host_device_scalarIT2_EEPKiS8_PKS5_SA_S6_PS5_21rocsparse_index_base_b.num_named_barrier, 0
	.set _ZN9rocsparseL19gebsrmvn_4xn_kernelILj128ELj6ELj64E21rocsparse_complex_numIdEEEvi20rocsparse_direction_NS_24const_host_device_scalarIT2_EEPKiS8_PKS5_SA_S6_PS5_21rocsparse_index_base_b.private_seg_size, 0
	.set _ZN9rocsparseL19gebsrmvn_4xn_kernelILj128ELj6ELj64E21rocsparse_complex_numIdEEEvi20rocsparse_direction_NS_24const_host_device_scalarIT2_EEPKiS8_PKS5_SA_S6_PS5_21rocsparse_index_base_b.uses_vcc, 1
	.set _ZN9rocsparseL19gebsrmvn_4xn_kernelILj128ELj6ELj64E21rocsparse_complex_numIdEEEvi20rocsparse_direction_NS_24const_host_device_scalarIT2_EEPKiS8_PKS5_SA_S6_PS5_21rocsparse_index_base_b.uses_flat_scratch, 0
	.set _ZN9rocsparseL19gebsrmvn_4xn_kernelILj128ELj6ELj64E21rocsparse_complex_numIdEEEvi20rocsparse_direction_NS_24const_host_device_scalarIT2_EEPKiS8_PKS5_SA_S6_PS5_21rocsparse_index_base_b.has_dyn_sized_stack, 0
	.set _ZN9rocsparseL19gebsrmvn_4xn_kernelILj128ELj6ELj64E21rocsparse_complex_numIdEEEvi20rocsparse_direction_NS_24const_host_device_scalarIT2_EEPKiS8_PKS5_SA_S6_PS5_21rocsparse_index_base_b.has_recursion, 0
	.set _ZN9rocsparseL19gebsrmvn_4xn_kernelILj128ELj6ELj64E21rocsparse_complex_numIdEEEvi20rocsparse_direction_NS_24const_host_device_scalarIT2_EEPKiS8_PKS5_SA_S6_PS5_21rocsparse_index_base_b.has_indirect_call, 0
	.section	.AMDGPU.csdata,"",@progbits
; Kernel info:
; codeLenInByte = 4016
; TotalNumSgprs: 16
; NumVgprs: 74
; ScratchSize: 0
; MemoryBound: 0
; FloatMode: 240
; IeeeMode: 1
; LDSByteSize: 0 bytes/workgroup (compile time only)
; SGPRBlocks: 0
; VGPRBlocks: 9
; NumSGPRsForWavesPerEU: 16
; NumVGPRsForWavesPerEU: 74
; Occupancy: 16
; WaveLimiterHint : 1
; COMPUTE_PGM_RSRC2:SCRATCH_EN: 0
; COMPUTE_PGM_RSRC2:USER_SGPR: 2
; COMPUTE_PGM_RSRC2:TRAP_HANDLER: 0
; COMPUTE_PGM_RSRC2:TGID_X_EN: 1
; COMPUTE_PGM_RSRC2:TGID_Y_EN: 0
; COMPUTE_PGM_RSRC2:TGID_Z_EN: 0
; COMPUTE_PGM_RSRC2:TIDIG_COMP_CNT: 0
	.section	.text._ZN9rocsparseL19gebsrmvn_4xn_kernelILj128ELj7ELj4E21rocsparse_complex_numIdEEEvi20rocsparse_direction_NS_24const_host_device_scalarIT2_EEPKiS8_PKS5_SA_S6_PS5_21rocsparse_index_base_b,"axG",@progbits,_ZN9rocsparseL19gebsrmvn_4xn_kernelILj128ELj7ELj4E21rocsparse_complex_numIdEEEvi20rocsparse_direction_NS_24const_host_device_scalarIT2_EEPKiS8_PKS5_SA_S6_PS5_21rocsparse_index_base_b,comdat
	.globl	_ZN9rocsparseL19gebsrmvn_4xn_kernelILj128ELj7ELj4E21rocsparse_complex_numIdEEEvi20rocsparse_direction_NS_24const_host_device_scalarIT2_EEPKiS8_PKS5_SA_S6_PS5_21rocsparse_index_base_b ; -- Begin function _ZN9rocsparseL19gebsrmvn_4xn_kernelILj128ELj7ELj4E21rocsparse_complex_numIdEEEvi20rocsparse_direction_NS_24const_host_device_scalarIT2_EEPKiS8_PKS5_SA_S6_PS5_21rocsparse_index_base_b
	.p2align	8
	.type	_ZN9rocsparseL19gebsrmvn_4xn_kernelILj128ELj7ELj4E21rocsparse_complex_numIdEEEvi20rocsparse_direction_NS_24const_host_device_scalarIT2_EEPKiS8_PKS5_SA_S6_PS5_21rocsparse_index_base_b,@function
_ZN9rocsparseL19gebsrmvn_4xn_kernelILj128ELj7ELj4E21rocsparse_complex_numIdEEEvi20rocsparse_direction_NS_24const_host_device_scalarIT2_EEPKiS8_PKS5_SA_S6_PS5_21rocsparse_index_base_b: ; @_ZN9rocsparseL19gebsrmvn_4xn_kernelILj128ELj7ELj4E21rocsparse_complex_numIdEEEvi20rocsparse_direction_NS_24const_host_device_scalarIT2_EEPKiS8_PKS5_SA_S6_PS5_21rocsparse_index_base_b
; %bb.0:
	s_clause 0x1
	s_load_b64 s[12:13], s[0:1], 0x50
	s_load_b64 s[2:3], s[0:1], 0x8
	s_add_nc_u64 s[4:5], s[0:1], 8
	s_load_b64 s[6:7], s[0:1], 0x38
	s_wait_kmcnt 0x0
	s_bitcmp1_b32 s13, 0
	s_cselect_b32 s2, s4, s2
	s_cselect_b32 s3, s5, s3
	s_delay_alu instid0(SALU_CYCLE_1)
	v_dual_mov_b32 v1, s2 :: v_dual_mov_b32 v2, s3
	s_add_nc_u64 s[2:3], s[0:1], 56
	s_wait_alu 0xfffe
	s_cselect_b32 s2, s2, s6
	s_cselect_b32 s3, s3, s7
	flat_load_b128 v[1:4], v[1:2]
	s_wait_alu 0xfffe
	v_dual_mov_b32 v5, s2 :: v_dual_mov_b32 v6, s3
	flat_load_b128 v[5:8], v[5:6]
	s_wait_loadcnt_dscnt 0x101
	v_cmp_eq_f64_e32 vcc_lo, 0, v[1:2]
	v_cmp_eq_f64_e64 s2, 0, v[3:4]
	s_and_b32 s4, vcc_lo, s2
	s_mov_b32 s2, -1
	s_and_saveexec_b32 s3, s4
	s_cbranch_execz .LBB136_2
; %bb.1:
	s_wait_loadcnt_dscnt 0x0
	v_cmp_neq_f64_e32 vcc_lo, 1.0, v[5:6]
	v_cmp_neq_f64_e64 s2, 0, v[7:8]
	s_wait_alu 0xfffe
	s_or_b32 s2, vcc_lo, s2
	s_wait_alu 0xfffe
	s_or_not1_b32 s2, s2, exec_lo
.LBB136_2:
	s_wait_alu 0xfffe
	s_or_b32 exec_lo, exec_lo, s3
	s_and_saveexec_b32 s3, s2
	s_cbranch_execz .LBB136_29
; %bb.3:
	s_load_b64 s[2:3], s[0:1], 0x0
	v_lshrrev_b32_e32 v9, 2, v0
	s_delay_alu instid0(VALU_DEP_1) | instskip(SKIP_1) | instid1(VALU_DEP_1)
	v_lshl_or_b32 v9, ttmp9, 5, v9
	s_wait_kmcnt 0x0
	v_cmp_gt_i32_e32 vcc_lo, s2, v9
	s_and_b32 exec_lo, exec_lo, vcc_lo
	s_cbranch_execz .LBB136_29
; %bb.4:
	s_load_b256 s[4:11], s[0:1], 0x18
	v_ashrrev_i32_e32 v10, 31, v9
	v_and_b32_e32 v0, 3, v0
	s_cmp_lg_u32 s3, 0
	s_delay_alu instid0(VALU_DEP_2) | instskip(SKIP_1) | instid1(VALU_DEP_1)
	v_lshlrev_b64_e32 v[10:11], 2, v[9:10]
	s_wait_kmcnt 0x0
	v_add_co_u32 v10, vcc_lo, s4, v10
	s_delay_alu instid0(VALU_DEP_1) | instskip(SKIP_4) | instid1(VALU_DEP_2)
	v_add_co_ci_u32_e64 v11, null, s5, v11, vcc_lo
	global_load_b64 v[11:12], v[10:11], off
	s_wait_loadcnt 0x0
	v_subrev_nc_u32_e32 v10, s12, v11
	v_subrev_nc_u32_e32 v49, s12, v12
	v_add_nc_u32_e32 v10, v10, v0
	s_delay_alu instid0(VALU_DEP_1)
	v_cmp_lt_i32_e64 s2, v10, v49
	s_cbranch_scc0 .LBB136_12
; %bb.5:
	v_mov_b32_e32 v12, 0
	v_mov_b32_e32 v16, 0
	;; [unrolled: 1-line block ×3, first 2 shown]
	v_dual_mov_b32 v24, 0 :: v_dual_mov_b32 v13, 0
	v_dual_mov_b32 v14, 0 :: v_dual_mov_b32 v17, 0
	;; [unrolled: 1-line block ×5, first 2 shown]
	v_mov_b32_e32 v19, 0
	v_mov_b32_e32 v23, 0
	;; [unrolled: 1-line block ×3, first 2 shown]
	s_and_saveexec_b32 s3, s2
	s_cbranch_execz .LBB136_14
; %bb.6:
	v_dual_mov_b32 v12, 0 :: v_dual_mov_b32 v29, 0
	v_dual_mov_b32 v13, 0 :: v_dual_mov_b32 v14, 0
	;; [unrolled: 1-line block ×5, first 2 shown]
	v_mul_lo_u32 v50, v10, 28
	v_dual_mov_b32 v21, 0 :: v_dual_mov_b32 v22, 0
	v_dual_mov_b32 v23, 0 :: v_dual_mov_b32 v24, 0
	;; [unrolled: 1-line block ×4, first 2 shown]
	s_mov_b32 s4, 0
	s_branch .LBB136_8
.LBB136_7:                              ;   in Loop: Header=BB136_8 Depth=1
	v_add_nc_u32_e32 v30, 4, v30
	v_add_nc_u32_e32 v50, 0x70, v50
	s_delay_alu instid0(VALU_DEP_2)
	v_cmp_ge_i32_e32 vcc_lo, v30, v49
	s_or_b32 s4, vcc_lo, s4
	s_wait_alu 0xfffe
	s_and_not1_b32 exec_lo, exec_lo, s4
	s_cbranch_execz .LBB136_13
.LBB136_8:                              ; =>This Loop Header: Depth=1
                                        ;     Child Loop BB136_10 Depth 2
	s_delay_alu instid0(VALU_DEP_1)
	v_ashrrev_i32_e32 v31, 31, v30
	v_mov_b32_e32 v42, v13
	v_mov_b32_e32 v46, v15
	;; [unrolled: 1-line block ×4, first 2 shown]
	v_lshlrev_b64_e32 v[31:32], 2, v[30:31]
	v_mov_b32_e32 v44, v25
	v_mov_b32_e32 v40, v27
	v_dual_mov_b32 v28, v50 :: v_dual_mov_b32 v41, v12
	v_mov_b32_e32 v45, v14
	v_add_co_u32 v31, vcc_lo, s6, v31
	s_wait_alu 0xfffd
	v_add_co_ci_u32_e64 v32, null, s7, v32, vcc_lo
	v_mov_b32_e32 v33, v16
	v_mov_b32_e32 v39, v26
	s_mov_b32 s5, 0
	global_load_b32 v31, v[31:32], off
	v_mov_b32_e32 v37, v20
	v_mov_b32_e32 v43, v24
	s_wait_loadcnt 0x0
	v_subrev_nc_u32_e32 v35, s12, v31
	v_dual_mov_b32 v32, v19 :: v_dual_mov_b32 v31, v18
	s_delay_alu instid0(VALU_DEP_2)
	v_mul_lo_u32 v51, v35, 7
	v_dual_mov_b32 v36, v23 :: v_dual_mov_b32 v35, v22
	s_branch .LBB136_10
.LBB136_9:                              ;   in Loop: Header=BB136_8 Depth=1
                                        ; implicit-def: $vgpr39_vgpr40
                                        ; implicit-def: $vgpr43_vgpr44
                                        ; implicit-def: $vgpr35_vgpr36
                                        ; implicit-def: $vgpr37_vgpr38
                                        ; implicit-def: $vgpr31_vgpr32
                                        ; implicit-def: $vgpr33_vgpr34
                                        ; implicit-def: $vgpr45_vgpr46
                                        ; implicit-def: $vgpr41_vgpr42
                                        ; implicit-def: $sgpr5
	s_branch .LBB136_7
.LBB136_10:                             ;   Parent Loop BB136_8 Depth=1
                                        ; =>  This Inner Loop Header: Depth=2
	s_wait_alu 0xfffe
	s_delay_alu instid0(VALU_DEP_2) | instskip(SKIP_2) | instid1(VALU_DEP_2)
	v_dual_mov_b32 v48, v29 :: v_dual_add_nc_u32 v47, s5, v51
	v_lshlrev_b64_e32 v[14:15], 4, v[28:29]
	s_cmp_eq_u32 s5, 6
	v_lshlrev_b64_e32 v[12:13], 4, v[47:48]
	s_delay_alu instid0(VALU_DEP_1) | instskip(SKIP_1) | instid1(VALU_DEP_2)
	v_add_co_u32 v12, vcc_lo, s10, v12
	s_wait_alu 0xfffd
	v_add_co_ci_u32_e64 v13, null, s11, v13, vcc_lo
	v_add_co_u32 v24, vcc_lo, s8, v14
	s_wait_alu 0xfffd
	v_add_co_ci_u32_e64 v25, null, s9, v15, vcc_lo
	global_load_b128 v[16:19], v[12:13], off
	s_clause 0x3
	global_load_b128 v[12:15], v[24:25], off
	global_load_b128 v[20:23], v[24:25], off offset:16
	global_load_b128 v[52:55], v[24:25], off offset:32
	global_load_b128 v[56:59], v[24:25], off offset:48
	s_wait_loadcnt 0x3
	v_fma_f64 v[24:25], v[12:13], v[16:17], v[45:46]
	v_fma_f64 v[26:27], v[14:15], v[16:17], v[41:42]
	s_wait_loadcnt 0x2
	v_fma_f64 v[41:42], v[20:21], v[16:17], v[43:44]
	v_fma_f64 v[39:40], v[22:23], v[16:17], v[39:40]
	;; [unrolled: 3-line block ×4, first 2 shown]
	v_fma_f64 v[14:15], -v[14:15], v[18:19], v[24:25]
	v_fma_f64 v[12:13], v[12:13], v[18:19], v[26:27]
	v_fma_f64 v[24:25], -v[22:23], v[18:19], v[41:42]
	v_fma_f64 v[26:27], v[20:21], v[18:19], v[39:40]
	;; [unrolled: 2-line block ×4, first 2 shown]
	s_cbranch_scc1 .LBB136_9
; %bb.11:                               ;   in Loop: Header=BB136_10 Depth=2
	v_dual_mov_b32 v32, v29 :: v_dual_add_nc_u32 v31, 1, v47
	v_dual_mov_b32 v34, v29 :: v_dual_add_nc_u32 v33, 4, v28
	v_add_nc_u32_e32 v28, 8, v28
	s_add_co_i32 s5, s5, 2
	s_delay_alu instid0(VALU_DEP_3) | instskip(NEXT) | instid1(VALU_DEP_3)
	v_lshlrev_b64_e32 v[31:32], 4, v[31:32]
	v_lshlrev_b64_e32 v[33:34], 4, v[33:34]
	s_delay_alu instid0(VALU_DEP_2) | instskip(SKIP_1) | instid1(VALU_DEP_3)
	v_add_co_u32 v31, vcc_lo, s10, v31
	s_wait_alu 0xfffd
	v_add_co_ci_u32_e64 v32, null, s11, v32, vcc_lo
	s_delay_alu instid0(VALU_DEP_3)
	v_add_co_u32 v39, vcc_lo, s8, v33
	s_wait_alu 0xfffd
	v_add_co_ci_u32_e64 v40, null, s9, v34, vcc_lo
	global_load_b128 v[45:48], v[31:32], off
	s_clause 0x3
	global_load_b128 v[31:34], v[39:40], off
	global_load_b128 v[35:38], v[39:40], off offset:16
	global_load_b128 v[52:55], v[39:40], off offset:32
	;; [unrolled: 1-line block ×3, first 2 shown]
	s_wait_loadcnt 0x3
	v_fma_f64 v[39:40], v[31:32], v[45:46], v[14:15]
	v_fma_f64 v[41:42], v[33:34], v[45:46], v[12:13]
	s_wait_loadcnt 0x2
	v_fma_f64 v[43:44], v[35:36], v[45:46], v[24:25]
	v_fma_f64 v[60:61], v[37:38], v[45:46], v[26:27]
	;; [unrolled: 3-line block ×4, first 2 shown]
	v_fma_f64 v[45:46], -v[33:34], v[47:48], v[39:40]
	v_fma_f64 v[41:42], v[31:32], v[47:48], v[41:42]
	v_fma_f64 v[43:44], -v[37:38], v[47:48], v[43:44]
	v_fma_f64 v[39:40], v[35:36], v[47:48], v[60:61]
	;; [unrolled: 2-line block ×4, first 2 shown]
	s_cbranch_execnz .LBB136_10
	s_branch .LBB136_7
.LBB136_12:
                                        ; implicit-def: $vgpr12_vgpr13
                                        ; implicit-def: $vgpr14_vgpr15
                                        ; implicit-def: $vgpr16_vgpr17
                                        ; implicit-def: $vgpr18_vgpr19
                                        ; implicit-def: $vgpr20_vgpr21
                                        ; implicit-def: $vgpr22_vgpr23
                                        ; implicit-def: $vgpr24_vgpr25
                                        ; implicit-def: $vgpr26_vgpr27
	s_branch .LBB136_15
.LBB136_13:
	s_or_b32 exec_lo, exec_lo, s4
.LBB136_14:
	s_wait_alu 0xfffe
	s_or_b32 exec_lo, exec_lo, s3
	s_cbranch_execnz .LBB136_24
.LBB136_15:
	v_mov_b32_e32 v12, 0
	v_mov_b32_e32 v16, 0
	v_mov_b32_e32 v20, 0
	v_dual_mov_b32 v24, 0 :: v_dual_mov_b32 v13, 0
	v_dual_mov_b32 v14, 0 :: v_dual_mov_b32 v17, 0
	v_dual_mov_b32 v18, 0 :: v_dual_mov_b32 v21, 0
	v_dual_mov_b32 v22, 0 :: v_dual_mov_b32 v25, 0
	v_dual_mov_b32 v26, 0 :: v_dual_mov_b32 v15, 0
	v_mov_b32_e32 v19, 0
	v_mov_b32_e32 v23, 0
	;; [unrolled: 1-line block ×3, first 2 shown]
	s_and_saveexec_b32 s3, s2
	s_cbranch_execz .LBB136_23
; %bb.16:
	v_mul_lo_u32 v11, v11, 28
	v_mul_lo_u32 v46, v10, 28
	s_mul_i32 s2, s12, 28
	v_mov_b32_e32 v12, 0
	v_mov_b32_e32 v16, 0
	;; [unrolled: 1-line block ×3, first 2 shown]
	v_dual_mov_b32 v24, 0 :: v_dual_mov_b32 v13, 0
	v_mov_b32_e32 v14, 0
	v_mad_u32_u24 v11, v0, 28, v11
	v_dual_mov_b32 v17, 0 :: v_dual_mov_b32 v18, 0
	v_dual_mov_b32 v21, 0 :: v_dual_mov_b32 v22, 0
	v_dual_mov_b32 v25, 0 :: v_dual_mov_b32 v26, 0
	v_mov_b32_e32 v15, 0
	v_mov_b32_e32 v19, 0
	;; [unrolled: 1-line block ×4, first 2 shown]
	s_wait_alu 0xfffe
	v_subrev_nc_u32_e32 v47, s2, v11
	v_mov_b32_e32 v29, 0
	s_mov_b32 s2, 0
	s_branch .LBB136_18
.LBB136_17:                             ;   in Loop: Header=BB136_18 Depth=1
	v_add_nc_u32_e32 v10, 4, v10
	v_add_nc_u32_e32 v46, 0x70, v46
	;; [unrolled: 1-line block ×3, first 2 shown]
	s_delay_alu instid0(VALU_DEP_3)
	v_cmp_ge_i32_e32 vcc_lo, v10, v49
	s_or_b32 s2, vcc_lo, s2
	s_wait_alu 0xfffe
	s_and_not1_b32 exec_lo, exec_lo, s2
	s_cbranch_execz .LBB136_22
.LBB136_18:                             ; =>This Loop Header: Depth=1
                                        ;     Child Loop BB136_20 Depth 2
	v_ashrrev_i32_e32 v11, 31, v10
	v_dual_mov_b32 v35, v13 :: v_dual_mov_b32 v34, v12
	v_dual_mov_b32 v37, v15 :: v_dual_mov_b32 v36, v14
	s_delay_alu instid0(VALU_DEP_3) | instskip(SKIP_3) | instid1(VALU_DEP_4)
	v_lshlrev_b64_e32 v[30:31], 2, v[10:11]
	v_dual_mov_b32 v33, v17 :: v_dual_mov_b32 v32, v16
	v_dual_mov_b32 v39, v21 :: v_dual_mov_b32 v38, v20
	;; [unrolled: 1-line block ×3, first 2 shown]
	v_add_co_u32 v30, vcc_lo, s6, v30
	s_wait_alu 0xfffd
	v_add_co_ci_u32_e64 v31, null, s7, v31, vcc_lo
	v_dual_mov_b32 v43, v25 :: v_dual_mov_b32 v42, v24
	v_dual_mov_b32 v45, v27 :: v_dual_mov_b32 v44, v26
	global_load_b32 v11, v[30:31], off
	v_dual_mov_b32 v31, v19 :: v_dual_mov_b32 v30, v18
	s_mov_b32 s4, 0
	s_wait_loadcnt 0x0
	v_subrev_nc_u32_e32 v11, s12, v11
	s_delay_alu instid0(VALU_DEP_1)
	v_mul_lo_u32 v11, v11, 7
	s_branch .LBB136_20
.LBB136_19:                             ;   in Loop: Header=BB136_20 Depth=2
	s_wait_alu 0xfffe
	s_and_not1_b32 vcc_lo, exec_lo, s5
	s_wait_alu 0xfffe
	s_cbranch_vccz .LBB136_17
.LBB136_20:                             ;   Parent Loop BB136_18 Depth=1
                                        ; =>  This Inner Loop Header: Depth=2
	s_wait_alu 0xfffe
	v_dual_mov_b32 v15, v29 :: v_dual_add_nc_u32 v28, s4, v47
	v_dual_mov_b32 v17, v29 :: v_dual_add_nc_u32 v48, s4, v46
	s_cmp_eq_u32 s4, 6
	s_delay_alu instid0(VALU_DEP_2) | instskip(NEXT) | instid1(VALU_DEP_4)
	v_lshlrev_b64_e32 v[12:13], 4, v[28:29]
	v_dual_mov_b32 v21, v29 :: v_dual_add_nc_u32 v28, s4, v11
	s_delay_alu instid0(VALU_DEP_3) | instskip(SKIP_2) | instid1(VALU_DEP_4)
	v_add_nc_u32_e32 v14, 7, v48
	v_add_nc_u32_e32 v16, 14, v48
	;; [unrolled: 1-line block ×3, first 2 shown]
	v_lshlrev_b64_e32 v[18:19], 4, v[28:29]
	v_add_co_u32 v12, vcc_lo, s8, v12
	v_lshlrev_b64_e32 v[22:23], 4, v[14:15]
	v_lshlrev_b64_e32 v[24:25], 4, v[16:17]
	s_wait_alu 0xfffd
	v_add_co_ci_u32_e64 v13, null, s9, v13, vcc_lo
	v_add_co_u32 v18, vcc_lo, s10, v18
	v_lshlrev_b64_e32 v[20:21], 4, v[20:21]
	s_wait_alu 0xfffd
	v_add_co_ci_u32_e64 v19, null, s11, v19, vcc_lo
	v_add_co_u32 v22, vcc_lo, s8, v22
	s_wait_alu 0xfffd
	v_add_co_ci_u32_e64 v23, null, s9, v23, vcc_lo
	v_add_co_u32 v24, vcc_lo, s8, v24
	;; [unrolled: 3-line block ×3, first 2 shown]
	s_wait_alu 0xfffd
	v_add_co_ci_u32_e64 v27, null, s9, v21, vcc_lo
	global_load_b128 v[12:15], v[12:13], off
	global_load_b128 v[16:19], v[18:19], off
	s_clause 0x2
	global_load_b128 v[20:23], v[22:23], off
	global_load_b128 v[50:53], v[24:25], off
	;; [unrolled: 1-line block ×3, first 2 shown]
	s_mov_b32 s5, -1
	s_wait_loadcnt 0x3
	v_fma_f64 v[24:25], v[12:13], v[16:17], v[36:37]
	v_fma_f64 v[26:27], v[14:15], v[16:17], v[34:35]
	s_wait_loadcnt 0x2
	v_fma_f64 v[34:35], v[20:21], v[16:17], v[42:43]
	v_fma_f64 v[36:37], v[22:23], v[16:17], v[44:45]
	;; [unrolled: 3-line block ×4, first 2 shown]
                                        ; implicit-def: $vgpr44_vgpr45
                                        ; implicit-def: $vgpr42_vgpr43
	v_fma_f64 v[14:15], -v[14:15], v[18:19], v[24:25]
	v_fma_f64 v[12:13], v[12:13], v[18:19], v[26:27]
	v_fma_f64 v[24:25], -v[22:23], v[18:19], v[34:35]
	v_fma_f64 v[26:27], v[20:21], v[18:19], v[36:37]
	;; [unrolled: 2-line block ×4, first 2 shown]
                                        ; implicit-def: $vgpr40_vgpr41
                                        ; implicit-def: $vgpr38_vgpr39
                                        ; implicit-def: $vgpr30_vgpr31
                                        ; implicit-def: $vgpr32_vgpr33
                                        ; implicit-def: $vgpr36_vgpr37
                                        ; implicit-def: $vgpr34_vgpr35
	s_cbranch_scc1 .LBB136_19
; %bb.21:                               ;   in Loop: Header=BB136_20 Depth=2
	v_dual_mov_b32 v31, v29 :: v_dual_add_nc_u32 v30, 1, v48
	v_add_nc_u32_e32 v28, 1, v28
	s_add_co_i32 s4, s4, 2
	s_mov_b32 s5, 0
	s_delay_alu instid0(VALU_DEP_2) | instskip(NEXT) | instid1(VALU_DEP_2)
	v_lshlrev_b64_e32 v[30:31], 4, v[30:31]
	v_lshlrev_b64_e32 v[32:33], 4, v[28:29]
	v_add_nc_u32_e32 v28, 8, v48
	s_delay_alu instid0(VALU_DEP_3) | instskip(SKIP_1) | instid1(VALU_DEP_4)
	v_add_co_u32 v30, vcc_lo, s8, v30
	s_wait_alu 0xfffd
	v_add_co_ci_u32_e64 v31, null, s9, v31, vcc_lo
	s_delay_alu instid0(VALU_DEP_4)
	v_add_co_u32 v34, vcc_lo, s10, v32
	v_lshlrev_b64_e32 v[36:37], 4, v[28:29]
	v_add_nc_u32_e32 v28, 15, v48
	s_wait_alu 0xfffd
	v_add_co_ci_u32_e64 v35, null, s11, v33, vcc_lo
	global_load_b128 v[30:33], v[30:31], off
	global_load_b128 v[50:53], v[34:35], off
	v_lshlrev_b64_e32 v[34:35], 4, v[28:29]
	v_add_nc_u32_e32 v28, 22, v48
	v_add_co_u32 v36, vcc_lo, s8, v36
	s_wait_alu 0xfffd
	v_add_co_ci_u32_e64 v37, null, s9, v37, vcc_lo
	s_delay_alu instid0(VALU_DEP_3) | instskip(SKIP_3) | instid1(VALU_DEP_3)
	v_lshlrev_b64_e32 v[38:39], 4, v[28:29]
	v_add_co_u32 v34, vcc_lo, s8, v34
	s_wait_alu 0xfffd
	v_add_co_ci_u32_e64 v35, null, s9, v35, vcc_lo
	v_add_co_u32 v42, vcc_lo, s8, v38
	s_wait_alu 0xfffd
	v_add_co_ci_u32_e64 v43, null, s9, v39, vcc_lo
	s_clause 0x2
	global_load_b128 v[38:41], v[36:37], off
	global_load_b128 v[54:57], v[34:35], off
	;; [unrolled: 1-line block ×3, first 2 shown]
	s_wait_loadcnt 0x3
	v_fma_f64 v[34:35], v[30:31], v[50:51], v[14:15]
	v_fma_f64 v[42:43], v[32:33], v[50:51], v[12:13]
	s_wait_loadcnt 0x2
	v_fma_f64 v[44:45], v[38:39], v[50:51], v[24:25]
	v_fma_f64 v[62:63], v[40:41], v[50:51], v[26:27]
	;; [unrolled: 3-line block ×4, first 2 shown]
	v_fma_f64 v[36:37], -v[32:33], v[52:53], v[34:35]
	v_fma_f64 v[34:35], v[30:31], v[52:53], v[42:43]
	v_fma_f64 v[42:43], -v[40:41], v[52:53], v[44:45]
	v_fma_f64 v[44:45], v[38:39], v[52:53], v[62:63]
	v_fma_f64 v[38:39], -v[56:57], v[52:53], v[64:65]
	v_fma_f64 v[40:41], v[54:55], v[52:53], v[66:67]
	v_fma_f64 v[32:33], -v[60:61], v[52:53], v[68:69]
	v_fma_f64 v[30:31], v[58:59], v[52:53], v[50:51]
	s_branch .LBB136_19
.LBB136_22:
	s_or_b32 exec_lo, exec_lo, s2
.LBB136_23:
	s_wait_alu 0xfffe
	s_or_b32 exec_lo, exec_lo, s3
.LBB136_24:
	v_mbcnt_lo_u32_b32 v42, -1, 0
	s_delay_alu instid0(VALU_DEP_1) | instskip(NEXT) | instid1(VALU_DEP_1)
	v_xor_b32_e32 v10, 2, v42
	v_cmp_gt_i32_e32 vcc_lo, 32, v10
	s_wait_alu 0xfffd
	v_cndmask_b32_e32 v10, v42, v10, vcc_lo
	s_delay_alu instid0(VALU_DEP_1)
	v_lshlrev_b32_e32 v41, 2, v10
	ds_bpermute_b32 v10, v41, v14
	ds_bpermute_b32 v11, v41, v15
	;; [unrolled: 1-line block ×16, first 2 shown]
	s_wait_dscnt 0xe
	v_add_f64_e32 v[10:11], v[14:15], v[10:11]
	s_wait_dscnt 0xc
	v_add_f64_e32 v[28:29], v[12:13], v[28:29]
	;; [unrolled: 2-line block ×6, first 2 shown]
	v_xor_b32_e32 v22, 1, v42
	s_wait_dscnt 0x2
	v_add_f64_e32 v[16:17], v[16:17], v[38:39]
	s_wait_dscnt 0x0
	v_add_f64_e32 v[18:19], v[18:19], v[40:41]
	v_cmp_gt_i32_e32 vcc_lo, 32, v22
	s_wait_alu 0xfffd
	v_cndmask_b32_e32 v22, v42, v22, vcc_lo
	v_cmp_eq_u32_e32 vcc_lo, 3, v0
	s_delay_alu instid0(VALU_DEP_2)
	v_lshlrev_b32_e32 v33, 2, v22
	ds_bpermute_b32 v40, v33, v10
	ds_bpermute_b32 v41, v33, v11
	;; [unrolled: 1-line block ×16, first 2 shown]
	s_and_b32 exec_lo, exec_lo, vcc_lo
	s_cbranch_execz .LBB136_29
; %bb.25:
	v_cmp_eq_f64_e32 vcc_lo, 0, v[5:6]
	v_cmp_eq_f64_e64 s2, 0, v[7:8]
	s_wait_dscnt 0xe
	v_add_f64_e32 v[10:11], v[10:11], v[40:41]
	s_wait_dscnt 0xc
	v_add_f64_e32 v[24:25], v[28:29], v[24:25]
	;; [unrolled: 2-line block ×8, first 2 shown]
	s_load_b64 s[0:1], s[0:1], 0x48
	s_and_b32 s2, vcc_lo, s2
	s_wait_alu 0xfffe
	s_and_saveexec_b32 s3, s2
	s_wait_alu 0xfffe
	s_xor_b32 s2, exec_lo, s3
	s_cbranch_execz .LBB136_27
; %bb.26:
	v_mul_f64_e64 v[5:6], v[24:25], -v[3:4]
	v_mul_f64_e32 v[7:8], v[1:2], v[24:25]
	v_mul_f64_e64 v[24:25], v[22:23], -v[3:4]
	v_mul_f64_e32 v[22:23], v[1:2], v[22:23]
	;; [unrolled: 2-line block ×4, first 2 shown]
	v_fma_f64 v[5:6], v[1:2], v[10:11], v[5:6]
	v_fma_f64 v[7:8], v[3:4], v[10:11], v[7:8]
	;; [unrolled: 1-line block ×8, first 2 shown]
	v_lshlrev_b32_e32 v14, 2, v9
                                        ; implicit-def: $vgpr9
                                        ; implicit-def: $vgpr24_vgpr25
                                        ; implicit-def: $vgpr22_vgpr23
                                        ; implicit-def: $vgpr16_vgpr17
	s_delay_alu instid0(VALU_DEP_1) | instskip(NEXT) | instid1(VALU_DEP_1)
	v_ashrrev_i32_e32 v15, 31, v14
	v_lshlrev_b64_e32 v[14:15], 4, v[14:15]
	s_wait_kmcnt 0x0
	s_delay_alu instid0(VALU_DEP_1) | instskip(SKIP_1) | instid1(VALU_DEP_2)
	v_add_co_u32 v14, vcc_lo, s0, v14
	s_wait_alu 0xfffd
	v_add_co_ci_u32_e64 v15, null, s1, v15, vcc_lo
	s_clause 0x3
	global_store_b128 v[14:15], v[5:8], off
	global_store_b128 v[14:15], v[10:13], off offset:16
	global_store_b128 v[14:15], v[18:21], off offset:32
	;; [unrolled: 1-line block ×3, first 2 shown]
                                        ; implicit-def: $vgpr10_vgpr11
                                        ; implicit-def: $vgpr12_vgpr13
                                        ; implicit-def: $vgpr14_vgpr15
                                        ; implicit-def: $vgpr20_vgpr21
                                        ; implicit-def: $vgpr18_vgpr19
                                        ; implicit-def: $vgpr7_vgpr8
                                        ; implicit-def: $vgpr3_vgpr4
.LBB136_27:
	s_wait_alu 0xfffe
	s_and_not1_saveexec_b32 s2, s2
	s_cbranch_execz .LBB136_29
; %bb.28:
	v_lshlrev_b32_e32 v26, 2, v9
	v_mul_f64_e64 v[44:45], v[24:25], -v[3:4]
	v_mul_f64_e32 v[24:25], v[1:2], v[24:25]
	v_mul_f64_e64 v[46:47], v[22:23], -v[3:4]
	v_mul_f64_e32 v[22:23], v[1:2], v[22:23]
	v_ashrrev_i32_e32 v27, 31, v26
	v_mul_f64_e64 v[48:49], v[20:21], -v[3:4]
	v_mul_f64_e32 v[20:21], v[1:2], v[20:21]
	v_mul_f64_e64 v[50:51], v[18:19], -v[3:4]
	v_mul_f64_e32 v[18:19], v[1:2], v[18:19]
	v_lshlrev_b64_e32 v[26:27], 4, v[26:27]
	s_wait_kmcnt 0x0
	s_delay_alu instid0(VALU_DEP_1) | instskip(SKIP_1) | instid1(VALU_DEP_2)
	v_add_co_u32 v42, vcc_lo, s0, v26
	s_wait_alu 0xfffd
	v_add_co_ci_u32_e64 v43, null, s1, v27, vcc_lo
	s_clause 0x3
	global_load_b128 v[26:29], v[42:43], off
	global_load_b128 v[30:33], v[42:43], off offset:16
	global_load_b128 v[34:37], v[42:43], off offset:32
	;; [unrolled: 1-line block ×3, first 2 shown]
	v_fma_f64 v[44:45], v[1:2], v[10:11], v[44:45]
	v_fma_f64 v[9:10], v[3:4], v[10:11], v[24:25]
	;; [unrolled: 1-line block ×8, first 2 shown]
	s_wait_loadcnt 0x3
	v_fma_f64 v[15:16], v[5:6], v[26:27], v[44:45]
	v_fma_f64 v[9:10], v[7:8], v[26:27], v[9:10]
	s_wait_loadcnt 0x2
	v_fma_f64 v[17:18], v[5:6], v[30:31], v[24:25]
	v_fma_f64 v[11:12], v[7:8], v[30:31], v[11:12]
	;; [unrolled: 3-line block ×4, first 2 shown]
	v_fma_f64 v[0:1], -v[7:8], v[28:29], v[15:16]
	v_fma_f64 v[2:3], v[5:6], v[28:29], v[9:10]
	v_fma_f64 v[9:10], -v[7:8], v[32:33], v[17:18]
	v_fma_f64 v[11:12], v[5:6], v[32:33], v[11:12]
	;; [unrolled: 2-line block ×4, first 2 shown]
	s_clause 0x3
	global_store_b128 v[42:43], v[0:3], off
	global_store_b128 v[42:43], v[9:12], off offset:16
	global_store_b128 v[42:43], v[13:16], off offset:32
	;; [unrolled: 1-line block ×3, first 2 shown]
.LBB136_29:
	s_endpgm
	.section	.rodata,"a",@progbits
	.p2align	6, 0x0
	.amdhsa_kernel _ZN9rocsparseL19gebsrmvn_4xn_kernelILj128ELj7ELj4E21rocsparse_complex_numIdEEEvi20rocsparse_direction_NS_24const_host_device_scalarIT2_EEPKiS8_PKS5_SA_S6_PS5_21rocsparse_index_base_b
		.amdhsa_group_segment_fixed_size 0
		.amdhsa_private_segment_fixed_size 0
		.amdhsa_kernarg_size 88
		.amdhsa_user_sgpr_count 2
		.amdhsa_user_sgpr_dispatch_ptr 0
		.amdhsa_user_sgpr_queue_ptr 0
		.amdhsa_user_sgpr_kernarg_segment_ptr 1
		.amdhsa_user_sgpr_dispatch_id 0
		.amdhsa_user_sgpr_private_segment_size 0
		.amdhsa_wavefront_size32 1
		.amdhsa_uses_dynamic_stack 0
		.amdhsa_enable_private_segment 0
		.amdhsa_system_sgpr_workgroup_id_x 1
		.amdhsa_system_sgpr_workgroup_id_y 0
		.amdhsa_system_sgpr_workgroup_id_z 0
		.amdhsa_system_sgpr_workgroup_info 0
		.amdhsa_system_vgpr_workitem_id 0
		.amdhsa_next_free_vgpr 70
		.amdhsa_next_free_sgpr 14
		.amdhsa_reserve_vcc 1
		.amdhsa_float_round_mode_32 0
		.amdhsa_float_round_mode_16_64 0
		.amdhsa_float_denorm_mode_32 3
		.amdhsa_float_denorm_mode_16_64 3
		.amdhsa_fp16_overflow 0
		.amdhsa_workgroup_processor_mode 1
		.amdhsa_memory_ordered 1
		.amdhsa_forward_progress 1
		.amdhsa_inst_pref_size 28
		.amdhsa_round_robin_scheduling 0
		.amdhsa_exception_fp_ieee_invalid_op 0
		.amdhsa_exception_fp_denorm_src 0
		.amdhsa_exception_fp_ieee_div_zero 0
		.amdhsa_exception_fp_ieee_overflow 0
		.amdhsa_exception_fp_ieee_underflow 0
		.amdhsa_exception_fp_ieee_inexact 0
		.amdhsa_exception_int_div_zero 0
	.end_amdhsa_kernel
	.section	.text._ZN9rocsparseL19gebsrmvn_4xn_kernelILj128ELj7ELj4E21rocsparse_complex_numIdEEEvi20rocsparse_direction_NS_24const_host_device_scalarIT2_EEPKiS8_PKS5_SA_S6_PS5_21rocsparse_index_base_b,"axG",@progbits,_ZN9rocsparseL19gebsrmvn_4xn_kernelILj128ELj7ELj4E21rocsparse_complex_numIdEEEvi20rocsparse_direction_NS_24const_host_device_scalarIT2_EEPKiS8_PKS5_SA_S6_PS5_21rocsparse_index_base_b,comdat
.Lfunc_end136:
	.size	_ZN9rocsparseL19gebsrmvn_4xn_kernelILj128ELj7ELj4E21rocsparse_complex_numIdEEEvi20rocsparse_direction_NS_24const_host_device_scalarIT2_EEPKiS8_PKS5_SA_S6_PS5_21rocsparse_index_base_b, .Lfunc_end136-_ZN9rocsparseL19gebsrmvn_4xn_kernelILj128ELj7ELj4E21rocsparse_complex_numIdEEEvi20rocsparse_direction_NS_24const_host_device_scalarIT2_EEPKiS8_PKS5_SA_S6_PS5_21rocsparse_index_base_b
                                        ; -- End function
	.set _ZN9rocsparseL19gebsrmvn_4xn_kernelILj128ELj7ELj4E21rocsparse_complex_numIdEEEvi20rocsparse_direction_NS_24const_host_device_scalarIT2_EEPKiS8_PKS5_SA_S6_PS5_21rocsparse_index_base_b.num_vgpr, 70
	.set _ZN9rocsparseL19gebsrmvn_4xn_kernelILj128ELj7ELj4E21rocsparse_complex_numIdEEEvi20rocsparse_direction_NS_24const_host_device_scalarIT2_EEPKiS8_PKS5_SA_S6_PS5_21rocsparse_index_base_b.num_agpr, 0
	.set _ZN9rocsparseL19gebsrmvn_4xn_kernelILj128ELj7ELj4E21rocsparse_complex_numIdEEEvi20rocsparse_direction_NS_24const_host_device_scalarIT2_EEPKiS8_PKS5_SA_S6_PS5_21rocsparse_index_base_b.numbered_sgpr, 14
	.set _ZN9rocsparseL19gebsrmvn_4xn_kernelILj128ELj7ELj4E21rocsparse_complex_numIdEEEvi20rocsparse_direction_NS_24const_host_device_scalarIT2_EEPKiS8_PKS5_SA_S6_PS5_21rocsparse_index_base_b.num_named_barrier, 0
	.set _ZN9rocsparseL19gebsrmvn_4xn_kernelILj128ELj7ELj4E21rocsparse_complex_numIdEEEvi20rocsparse_direction_NS_24const_host_device_scalarIT2_EEPKiS8_PKS5_SA_S6_PS5_21rocsparse_index_base_b.private_seg_size, 0
	.set _ZN9rocsparseL19gebsrmvn_4xn_kernelILj128ELj7ELj4E21rocsparse_complex_numIdEEEvi20rocsparse_direction_NS_24const_host_device_scalarIT2_EEPKiS8_PKS5_SA_S6_PS5_21rocsparse_index_base_b.uses_vcc, 1
	.set _ZN9rocsparseL19gebsrmvn_4xn_kernelILj128ELj7ELj4E21rocsparse_complex_numIdEEEvi20rocsparse_direction_NS_24const_host_device_scalarIT2_EEPKiS8_PKS5_SA_S6_PS5_21rocsparse_index_base_b.uses_flat_scratch, 0
	.set _ZN9rocsparseL19gebsrmvn_4xn_kernelILj128ELj7ELj4E21rocsparse_complex_numIdEEEvi20rocsparse_direction_NS_24const_host_device_scalarIT2_EEPKiS8_PKS5_SA_S6_PS5_21rocsparse_index_base_b.has_dyn_sized_stack, 0
	.set _ZN9rocsparseL19gebsrmvn_4xn_kernelILj128ELj7ELj4E21rocsparse_complex_numIdEEEvi20rocsparse_direction_NS_24const_host_device_scalarIT2_EEPKiS8_PKS5_SA_S6_PS5_21rocsparse_index_base_b.has_recursion, 0
	.set _ZN9rocsparseL19gebsrmvn_4xn_kernelILj128ELj7ELj4E21rocsparse_complex_numIdEEEvi20rocsparse_direction_NS_24const_host_device_scalarIT2_EEPKiS8_PKS5_SA_S6_PS5_21rocsparse_index_base_b.has_indirect_call, 0
	.section	.AMDGPU.csdata,"",@progbits
; Kernel info:
; codeLenInByte = 3556
; TotalNumSgprs: 16
; NumVgprs: 70
; ScratchSize: 0
; MemoryBound: 0
; FloatMode: 240
; IeeeMode: 1
; LDSByteSize: 0 bytes/workgroup (compile time only)
; SGPRBlocks: 0
; VGPRBlocks: 8
; NumSGPRsForWavesPerEU: 16
; NumVGPRsForWavesPerEU: 70
; Occupancy: 16
; WaveLimiterHint : 1
; COMPUTE_PGM_RSRC2:SCRATCH_EN: 0
; COMPUTE_PGM_RSRC2:USER_SGPR: 2
; COMPUTE_PGM_RSRC2:TRAP_HANDLER: 0
; COMPUTE_PGM_RSRC2:TGID_X_EN: 1
; COMPUTE_PGM_RSRC2:TGID_Y_EN: 0
; COMPUTE_PGM_RSRC2:TGID_Z_EN: 0
; COMPUTE_PGM_RSRC2:TIDIG_COMP_CNT: 0
	.section	.text._ZN9rocsparseL19gebsrmvn_4xn_kernelILj128ELj7ELj8E21rocsparse_complex_numIdEEEvi20rocsparse_direction_NS_24const_host_device_scalarIT2_EEPKiS8_PKS5_SA_S6_PS5_21rocsparse_index_base_b,"axG",@progbits,_ZN9rocsparseL19gebsrmvn_4xn_kernelILj128ELj7ELj8E21rocsparse_complex_numIdEEEvi20rocsparse_direction_NS_24const_host_device_scalarIT2_EEPKiS8_PKS5_SA_S6_PS5_21rocsparse_index_base_b,comdat
	.globl	_ZN9rocsparseL19gebsrmvn_4xn_kernelILj128ELj7ELj8E21rocsparse_complex_numIdEEEvi20rocsparse_direction_NS_24const_host_device_scalarIT2_EEPKiS8_PKS5_SA_S6_PS5_21rocsparse_index_base_b ; -- Begin function _ZN9rocsparseL19gebsrmvn_4xn_kernelILj128ELj7ELj8E21rocsparse_complex_numIdEEEvi20rocsparse_direction_NS_24const_host_device_scalarIT2_EEPKiS8_PKS5_SA_S6_PS5_21rocsparse_index_base_b
	.p2align	8
	.type	_ZN9rocsparseL19gebsrmvn_4xn_kernelILj128ELj7ELj8E21rocsparse_complex_numIdEEEvi20rocsparse_direction_NS_24const_host_device_scalarIT2_EEPKiS8_PKS5_SA_S6_PS5_21rocsparse_index_base_b,@function
_ZN9rocsparseL19gebsrmvn_4xn_kernelILj128ELj7ELj8E21rocsparse_complex_numIdEEEvi20rocsparse_direction_NS_24const_host_device_scalarIT2_EEPKiS8_PKS5_SA_S6_PS5_21rocsparse_index_base_b: ; @_ZN9rocsparseL19gebsrmvn_4xn_kernelILj128ELj7ELj8E21rocsparse_complex_numIdEEEvi20rocsparse_direction_NS_24const_host_device_scalarIT2_EEPKiS8_PKS5_SA_S6_PS5_21rocsparse_index_base_b
; %bb.0:
	s_clause 0x1
	s_load_b64 s[12:13], s[0:1], 0x50
	s_load_b64 s[2:3], s[0:1], 0x8
	s_add_nc_u64 s[4:5], s[0:1], 8
	s_load_b64 s[6:7], s[0:1], 0x38
	s_wait_kmcnt 0x0
	s_bitcmp1_b32 s13, 0
	s_cselect_b32 s2, s4, s2
	s_cselect_b32 s3, s5, s3
	s_delay_alu instid0(SALU_CYCLE_1)
	v_dual_mov_b32 v1, s2 :: v_dual_mov_b32 v2, s3
	s_add_nc_u64 s[2:3], s[0:1], 56
	s_wait_alu 0xfffe
	s_cselect_b32 s2, s2, s6
	s_cselect_b32 s3, s3, s7
	flat_load_b128 v[1:4], v[1:2]
	s_wait_alu 0xfffe
	v_dual_mov_b32 v5, s2 :: v_dual_mov_b32 v6, s3
	flat_load_b128 v[5:8], v[5:6]
	s_wait_loadcnt_dscnt 0x101
	v_cmp_eq_f64_e32 vcc_lo, 0, v[1:2]
	v_cmp_eq_f64_e64 s2, 0, v[3:4]
	s_and_b32 s4, vcc_lo, s2
	s_mov_b32 s2, -1
	s_and_saveexec_b32 s3, s4
	s_cbranch_execz .LBB137_2
; %bb.1:
	s_wait_loadcnt_dscnt 0x0
	v_cmp_neq_f64_e32 vcc_lo, 1.0, v[5:6]
	v_cmp_neq_f64_e64 s2, 0, v[7:8]
	s_wait_alu 0xfffe
	s_or_b32 s2, vcc_lo, s2
	s_wait_alu 0xfffe
	s_or_not1_b32 s2, s2, exec_lo
.LBB137_2:
	s_wait_alu 0xfffe
	s_or_b32 exec_lo, exec_lo, s3
	s_and_saveexec_b32 s3, s2
	s_cbranch_execz .LBB137_29
; %bb.3:
	s_load_b64 s[2:3], s[0:1], 0x0
	v_lshrrev_b32_e32 v9, 3, v0
	s_delay_alu instid0(VALU_DEP_1) | instskip(SKIP_1) | instid1(VALU_DEP_1)
	v_lshl_or_b32 v9, ttmp9, 4, v9
	s_wait_kmcnt 0x0
	v_cmp_gt_i32_e32 vcc_lo, s2, v9
	s_and_b32 exec_lo, exec_lo, vcc_lo
	s_cbranch_execz .LBB137_29
; %bb.4:
	s_load_b256 s[4:11], s[0:1], 0x18
	v_ashrrev_i32_e32 v10, 31, v9
	v_and_b32_e32 v0, 7, v0
	s_cmp_lg_u32 s3, 0
	s_delay_alu instid0(VALU_DEP_2) | instskip(SKIP_1) | instid1(VALU_DEP_1)
	v_lshlrev_b64_e32 v[10:11], 2, v[9:10]
	s_wait_kmcnt 0x0
	v_add_co_u32 v10, vcc_lo, s4, v10
	s_delay_alu instid0(VALU_DEP_1) | instskip(SKIP_4) | instid1(VALU_DEP_2)
	v_add_co_ci_u32_e64 v11, null, s5, v11, vcc_lo
	global_load_b64 v[11:12], v[10:11], off
	s_wait_loadcnt 0x0
	v_subrev_nc_u32_e32 v10, s12, v11
	v_subrev_nc_u32_e32 v49, s12, v12
	v_add_nc_u32_e32 v10, v10, v0
	s_delay_alu instid0(VALU_DEP_1)
	v_cmp_lt_i32_e64 s2, v10, v49
	s_cbranch_scc0 .LBB137_12
; %bb.5:
	v_mov_b32_e32 v12, 0
	v_mov_b32_e32 v16, 0
	;; [unrolled: 1-line block ×3, first 2 shown]
	v_dual_mov_b32 v24, 0 :: v_dual_mov_b32 v13, 0
	v_dual_mov_b32 v14, 0 :: v_dual_mov_b32 v17, 0
	;; [unrolled: 1-line block ×5, first 2 shown]
	v_mov_b32_e32 v19, 0
	v_mov_b32_e32 v23, 0
	;; [unrolled: 1-line block ×3, first 2 shown]
	s_and_saveexec_b32 s3, s2
	s_cbranch_execz .LBB137_14
; %bb.6:
	v_dual_mov_b32 v12, 0 :: v_dual_mov_b32 v29, 0
	v_dual_mov_b32 v13, 0 :: v_dual_mov_b32 v14, 0
	;; [unrolled: 1-line block ×5, first 2 shown]
	v_mul_lo_u32 v50, v10, 28
	v_dual_mov_b32 v21, 0 :: v_dual_mov_b32 v22, 0
	v_dual_mov_b32 v23, 0 :: v_dual_mov_b32 v24, 0
	;; [unrolled: 1-line block ×4, first 2 shown]
	s_mov_b32 s4, 0
	s_branch .LBB137_8
.LBB137_7:                              ;   in Loop: Header=BB137_8 Depth=1
	v_add_nc_u32_e32 v30, 8, v30
	v_add_nc_u32_e32 v50, 0xe0, v50
	s_delay_alu instid0(VALU_DEP_2)
	v_cmp_ge_i32_e32 vcc_lo, v30, v49
	s_or_b32 s4, vcc_lo, s4
	s_wait_alu 0xfffe
	s_and_not1_b32 exec_lo, exec_lo, s4
	s_cbranch_execz .LBB137_13
.LBB137_8:                              ; =>This Loop Header: Depth=1
                                        ;     Child Loop BB137_10 Depth 2
	s_delay_alu instid0(VALU_DEP_1)
	v_ashrrev_i32_e32 v31, 31, v30
	v_mov_b32_e32 v42, v13
	v_mov_b32_e32 v46, v15
	;; [unrolled: 1-line block ×4, first 2 shown]
	v_lshlrev_b64_e32 v[31:32], 2, v[30:31]
	v_mov_b32_e32 v44, v25
	v_mov_b32_e32 v40, v27
	v_dual_mov_b32 v28, v50 :: v_dual_mov_b32 v41, v12
	v_mov_b32_e32 v45, v14
	v_add_co_u32 v31, vcc_lo, s6, v31
	s_wait_alu 0xfffd
	v_add_co_ci_u32_e64 v32, null, s7, v32, vcc_lo
	v_mov_b32_e32 v33, v16
	v_mov_b32_e32 v39, v26
	s_mov_b32 s5, 0
	global_load_b32 v31, v[31:32], off
	v_mov_b32_e32 v37, v20
	v_mov_b32_e32 v43, v24
	s_wait_loadcnt 0x0
	v_subrev_nc_u32_e32 v35, s12, v31
	v_dual_mov_b32 v32, v19 :: v_dual_mov_b32 v31, v18
	s_delay_alu instid0(VALU_DEP_2)
	v_mul_lo_u32 v51, v35, 7
	v_dual_mov_b32 v36, v23 :: v_dual_mov_b32 v35, v22
	s_branch .LBB137_10
.LBB137_9:                              ;   in Loop: Header=BB137_8 Depth=1
                                        ; implicit-def: $vgpr39_vgpr40
                                        ; implicit-def: $vgpr43_vgpr44
                                        ; implicit-def: $vgpr35_vgpr36
                                        ; implicit-def: $vgpr37_vgpr38
                                        ; implicit-def: $vgpr31_vgpr32
                                        ; implicit-def: $vgpr33_vgpr34
                                        ; implicit-def: $vgpr45_vgpr46
                                        ; implicit-def: $vgpr41_vgpr42
                                        ; implicit-def: $sgpr5
	s_branch .LBB137_7
.LBB137_10:                             ;   Parent Loop BB137_8 Depth=1
                                        ; =>  This Inner Loop Header: Depth=2
	s_wait_alu 0xfffe
	s_delay_alu instid0(VALU_DEP_2) | instskip(SKIP_2) | instid1(VALU_DEP_2)
	v_dual_mov_b32 v48, v29 :: v_dual_add_nc_u32 v47, s5, v51
	v_lshlrev_b64_e32 v[14:15], 4, v[28:29]
	s_cmp_eq_u32 s5, 6
	v_lshlrev_b64_e32 v[12:13], 4, v[47:48]
	s_delay_alu instid0(VALU_DEP_1) | instskip(SKIP_1) | instid1(VALU_DEP_2)
	v_add_co_u32 v12, vcc_lo, s10, v12
	s_wait_alu 0xfffd
	v_add_co_ci_u32_e64 v13, null, s11, v13, vcc_lo
	v_add_co_u32 v24, vcc_lo, s8, v14
	s_wait_alu 0xfffd
	v_add_co_ci_u32_e64 v25, null, s9, v15, vcc_lo
	global_load_b128 v[16:19], v[12:13], off
	s_clause 0x3
	global_load_b128 v[12:15], v[24:25], off
	global_load_b128 v[20:23], v[24:25], off offset:16
	global_load_b128 v[52:55], v[24:25], off offset:32
	;; [unrolled: 1-line block ×3, first 2 shown]
	s_wait_loadcnt 0x3
	v_fma_f64 v[24:25], v[12:13], v[16:17], v[45:46]
	v_fma_f64 v[26:27], v[14:15], v[16:17], v[41:42]
	s_wait_loadcnt 0x2
	v_fma_f64 v[41:42], v[20:21], v[16:17], v[43:44]
	v_fma_f64 v[39:40], v[22:23], v[16:17], v[39:40]
	;; [unrolled: 3-line block ×4, first 2 shown]
	v_fma_f64 v[14:15], -v[14:15], v[18:19], v[24:25]
	v_fma_f64 v[12:13], v[12:13], v[18:19], v[26:27]
	v_fma_f64 v[24:25], -v[22:23], v[18:19], v[41:42]
	v_fma_f64 v[26:27], v[20:21], v[18:19], v[39:40]
	;; [unrolled: 2-line block ×4, first 2 shown]
	s_cbranch_scc1 .LBB137_9
; %bb.11:                               ;   in Loop: Header=BB137_10 Depth=2
	v_dual_mov_b32 v32, v29 :: v_dual_add_nc_u32 v31, 1, v47
	v_dual_mov_b32 v34, v29 :: v_dual_add_nc_u32 v33, 4, v28
	v_add_nc_u32_e32 v28, 8, v28
	s_add_co_i32 s5, s5, 2
	s_delay_alu instid0(VALU_DEP_3) | instskip(NEXT) | instid1(VALU_DEP_3)
	v_lshlrev_b64_e32 v[31:32], 4, v[31:32]
	v_lshlrev_b64_e32 v[33:34], 4, v[33:34]
	s_delay_alu instid0(VALU_DEP_2) | instskip(SKIP_1) | instid1(VALU_DEP_3)
	v_add_co_u32 v31, vcc_lo, s10, v31
	s_wait_alu 0xfffd
	v_add_co_ci_u32_e64 v32, null, s11, v32, vcc_lo
	s_delay_alu instid0(VALU_DEP_3)
	v_add_co_u32 v39, vcc_lo, s8, v33
	s_wait_alu 0xfffd
	v_add_co_ci_u32_e64 v40, null, s9, v34, vcc_lo
	global_load_b128 v[45:48], v[31:32], off
	s_clause 0x3
	global_load_b128 v[31:34], v[39:40], off
	global_load_b128 v[35:38], v[39:40], off offset:16
	global_load_b128 v[52:55], v[39:40], off offset:32
	;; [unrolled: 1-line block ×3, first 2 shown]
	s_wait_loadcnt 0x3
	v_fma_f64 v[39:40], v[31:32], v[45:46], v[14:15]
	v_fma_f64 v[41:42], v[33:34], v[45:46], v[12:13]
	s_wait_loadcnt 0x2
	v_fma_f64 v[43:44], v[35:36], v[45:46], v[24:25]
	v_fma_f64 v[60:61], v[37:38], v[45:46], v[26:27]
	;; [unrolled: 3-line block ×4, first 2 shown]
	v_fma_f64 v[45:46], -v[33:34], v[47:48], v[39:40]
	v_fma_f64 v[41:42], v[31:32], v[47:48], v[41:42]
	v_fma_f64 v[43:44], -v[37:38], v[47:48], v[43:44]
	v_fma_f64 v[39:40], v[35:36], v[47:48], v[60:61]
	;; [unrolled: 2-line block ×4, first 2 shown]
	s_cbranch_execnz .LBB137_10
	s_branch .LBB137_7
.LBB137_12:
                                        ; implicit-def: $vgpr12_vgpr13
                                        ; implicit-def: $vgpr14_vgpr15
                                        ; implicit-def: $vgpr16_vgpr17
                                        ; implicit-def: $vgpr18_vgpr19
                                        ; implicit-def: $vgpr20_vgpr21
                                        ; implicit-def: $vgpr22_vgpr23
                                        ; implicit-def: $vgpr24_vgpr25
                                        ; implicit-def: $vgpr26_vgpr27
	s_branch .LBB137_15
.LBB137_13:
	s_or_b32 exec_lo, exec_lo, s4
.LBB137_14:
	s_wait_alu 0xfffe
	s_or_b32 exec_lo, exec_lo, s3
	s_cbranch_execnz .LBB137_24
.LBB137_15:
	v_mov_b32_e32 v12, 0
	v_mov_b32_e32 v16, 0
	;; [unrolled: 1-line block ×3, first 2 shown]
	v_dual_mov_b32 v24, 0 :: v_dual_mov_b32 v13, 0
	v_dual_mov_b32 v14, 0 :: v_dual_mov_b32 v17, 0
	;; [unrolled: 1-line block ×5, first 2 shown]
	v_mov_b32_e32 v19, 0
	v_mov_b32_e32 v23, 0
	;; [unrolled: 1-line block ×3, first 2 shown]
	s_and_saveexec_b32 s3, s2
	s_cbranch_execz .LBB137_23
; %bb.16:
	v_mul_lo_u32 v11, v11, 28
	v_mul_lo_u32 v46, v10, 28
	s_mul_i32 s2, s12, 28
	v_mov_b32_e32 v12, 0
	v_mov_b32_e32 v16, 0
	;; [unrolled: 1-line block ×3, first 2 shown]
	v_dual_mov_b32 v24, 0 :: v_dual_mov_b32 v13, 0
	v_mov_b32_e32 v14, 0
	v_mad_u32_u24 v11, v0, 28, v11
	v_dual_mov_b32 v17, 0 :: v_dual_mov_b32 v18, 0
	v_dual_mov_b32 v21, 0 :: v_dual_mov_b32 v22, 0
	;; [unrolled: 1-line block ×3, first 2 shown]
	v_mov_b32_e32 v15, 0
	v_mov_b32_e32 v19, 0
	;; [unrolled: 1-line block ×4, first 2 shown]
	s_wait_alu 0xfffe
	v_subrev_nc_u32_e32 v47, s2, v11
	v_mov_b32_e32 v29, 0
	s_mov_b32 s2, 0
	s_branch .LBB137_18
.LBB137_17:                             ;   in Loop: Header=BB137_18 Depth=1
	v_add_nc_u32_e32 v10, 8, v10
	v_add_nc_u32_e32 v46, 0xe0, v46
	;; [unrolled: 1-line block ×3, first 2 shown]
	s_delay_alu instid0(VALU_DEP_3)
	v_cmp_ge_i32_e32 vcc_lo, v10, v49
	s_or_b32 s2, vcc_lo, s2
	s_wait_alu 0xfffe
	s_and_not1_b32 exec_lo, exec_lo, s2
	s_cbranch_execz .LBB137_22
.LBB137_18:                             ; =>This Loop Header: Depth=1
                                        ;     Child Loop BB137_20 Depth 2
	v_ashrrev_i32_e32 v11, 31, v10
	v_dual_mov_b32 v35, v13 :: v_dual_mov_b32 v34, v12
	v_dual_mov_b32 v37, v15 :: v_dual_mov_b32 v36, v14
	s_delay_alu instid0(VALU_DEP_3) | instskip(SKIP_3) | instid1(VALU_DEP_4)
	v_lshlrev_b64_e32 v[30:31], 2, v[10:11]
	v_dual_mov_b32 v33, v17 :: v_dual_mov_b32 v32, v16
	v_dual_mov_b32 v39, v21 :: v_dual_mov_b32 v38, v20
	;; [unrolled: 1-line block ×3, first 2 shown]
	v_add_co_u32 v30, vcc_lo, s6, v30
	s_wait_alu 0xfffd
	v_add_co_ci_u32_e64 v31, null, s7, v31, vcc_lo
	v_dual_mov_b32 v43, v25 :: v_dual_mov_b32 v42, v24
	v_dual_mov_b32 v45, v27 :: v_dual_mov_b32 v44, v26
	global_load_b32 v11, v[30:31], off
	v_dual_mov_b32 v31, v19 :: v_dual_mov_b32 v30, v18
	s_mov_b32 s4, 0
	s_wait_loadcnt 0x0
	v_subrev_nc_u32_e32 v11, s12, v11
	s_delay_alu instid0(VALU_DEP_1)
	v_mul_lo_u32 v11, v11, 7
	s_branch .LBB137_20
.LBB137_19:                             ;   in Loop: Header=BB137_20 Depth=2
	s_wait_alu 0xfffe
	s_and_not1_b32 vcc_lo, exec_lo, s5
	s_wait_alu 0xfffe
	s_cbranch_vccz .LBB137_17
.LBB137_20:                             ;   Parent Loop BB137_18 Depth=1
                                        ; =>  This Inner Loop Header: Depth=2
	s_wait_alu 0xfffe
	v_dual_mov_b32 v15, v29 :: v_dual_add_nc_u32 v28, s4, v47
	v_dual_mov_b32 v17, v29 :: v_dual_add_nc_u32 v48, s4, v46
	s_cmp_eq_u32 s4, 6
	s_delay_alu instid0(VALU_DEP_2) | instskip(NEXT) | instid1(VALU_DEP_4)
	v_lshlrev_b64_e32 v[12:13], 4, v[28:29]
	v_dual_mov_b32 v21, v29 :: v_dual_add_nc_u32 v28, s4, v11
	s_delay_alu instid0(VALU_DEP_3) | instskip(SKIP_2) | instid1(VALU_DEP_4)
	v_add_nc_u32_e32 v14, 7, v48
	v_add_nc_u32_e32 v16, 14, v48
	;; [unrolled: 1-line block ×3, first 2 shown]
	v_lshlrev_b64_e32 v[18:19], 4, v[28:29]
	v_add_co_u32 v12, vcc_lo, s8, v12
	v_lshlrev_b64_e32 v[22:23], 4, v[14:15]
	v_lshlrev_b64_e32 v[24:25], 4, v[16:17]
	s_wait_alu 0xfffd
	v_add_co_ci_u32_e64 v13, null, s9, v13, vcc_lo
	v_add_co_u32 v18, vcc_lo, s10, v18
	v_lshlrev_b64_e32 v[20:21], 4, v[20:21]
	s_wait_alu 0xfffd
	v_add_co_ci_u32_e64 v19, null, s11, v19, vcc_lo
	v_add_co_u32 v22, vcc_lo, s8, v22
	s_wait_alu 0xfffd
	v_add_co_ci_u32_e64 v23, null, s9, v23, vcc_lo
	v_add_co_u32 v24, vcc_lo, s8, v24
	;; [unrolled: 3-line block ×3, first 2 shown]
	s_wait_alu 0xfffd
	v_add_co_ci_u32_e64 v27, null, s9, v21, vcc_lo
	global_load_b128 v[12:15], v[12:13], off
	global_load_b128 v[16:19], v[18:19], off
	s_clause 0x2
	global_load_b128 v[20:23], v[22:23], off
	global_load_b128 v[50:53], v[24:25], off
	;; [unrolled: 1-line block ×3, first 2 shown]
	s_mov_b32 s5, -1
	s_wait_loadcnt 0x3
	v_fma_f64 v[24:25], v[12:13], v[16:17], v[36:37]
	v_fma_f64 v[26:27], v[14:15], v[16:17], v[34:35]
	s_wait_loadcnt 0x2
	v_fma_f64 v[34:35], v[20:21], v[16:17], v[42:43]
	v_fma_f64 v[36:37], v[22:23], v[16:17], v[44:45]
	s_wait_loadcnt 0x1
	v_fma_f64 v[38:39], v[50:51], v[16:17], v[38:39]
	v_fma_f64 v[40:41], v[52:53], v[16:17], v[40:41]
	s_wait_loadcnt 0x0
	v_fma_f64 v[32:33], v[54:55], v[16:17], v[32:33]
	v_fma_f64 v[30:31], v[56:57], v[16:17], v[30:31]
                                        ; implicit-def: $vgpr44_vgpr45
                                        ; implicit-def: $vgpr42_vgpr43
	v_fma_f64 v[14:15], -v[14:15], v[18:19], v[24:25]
	v_fma_f64 v[12:13], v[12:13], v[18:19], v[26:27]
	v_fma_f64 v[24:25], -v[22:23], v[18:19], v[34:35]
	v_fma_f64 v[26:27], v[20:21], v[18:19], v[36:37]
	;; [unrolled: 2-line block ×4, first 2 shown]
                                        ; implicit-def: $vgpr40_vgpr41
                                        ; implicit-def: $vgpr38_vgpr39
                                        ; implicit-def: $vgpr30_vgpr31
                                        ; implicit-def: $vgpr32_vgpr33
                                        ; implicit-def: $vgpr36_vgpr37
                                        ; implicit-def: $vgpr34_vgpr35
	s_cbranch_scc1 .LBB137_19
; %bb.21:                               ;   in Loop: Header=BB137_20 Depth=2
	v_dual_mov_b32 v31, v29 :: v_dual_add_nc_u32 v30, 1, v48
	v_add_nc_u32_e32 v28, 1, v28
	s_add_co_i32 s4, s4, 2
	s_mov_b32 s5, 0
	s_delay_alu instid0(VALU_DEP_2) | instskip(NEXT) | instid1(VALU_DEP_2)
	v_lshlrev_b64_e32 v[30:31], 4, v[30:31]
	v_lshlrev_b64_e32 v[32:33], 4, v[28:29]
	v_add_nc_u32_e32 v28, 8, v48
	s_delay_alu instid0(VALU_DEP_3) | instskip(SKIP_1) | instid1(VALU_DEP_4)
	v_add_co_u32 v30, vcc_lo, s8, v30
	s_wait_alu 0xfffd
	v_add_co_ci_u32_e64 v31, null, s9, v31, vcc_lo
	s_delay_alu instid0(VALU_DEP_4)
	v_add_co_u32 v34, vcc_lo, s10, v32
	v_lshlrev_b64_e32 v[36:37], 4, v[28:29]
	v_add_nc_u32_e32 v28, 15, v48
	s_wait_alu 0xfffd
	v_add_co_ci_u32_e64 v35, null, s11, v33, vcc_lo
	global_load_b128 v[30:33], v[30:31], off
	global_load_b128 v[50:53], v[34:35], off
	v_lshlrev_b64_e32 v[34:35], 4, v[28:29]
	v_add_nc_u32_e32 v28, 22, v48
	v_add_co_u32 v36, vcc_lo, s8, v36
	s_wait_alu 0xfffd
	v_add_co_ci_u32_e64 v37, null, s9, v37, vcc_lo
	s_delay_alu instid0(VALU_DEP_3) | instskip(SKIP_3) | instid1(VALU_DEP_3)
	v_lshlrev_b64_e32 v[38:39], 4, v[28:29]
	v_add_co_u32 v34, vcc_lo, s8, v34
	s_wait_alu 0xfffd
	v_add_co_ci_u32_e64 v35, null, s9, v35, vcc_lo
	v_add_co_u32 v42, vcc_lo, s8, v38
	s_wait_alu 0xfffd
	v_add_co_ci_u32_e64 v43, null, s9, v39, vcc_lo
	s_clause 0x2
	global_load_b128 v[38:41], v[36:37], off
	global_load_b128 v[54:57], v[34:35], off
	;; [unrolled: 1-line block ×3, first 2 shown]
	s_wait_loadcnt 0x3
	v_fma_f64 v[34:35], v[30:31], v[50:51], v[14:15]
	v_fma_f64 v[42:43], v[32:33], v[50:51], v[12:13]
	s_wait_loadcnt 0x2
	v_fma_f64 v[44:45], v[38:39], v[50:51], v[24:25]
	v_fma_f64 v[62:63], v[40:41], v[50:51], v[26:27]
	;; [unrolled: 3-line block ×4, first 2 shown]
	v_fma_f64 v[36:37], -v[32:33], v[52:53], v[34:35]
	v_fma_f64 v[34:35], v[30:31], v[52:53], v[42:43]
	v_fma_f64 v[42:43], -v[40:41], v[52:53], v[44:45]
	v_fma_f64 v[44:45], v[38:39], v[52:53], v[62:63]
	;; [unrolled: 2-line block ×4, first 2 shown]
	s_branch .LBB137_19
.LBB137_22:
	s_or_b32 exec_lo, exec_lo, s2
.LBB137_23:
	s_wait_alu 0xfffe
	s_or_b32 exec_lo, exec_lo, s3
.LBB137_24:
	v_mbcnt_lo_u32_b32 v42, -1, 0
	s_delay_alu instid0(VALU_DEP_1) | instskip(NEXT) | instid1(VALU_DEP_1)
	v_xor_b32_e32 v10, 4, v42
	v_cmp_gt_i32_e32 vcc_lo, 32, v10
	s_wait_alu 0xfffd
	v_cndmask_b32_e32 v10, v42, v10, vcc_lo
	s_delay_alu instid0(VALU_DEP_1)
	v_lshlrev_b32_e32 v41, 2, v10
	ds_bpermute_b32 v10, v41, v14
	ds_bpermute_b32 v11, v41, v15
	;; [unrolled: 1-line block ×16, first 2 shown]
	s_wait_dscnt 0xe
	v_add_f64_e32 v[10:11], v[14:15], v[10:11]
	s_wait_dscnt 0xc
	v_add_f64_e32 v[12:13], v[12:13], v[28:29]
	;; [unrolled: 2-line block ×6, first 2 shown]
	v_xor_b32_e32 v22, 2, v42
	s_wait_dscnt 0x2
	v_add_f64_e32 v[16:17], v[16:17], v[38:39]
	s_wait_dscnt 0x0
	v_add_f64_e32 v[18:19], v[18:19], v[40:41]
	v_cmp_gt_i32_e32 vcc_lo, 32, v22
	s_wait_alu 0xfffd
	v_cndmask_b32_e32 v22, v42, v22, vcc_lo
	s_delay_alu instid0(VALU_DEP_1)
	v_lshlrev_b32_e32 v41, 2, v22
	ds_bpermute_b32 v22, v41, v10
	ds_bpermute_b32 v23, v41, v11
	;; [unrolled: 1-line block ×16, first 2 shown]
	s_wait_dscnt 0xe
	v_add_f64_e32 v[10:11], v[10:11], v[22:23]
	s_wait_dscnt 0xc
	v_add_f64_e32 v[24:25], v[12:13], v[24:25]
	;; [unrolled: 2-line block ×4, first 2 shown]
	v_xor_b32_e32 v26, 1, v42
	s_wait_dscnt 0x6
	v_add_f64_e32 v[14:15], v[20:21], v[34:35]
	s_wait_dscnt 0x4
	v_add_f64_e32 v[20:21], v[28:29], v[36:37]
	;; [unrolled: 2-line block ×3, first 2 shown]
	v_cmp_gt_i32_e32 vcc_lo, 32, v26
	s_wait_dscnt 0x0
	v_add_f64_e32 v[18:19], v[18:19], v[40:41]
	s_wait_alu 0xfffd
	v_cndmask_b32_e32 v26, v42, v26, vcc_lo
	v_cmp_eq_u32_e32 vcc_lo, 7, v0
	s_delay_alu instid0(VALU_DEP_2)
	v_lshlrev_b32_e32 v29, 2, v26
	ds_bpermute_b32 v40, v29, v10
	ds_bpermute_b32 v41, v29, v11
	;; [unrolled: 1-line block ×16, first 2 shown]
	s_and_b32 exec_lo, exec_lo, vcc_lo
	s_cbranch_execz .LBB137_29
; %bb.25:
	v_cmp_eq_f64_e32 vcc_lo, 0, v[5:6]
	v_cmp_eq_f64_e64 s2, 0, v[7:8]
	s_wait_dscnt 0xe
	v_add_f64_e32 v[10:11], v[10:11], v[40:41]
	s_wait_dscnt 0xc
	v_add_f64_e32 v[24:25], v[24:25], v[38:39]
	;; [unrolled: 2-line block ×8, first 2 shown]
	s_load_b64 s[0:1], s[0:1], 0x48
	s_and_b32 s2, vcc_lo, s2
	s_wait_alu 0xfffe
	s_and_saveexec_b32 s3, s2
	s_wait_alu 0xfffe
	s_xor_b32 s2, exec_lo, s3
	s_cbranch_execz .LBB137_27
; %bb.26:
	v_mul_f64_e64 v[5:6], v[24:25], -v[3:4]
	v_mul_f64_e32 v[7:8], v[1:2], v[24:25]
	v_mul_f64_e64 v[24:25], v[22:23], -v[3:4]
	v_mul_f64_e32 v[22:23], v[1:2], v[22:23]
	;; [unrolled: 2-line block ×4, first 2 shown]
	v_fma_f64 v[5:6], v[1:2], v[10:11], v[5:6]
	v_fma_f64 v[7:8], v[3:4], v[10:11], v[7:8]
	;; [unrolled: 1-line block ×8, first 2 shown]
	v_lshlrev_b32_e32 v14, 2, v9
                                        ; implicit-def: $vgpr9
                                        ; implicit-def: $vgpr24_vgpr25
                                        ; implicit-def: $vgpr22_vgpr23
                                        ; implicit-def: $vgpr16_vgpr17
	s_delay_alu instid0(VALU_DEP_1) | instskip(NEXT) | instid1(VALU_DEP_1)
	v_ashrrev_i32_e32 v15, 31, v14
	v_lshlrev_b64_e32 v[14:15], 4, v[14:15]
	s_wait_kmcnt 0x0
	s_delay_alu instid0(VALU_DEP_1) | instskip(SKIP_1) | instid1(VALU_DEP_2)
	v_add_co_u32 v14, vcc_lo, s0, v14
	s_wait_alu 0xfffd
	v_add_co_ci_u32_e64 v15, null, s1, v15, vcc_lo
	s_clause 0x3
	global_store_b128 v[14:15], v[5:8], off
	global_store_b128 v[14:15], v[10:13], off offset:16
	global_store_b128 v[14:15], v[18:21], off offset:32
	;; [unrolled: 1-line block ×3, first 2 shown]
                                        ; implicit-def: $vgpr10_vgpr11
                                        ; implicit-def: $vgpr12_vgpr13
                                        ; implicit-def: $vgpr14_vgpr15
                                        ; implicit-def: $vgpr20_vgpr21
                                        ; implicit-def: $vgpr18_vgpr19
                                        ; implicit-def: $vgpr7_vgpr8
                                        ; implicit-def: $vgpr3_vgpr4
.LBB137_27:
	s_wait_alu 0xfffe
	s_and_not1_saveexec_b32 s2, s2
	s_cbranch_execz .LBB137_29
; %bb.28:
	v_lshlrev_b32_e32 v26, 2, v9
	v_mul_f64_e64 v[44:45], v[24:25], -v[3:4]
	v_mul_f64_e32 v[24:25], v[1:2], v[24:25]
	v_mul_f64_e64 v[46:47], v[22:23], -v[3:4]
	v_mul_f64_e32 v[22:23], v[1:2], v[22:23]
	v_ashrrev_i32_e32 v27, 31, v26
	v_mul_f64_e64 v[48:49], v[20:21], -v[3:4]
	v_mul_f64_e32 v[20:21], v[1:2], v[20:21]
	v_mul_f64_e64 v[50:51], v[18:19], -v[3:4]
	v_mul_f64_e32 v[18:19], v[1:2], v[18:19]
	v_lshlrev_b64_e32 v[26:27], 4, v[26:27]
	s_wait_kmcnt 0x0
	s_delay_alu instid0(VALU_DEP_1) | instskip(SKIP_1) | instid1(VALU_DEP_2)
	v_add_co_u32 v42, vcc_lo, s0, v26
	s_wait_alu 0xfffd
	v_add_co_ci_u32_e64 v43, null, s1, v27, vcc_lo
	s_clause 0x3
	global_load_b128 v[26:29], v[42:43], off
	global_load_b128 v[30:33], v[42:43], off offset:16
	global_load_b128 v[34:37], v[42:43], off offset:32
	;; [unrolled: 1-line block ×3, first 2 shown]
	v_fma_f64 v[44:45], v[1:2], v[10:11], v[44:45]
	v_fma_f64 v[9:10], v[3:4], v[10:11], v[24:25]
	v_fma_f64 v[24:25], v[1:2], v[12:13], v[46:47]
	v_fma_f64 v[11:12], v[3:4], v[12:13], v[22:23]
	v_fma_f64 v[22:23], v[1:2], v[14:15], v[48:49]
	v_fma_f64 v[13:14], v[3:4], v[14:15], v[20:21]
	v_fma_f64 v[0:1], v[1:2], v[16:17], v[50:51]
	v_fma_f64 v[2:3], v[3:4], v[16:17], v[18:19]
	s_wait_loadcnt 0x3
	v_fma_f64 v[15:16], v[5:6], v[26:27], v[44:45]
	v_fma_f64 v[9:10], v[7:8], v[26:27], v[9:10]
	s_wait_loadcnt 0x2
	v_fma_f64 v[17:18], v[5:6], v[30:31], v[24:25]
	v_fma_f64 v[11:12], v[7:8], v[30:31], v[11:12]
	;; [unrolled: 3-line block ×4, first 2 shown]
	v_fma_f64 v[0:1], -v[7:8], v[28:29], v[15:16]
	v_fma_f64 v[2:3], v[5:6], v[28:29], v[9:10]
	v_fma_f64 v[9:10], -v[7:8], v[32:33], v[17:18]
	v_fma_f64 v[11:12], v[5:6], v[32:33], v[11:12]
	;; [unrolled: 2-line block ×4, first 2 shown]
	s_clause 0x3
	global_store_b128 v[42:43], v[0:3], off
	global_store_b128 v[42:43], v[9:12], off offset:16
	global_store_b128 v[42:43], v[13:16], off offset:32
	;; [unrolled: 1-line block ×3, first 2 shown]
.LBB137_29:
	s_endpgm
	.section	.rodata,"a",@progbits
	.p2align	6, 0x0
	.amdhsa_kernel _ZN9rocsparseL19gebsrmvn_4xn_kernelILj128ELj7ELj8E21rocsparse_complex_numIdEEEvi20rocsparse_direction_NS_24const_host_device_scalarIT2_EEPKiS8_PKS5_SA_S6_PS5_21rocsparse_index_base_b
		.amdhsa_group_segment_fixed_size 0
		.amdhsa_private_segment_fixed_size 0
		.amdhsa_kernarg_size 88
		.amdhsa_user_sgpr_count 2
		.amdhsa_user_sgpr_dispatch_ptr 0
		.amdhsa_user_sgpr_queue_ptr 0
		.amdhsa_user_sgpr_kernarg_segment_ptr 1
		.amdhsa_user_sgpr_dispatch_id 0
		.amdhsa_user_sgpr_private_segment_size 0
		.amdhsa_wavefront_size32 1
		.amdhsa_uses_dynamic_stack 0
		.amdhsa_enable_private_segment 0
		.amdhsa_system_sgpr_workgroup_id_x 1
		.amdhsa_system_sgpr_workgroup_id_y 0
		.amdhsa_system_sgpr_workgroup_id_z 0
		.amdhsa_system_sgpr_workgroup_info 0
		.amdhsa_system_vgpr_workitem_id 0
		.amdhsa_next_free_vgpr 70
		.amdhsa_next_free_sgpr 14
		.amdhsa_reserve_vcc 1
		.amdhsa_float_round_mode_32 0
		.amdhsa_float_round_mode_16_64 0
		.amdhsa_float_denorm_mode_32 3
		.amdhsa_float_denorm_mode_16_64 3
		.amdhsa_fp16_overflow 0
		.amdhsa_workgroup_processor_mode 1
		.amdhsa_memory_ordered 1
		.amdhsa_forward_progress 1
		.amdhsa_inst_pref_size 30
		.amdhsa_round_robin_scheduling 0
		.amdhsa_exception_fp_ieee_invalid_op 0
		.amdhsa_exception_fp_denorm_src 0
		.amdhsa_exception_fp_ieee_div_zero 0
		.amdhsa_exception_fp_ieee_overflow 0
		.amdhsa_exception_fp_ieee_underflow 0
		.amdhsa_exception_fp_ieee_inexact 0
		.amdhsa_exception_int_div_zero 0
	.end_amdhsa_kernel
	.section	.text._ZN9rocsparseL19gebsrmvn_4xn_kernelILj128ELj7ELj8E21rocsparse_complex_numIdEEEvi20rocsparse_direction_NS_24const_host_device_scalarIT2_EEPKiS8_PKS5_SA_S6_PS5_21rocsparse_index_base_b,"axG",@progbits,_ZN9rocsparseL19gebsrmvn_4xn_kernelILj128ELj7ELj8E21rocsparse_complex_numIdEEEvi20rocsparse_direction_NS_24const_host_device_scalarIT2_EEPKiS8_PKS5_SA_S6_PS5_21rocsparse_index_base_b,comdat
.Lfunc_end137:
	.size	_ZN9rocsparseL19gebsrmvn_4xn_kernelILj128ELj7ELj8E21rocsparse_complex_numIdEEEvi20rocsparse_direction_NS_24const_host_device_scalarIT2_EEPKiS8_PKS5_SA_S6_PS5_21rocsparse_index_base_b, .Lfunc_end137-_ZN9rocsparseL19gebsrmvn_4xn_kernelILj128ELj7ELj8E21rocsparse_complex_numIdEEEvi20rocsparse_direction_NS_24const_host_device_scalarIT2_EEPKiS8_PKS5_SA_S6_PS5_21rocsparse_index_base_b
                                        ; -- End function
	.set _ZN9rocsparseL19gebsrmvn_4xn_kernelILj128ELj7ELj8E21rocsparse_complex_numIdEEEvi20rocsparse_direction_NS_24const_host_device_scalarIT2_EEPKiS8_PKS5_SA_S6_PS5_21rocsparse_index_base_b.num_vgpr, 70
	.set _ZN9rocsparseL19gebsrmvn_4xn_kernelILj128ELj7ELj8E21rocsparse_complex_numIdEEEvi20rocsparse_direction_NS_24const_host_device_scalarIT2_EEPKiS8_PKS5_SA_S6_PS5_21rocsparse_index_base_b.num_agpr, 0
	.set _ZN9rocsparseL19gebsrmvn_4xn_kernelILj128ELj7ELj8E21rocsparse_complex_numIdEEEvi20rocsparse_direction_NS_24const_host_device_scalarIT2_EEPKiS8_PKS5_SA_S6_PS5_21rocsparse_index_base_b.numbered_sgpr, 14
	.set _ZN9rocsparseL19gebsrmvn_4xn_kernelILj128ELj7ELj8E21rocsparse_complex_numIdEEEvi20rocsparse_direction_NS_24const_host_device_scalarIT2_EEPKiS8_PKS5_SA_S6_PS5_21rocsparse_index_base_b.num_named_barrier, 0
	.set _ZN9rocsparseL19gebsrmvn_4xn_kernelILj128ELj7ELj8E21rocsparse_complex_numIdEEEvi20rocsparse_direction_NS_24const_host_device_scalarIT2_EEPKiS8_PKS5_SA_S6_PS5_21rocsparse_index_base_b.private_seg_size, 0
	.set _ZN9rocsparseL19gebsrmvn_4xn_kernelILj128ELj7ELj8E21rocsparse_complex_numIdEEEvi20rocsparse_direction_NS_24const_host_device_scalarIT2_EEPKiS8_PKS5_SA_S6_PS5_21rocsparse_index_base_b.uses_vcc, 1
	.set _ZN9rocsparseL19gebsrmvn_4xn_kernelILj128ELj7ELj8E21rocsparse_complex_numIdEEEvi20rocsparse_direction_NS_24const_host_device_scalarIT2_EEPKiS8_PKS5_SA_S6_PS5_21rocsparse_index_base_b.uses_flat_scratch, 0
	.set _ZN9rocsparseL19gebsrmvn_4xn_kernelILj128ELj7ELj8E21rocsparse_complex_numIdEEEvi20rocsparse_direction_NS_24const_host_device_scalarIT2_EEPKiS8_PKS5_SA_S6_PS5_21rocsparse_index_base_b.has_dyn_sized_stack, 0
	.set _ZN9rocsparseL19gebsrmvn_4xn_kernelILj128ELj7ELj8E21rocsparse_complex_numIdEEEvi20rocsparse_direction_NS_24const_host_device_scalarIT2_EEPKiS8_PKS5_SA_S6_PS5_21rocsparse_index_base_b.has_recursion, 0
	.set _ZN9rocsparseL19gebsrmvn_4xn_kernelILj128ELj7ELj8E21rocsparse_complex_numIdEEEvi20rocsparse_direction_NS_24const_host_device_scalarIT2_EEPKiS8_PKS5_SA_S6_PS5_21rocsparse_index_base_b.has_indirect_call, 0
	.section	.AMDGPU.csdata,"",@progbits
; Kernel info:
; codeLenInByte = 3772
; TotalNumSgprs: 16
; NumVgprs: 70
; ScratchSize: 0
; MemoryBound: 0
; FloatMode: 240
; IeeeMode: 1
; LDSByteSize: 0 bytes/workgroup (compile time only)
; SGPRBlocks: 0
; VGPRBlocks: 8
; NumSGPRsForWavesPerEU: 16
; NumVGPRsForWavesPerEU: 70
; Occupancy: 16
; WaveLimiterHint : 1
; COMPUTE_PGM_RSRC2:SCRATCH_EN: 0
; COMPUTE_PGM_RSRC2:USER_SGPR: 2
; COMPUTE_PGM_RSRC2:TRAP_HANDLER: 0
; COMPUTE_PGM_RSRC2:TGID_X_EN: 1
; COMPUTE_PGM_RSRC2:TGID_Y_EN: 0
; COMPUTE_PGM_RSRC2:TGID_Z_EN: 0
; COMPUTE_PGM_RSRC2:TIDIG_COMP_CNT: 0
	.section	.text._ZN9rocsparseL19gebsrmvn_4xn_kernelILj128ELj7ELj16E21rocsparse_complex_numIdEEEvi20rocsparse_direction_NS_24const_host_device_scalarIT2_EEPKiS8_PKS5_SA_S6_PS5_21rocsparse_index_base_b,"axG",@progbits,_ZN9rocsparseL19gebsrmvn_4xn_kernelILj128ELj7ELj16E21rocsparse_complex_numIdEEEvi20rocsparse_direction_NS_24const_host_device_scalarIT2_EEPKiS8_PKS5_SA_S6_PS5_21rocsparse_index_base_b,comdat
	.globl	_ZN9rocsparseL19gebsrmvn_4xn_kernelILj128ELj7ELj16E21rocsparse_complex_numIdEEEvi20rocsparse_direction_NS_24const_host_device_scalarIT2_EEPKiS8_PKS5_SA_S6_PS5_21rocsparse_index_base_b ; -- Begin function _ZN9rocsparseL19gebsrmvn_4xn_kernelILj128ELj7ELj16E21rocsparse_complex_numIdEEEvi20rocsparse_direction_NS_24const_host_device_scalarIT2_EEPKiS8_PKS5_SA_S6_PS5_21rocsparse_index_base_b
	.p2align	8
	.type	_ZN9rocsparseL19gebsrmvn_4xn_kernelILj128ELj7ELj16E21rocsparse_complex_numIdEEEvi20rocsparse_direction_NS_24const_host_device_scalarIT2_EEPKiS8_PKS5_SA_S6_PS5_21rocsparse_index_base_b,@function
_ZN9rocsparseL19gebsrmvn_4xn_kernelILj128ELj7ELj16E21rocsparse_complex_numIdEEEvi20rocsparse_direction_NS_24const_host_device_scalarIT2_EEPKiS8_PKS5_SA_S6_PS5_21rocsparse_index_base_b: ; @_ZN9rocsparseL19gebsrmvn_4xn_kernelILj128ELj7ELj16E21rocsparse_complex_numIdEEEvi20rocsparse_direction_NS_24const_host_device_scalarIT2_EEPKiS8_PKS5_SA_S6_PS5_21rocsparse_index_base_b
; %bb.0:
	s_clause 0x1
	s_load_b64 s[12:13], s[0:1], 0x50
	s_load_b64 s[2:3], s[0:1], 0x8
	s_add_nc_u64 s[4:5], s[0:1], 8
	s_load_b64 s[6:7], s[0:1], 0x38
	s_wait_kmcnt 0x0
	s_bitcmp1_b32 s13, 0
	s_cselect_b32 s2, s4, s2
	s_cselect_b32 s3, s5, s3
	s_delay_alu instid0(SALU_CYCLE_1)
	v_dual_mov_b32 v1, s2 :: v_dual_mov_b32 v2, s3
	s_add_nc_u64 s[2:3], s[0:1], 56
	s_wait_alu 0xfffe
	s_cselect_b32 s2, s2, s6
	s_cselect_b32 s3, s3, s7
	flat_load_b128 v[1:4], v[1:2]
	s_wait_alu 0xfffe
	v_dual_mov_b32 v5, s2 :: v_dual_mov_b32 v6, s3
	flat_load_b128 v[5:8], v[5:6]
	s_wait_loadcnt_dscnt 0x101
	v_cmp_eq_f64_e32 vcc_lo, 0, v[1:2]
	v_cmp_eq_f64_e64 s2, 0, v[3:4]
	s_and_b32 s4, vcc_lo, s2
	s_mov_b32 s2, -1
	s_and_saveexec_b32 s3, s4
	s_cbranch_execz .LBB138_2
; %bb.1:
	s_wait_loadcnt_dscnt 0x0
	v_cmp_neq_f64_e32 vcc_lo, 1.0, v[5:6]
	v_cmp_neq_f64_e64 s2, 0, v[7:8]
	s_wait_alu 0xfffe
	s_or_b32 s2, vcc_lo, s2
	s_wait_alu 0xfffe
	s_or_not1_b32 s2, s2, exec_lo
.LBB138_2:
	s_wait_alu 0xfffe
	s_or_b32 exec_lo, exec_lo, s3
	s_and_saveexec_b32 s3, s2
	s_cbranch_execz .LBB138_29
; %bb.3:
	s_load_b64 s[2:3], s[0:1], 0x0
	v_lshrrev_b32_e32 v9, 4, v0
	s_delay_alu instid0(VALU_DEP_1) | instskip(SKIP_1) | instid1(VALU_DEP_1)
	v_lshl_or_b32 v9, ttmp9, 3, v9
	s_wait_kmcnt 0x0
	v_cmp_gt_i32_e32 vcc_lo, s2, v9
	s_and_b32 exec_lo, exec_lo, vcc_lo
	s_cbranch_execz .LBB138_29
; %bb.4:
	s_load_b256 s[4:11], s[0:1], 0x18
	v_ashrrev_i32_e32 v10, 31, v9
	v_and_b32_e32 v0, 15, v0
	s_cmp_lg_u32 s3, 0
	s_delay_alu instid0(VALU_DEP_2) | instskip(SKIP_1) | instid1(VALU_DEP_1)
	v_lshlrev_b64_e32 v[10:11], 2, v[9:10]
	s_wait_kmcnt 0x0
	v_add_co_u32 v10, vcc_lo, s4, v10
	s_delay_alu instid0(VALU_DEP_1) | instskip(SKIP_4) | instid1(VALU_DEP_2)
	v_add_co_ci_u32_e64 v11, null, s5, v11, vcc_lo
	global_load_b64 v[11:12], v[10:11], off
	s_wait_loadcnt 0x0
	v_subrev_nc_u32_e32 v10, s12, v11
	v_subrev_nc_u32_e32 v49, s12, v12
	v_add_nc_u32_e32 v10, v10, v0
	s_delay_alu instid0(VALU_DEP_1)
	v_cmp_lt_i32_e64 s2, v10, v49
	s_cbranch_scc0 .LBB138_12
; %bb.5:
	v_mov_b32_e32 v12, 0
	v_mov_b32_e32 v16, 0
	;; [unrolled: 1-line block ×3, first 2 shown]
	v_dual_mov_b32 v24, 0 :: v_dual_mov_b32 v13, 0
	v_dual_mov_b32 v14, 0 :: v_dual_mov_b32 v17, 0
	v_dual_mov_b32 v18, 0 :: v_dual_mov_b32 v21, 0
	v_dual_mov_b32 v22, 0 :: v_dual_mov_b32 v25, 0
	v_dual_mov_b32 v26, 0 :: v_dual_mov_b32 v15, 0
	v_mov_b32_e32 v19, 0
	v_mov_b32_e32 v23, 0
	;; [unrolled: 1-line block ×3, first 2 shown]
	s_and_saveexec_b32 s3, s2
	s_cbranch_execz .LBB138_14
; %bb.6:
	v_dual_mov_b32 v12, 0 :: v_dual_mov_b32 v29, 0
	v_dual_mov_b32 v13, 0 :: v_dual_mov_b32 v14, 0
	;; [unrolled: 1-line block ×5, first 2 shown]
	v_mul_lo_u32 v50, v10, 28
	v_dual_mov_b32 v21, 0 :: v_dual_mov_b32 v22, 0
	v_dual_mov_b32 v23, 0 :: v_dual_mov_b32 v24, 0
	;; [unrolled: 1-line block ×4, first 2 shown]
	s_mov_b32 s4, 0
	s_branch .LBB138_8
.LBB138_7:                              ;   in Loop: Header=BB138_8 Depth=1
	v_add_nc_u32_e32 v30, 16, v30
	v_add_nc_u32_e32 v50, 0x1c0, v50
	s_delay_alu instid0(VALU_DEP_2)
	v_cmp_ge_i32_e32 vcc_lo, v30, v49
	s_or_b32 s4, vcc_lo, s4
	s_wait_alu 0xfffe
	s_and_not1_b32 exec_lo, exec_lo, s4
	s_cbranch_execz .LBB138_13
.LBB138_8:                              ; =>This Loop Header: Depth=1
                                        ;     Child Loop BB138_10 Depth 2
	s_delay_alu instid0(VALU_DEP_1)
	v_ashrrev_i32_e32 v31, 31, v30
	v_mov_b32_e32 v42, v13
	v_mov_b32_e32 v46, v15
	;; [unrolled: 1-line block ×4, first 2 shown]
	v_lshlrev_b64_e32 v[31:32], 2, v[30:31]
	v_mov_b32_e32 v44, v25
	v_mov_b32_e32 v40, v27
	v_dual_mov_b32 v28, v50 :: v_dual_mov_b32 v41, v12
	v_mov_b32_e32 v45, v14
	v_add_co_u32 v31, vcc_lo, s6, v31
	s_wait_alu 0xfffd
	v_add_co_ci_u32_e64 v32, null, s7, v32, vcc_lo
	v_mov_b32_e32 v33, v16
	v_mov_b32_e32 v39, v26
	s_mov_b32 s5, 0
	global_load_b32 v31, v[31:32], off
	v_mov_b32_e32 v37, v20
	v_mov_b32_e32 v43, v24
	s_wait_loadcnt 0x0
	v_subrev_nc_u32_e32 v35, s12, v31
	v_dual_mov_b32 v32, v19 :: v_dual_mov_b32 v31, v18
	s_delay_alu instid0(VALU_DEP_2)
	v_mul_lo_u32 v51, v35, 7
	v_dual_mov_b32 v36, v23 :: v_dual_mov_b32 v35, v22
	s_branch .LBB138_10
.LBB138_9:                              ;   in Loop: Header=BB138_8 Depth=1
                                        ; implicit-def: $vgpr39_vgpr40
                                        ; implicit-def: $vgpr43_vgpr44
                                        ; implicit-def: $vgpr35_vgpr36
                                        ; implicit-def: $vgpr37_vgpr38
                                        ; implicit-def: $vgpr31_vgpr32
                                        ; implicit-def: $vgpr33_vgpr34
                                        ; implicit-def: $vgpr45_vgpr46
                                        ; implicit-def: $vgpr41_vgpr42
                                        ; implicit-def: $sgpr5
	s_branch .LBB138_7
.LBB138_10:                             ;   Parent Loop BB138_8 Depth=1
                                        ; =>  This Inner Loop Header: Depth=2
	s_wait_alu 0xfffe
	s_delay_alu instid0(VALU_DEP_2) | instskip(SKIP_2) | instid1(VALU_DEP_2)
	v_dual_mov_b32 v48, v29 :: v_dual_add_nc_u32 v47, s5, v51
	v_lshlrev_b64_e32 v[14:15], 4, v[28:29]
	s_cmp_eq_u32 s5, 6
	v_lshlrev_b64_e32 v[12:13], 4, v[47:48]
	s_delay_alu instid0(VALU_DEP_1) | instskip(SKIP_1) | instid1(VALU_DEP_2)
	v_add_co_u32 v12, vcc_lo, s10, v12
	s_wait_alu 0xfffd
	v_add_co_ci_u32_e64 v13, null, s11, v13, vcc_lo
	v_add_co_u32 v24, vcc_lo, s8, v14
	s_wait_alu 0xfffd
	v_add_co_ci_u32_e64 v25, null, s9, v15, vcc_lo
	global_load_b128 v[16:19], v[12:13], off
	s_clause 0x3
	global_load_b128 v[12:15], v[24:25], off
	global_load_b128 v[20:23], v[24:25], off offset:16
	global_load_b128 v[52:55], v[24:25], off offset:32
	;; [unrolled: 1-line block ×3, first 2 shown]
	s_wait_loadcnt 0x3
	v_fma_f64 v[24:25], v[12:13], v[16:17], v[45:46]
	v_fma_f64 v[26:27], v[14:15], v[16:17], v[41:42]
	s_wait_loadcnt 0x2
	v_fma_f64 v[41:42], v[20:21], v[16:17], v[43:44]
	v_fma_f64 v[39:40], v[22:23], v[16:17], v[39:40]
	s_wait_loadcnt 0x1
	v_fma_f64 v[37:38], v[52:53], v[16:17], v[37:38]
	v_fma_f64 v[35:36], v[54:55], v[16:17], v[35:36]
	s_wait_loadcnt 0x0
	v_fma_f64 v[33:34], v[56:57], v[16:17], v[33:34]
	v_fma_f64 v[31:32], v[58:59], v[16:17], v[31:32]
	v_fma_f64 v[14:15], -v[14:15], v[18:19], v[24:25]
	v_fma_f64 v[12:13], v[12:13], v[18:19], v[26:27]
	v_fma_f64 v[24:25], -v[22:23], v[18:19], v[41:42]
	v_fma_f64 v[26:27], v[20:21], v[18:19], v[39:40]
	;; [unrolled: 2-line block ×4, first 2 shown]
	s_cbranch_scc1 .LBB138_9
; %bb.11:                               ;   in Loop: Header=BB138_10 Depth=2
	v_dual_mov_b32 v32, v29 :: v_dual_add_nc_u32 v31, 1, v47
	v_dual_mov_b32 v34, v29 :: v_dual_add_nc_u32 v33, 4, v28
	v_add_nc_u32_e32 v28, 8, v28
	s_add_co_i32 s5, s5, 2
	s_delay_alu instid0(VALU_DEP_3) | instskip(NEXT) | instid1(VALU_DEP_3)
	v_lshlrev_b64_e32 v[31:32], 4, v[31:32]
	v_lshlrev_b64_e32 v[33:34], 4, v[33:34]
	s_delay_alu instid0(VALU_DEP_2) | instskip(SKIP_1) | instid1(VALU_DEP_3)
	v_add_co_u32 v31, vcc_lo, s10, v31
	s_wait_alu 0xfffd
	v_add_co_ci_u32_e64 v32, null, s11, v32, vcc_lo
	s_delay_alu instid0(VALU_DEP_3)
	v_add_co_u32 v39, vcc_lo, s8, v33
	s_wait_alu 0xfffd
	v_add_co_ci_u32_e64 v40, null, s9, v34, vcc_lo
	global_load_b128 v[45:48], v[31:32], off
	s_clause 0x3
	global_load_b128 v[31:34], v[39:40], off
	global_load_b128 v[35:38], v[39:40], off offset:16
	global_load_b128 v[52:55], v[39:40], off offset:32
	;; [unrolled: 1-line block ×3, first 2 shown]
	s_wait_loadcnt 0x3
	v_fma_f64 v[39:40], v[31:32], v[45:46], v[14:15]
	v_fma_f64 v[41:42], v[33:34], v[45:46], v[12:13]
	s_wait_loadcnt 0x2
	v_fma_f64 v[43:44], v[35:36], v[45:46], v[24:25]
	v_fma_f64 v[60:61], v[37:38], v[45:46], v[26:27]
	;; [unrolled: 3-line block ×4, first 2 shown]
	v_fma_f64 v[45:46], -v[33:34], v[47:48], v[39:40]
	v_fma_f64 v[41:42], v[31:32], v[47:48], v[41:42]
	v_fma_f64 v[43:44], -v[37:38], v[47:48], v[43:44]
	v_fma_f64 v[39:40], v[35:36], v[47:48], v[60:61]
	;; [unrolled: 2-line block ×4, first 2 shown]
	s_cbranch_execnz .LBB138_10
	s_branch .LBB138_7
.LBB138_12:
                                        ; implicit-def: $vgpr12_vgpr13
                                        ; implicit-def: $vgpr14_vgpr15
                                        ; implicit-def: $vgpr16_vgpr17
                                        ; implicit-def: $vgpr18_vgpr19
                                        ; implicit-def: $vgpr20_vgpr21
                                        ; implicit-def: $vgpr22_vgpr23
                                        ; implicit-def: $vgpr24_vgpr25
                                        ; implicit-def: $vgpr26_vgpr27
	s_branch .LBB138_15
.LBB138_13:
	s_or_b32 exec_lo, exec_lo, s4
.LBB138_14:
	s_wait_alu 0xfffe
	s_or_b32 exec_lo, exec_lo, s3
	s_cbranch_execnz .LBB138_24
.LBB138_15:
	v_mov_b32_e32 v12, 0
	v_mov_b32_e32 v16, 0
	;; [unrolled: 1-line block ×3, first 2 shown]
	v_dual_mov_b32 v24, 0 :: v_dual_mov_b32 v13, 0
	v_dual_mov_b32 v14, 0 :: v_dual_mov_b32 v17, 0
	;; [unrolled: 1-line block ×5, first 2 shown]
	v_mov_b32_e32 v19, 0
	v_mov_b32_e32 v23, 0
	;; [unrolled: 1-line block ×3, first 2 shown]
	s_and_saveexec_b32 s3, s2
	s_cbranch_execz .LBB138_23
; %bb.16:
	v_mul_lo_u32 v11, v11, 28
	v_mul_lo_u32 v46, v10, 28
	s_mul_i32 s2, s12, 28
	v_mov_b32_e32 v12, 0
	v_mov_b32_e32 v16, 0
	v_mov_b32_e32 v20, 0
	v_dual_mov_b32 v24, 0 :: v_dual_mov_b32 v13, 0
	v_mov_b32_e32 v14, 0
	v_mad_u32_u24 v11, v0, 28, v11
	v_dual_mov_b32 v17, 0 :: v_dual_mov_b32 v18, 0
	v_dual_mov_b32 v21, 0 :: v_dual_mov_b32 v22, 0
	;; [unrolled: 1-line block ×3, first 2 shown]
	v_mov_b32_e32 v15, 0
	v_mov_b32_e32 v19, 0
	;; [unrolled: 1-line block ×4, first 2 shown]
	s_wait_alu 0xfffe
	v_subrev_nc_u32_e32 v47, s2, v11
	v_mov_b32_e32 v29, 0
	s_mov_b32 s2, 0
	s_branch .LBB138_18
.LBB138_17:                             ;   in Loop: Header=BB138_18 Depth=1
	v_add_nc_u32_e32 v10, 16, v10
	v_add_nc_u32_e32 v46, 0x1c0, v46
	;; [unrolled: 1-line block ×3, first 2 shown]
	s_delay_alu instid0(VALU_DEP_3)
	v_cmp_ge_i32_e32 vcc_lo, v10, v49
	s_or_b32 s2, vcc_lo, s2
	s_wait_alu 0xfffe
	s_and_not1_b32 exec_lo, exec_lo, s2
	s_cbranch_execz .LBB138_22
.LBB138_18:                             ; =>This Loop Header: Depth=1
                                        ;     Child Loop BB138_20 Depth 2
	v_ashrrev_i32_e32 v11, 31, v10
	v_dual_mov_b32 v35, v13 :: v_dual_mov_b32 v34, v12
	v_dual_mov_b32 v37, v15 :: v_dual_mov_b32 v36, v14
	s_delay_alu instid0(VALU_DEP_3) | instskip(SKIP_3) | instid1(VALU_DEP_4)
	v_lshlrev_b64_e32 v[30:31], 2, v[10:11]
	v_dual_mov_b32 v33, v17 :: v_dual_mov_b32 v32, v16
	v_dual_mov_b32 v39, v21 :: v_dual_mov_b32 v38, v20
	;; [unrolled: 1-line block ×3, first 2 shown]
	v_add_co_u32 v30, vcc_lo, s6, v30
	s_wait_alu 0xfffd
	v_add_co_ci_u32_e64 v31, null, s7, v31, vcc_lo
	v_dual_mov_b32 v43, v25 :: v_dual_mov_b32 v42, v24
	v_dual_mov_b32 v45, v27 :: v_dual_mov_b32 v44, v26
	global_load_b32 v11, v[30:31], off
	v_dual_mov_b32 v31, v19 :: v_dual_mov_b32 v30, v18
	s_mov_b32 s4, 0
	s_wait_loadcnt 0x0
	v_subrev_nc_u32_e32 v11, s12, v11
	s_delay_alu instid0(VALU_DEP_1)
	v_mul_lo_u32 v11, v11, 7
	s_branch .LBB138_20
.LBB138_19:                             ;   in Loop: Header=BB138_20 Depth=2
	s_wait_alu 0xfffe
	s_and_not1_b32 vcc_lo, exec_lo, s5
	s_wait_alu 0xfffe
	s_cbranch_vccz .LBB138_17
.LBB138_20:                             ;   Parent Loop BB138_18 Depth=1
                                        ; =>  This Inner Loop Header: Depth=2
	s_wait_alu 0xfffe
	v_dual_mov_b32 v15, v29 :: v_dual_add_nc_u32 v28, s4, v47
	v_dual_mov_b32 v17, v29 :: v_dual_add_nc_u32 v48, s4, v46
	s_cmp_eq_u32 s4, 6
	s_delay_alu instid0(VALU_DEP_2) | instskip(NEXT) | instid1(VALU_DEP_4)
	v_lshlrev_b64_e32 v[12:13], 4, v[28:29]
	v_dual_mov_b32 v21, v29 :: v_dual_add_nc_u32 v28, s4, v11
	s_delay_alu instid0(VALU_DEP_3) | instskip(SKIP_2) | instid1(VALU_DEP_4)
	v_add_nc_u32_e32 v14, 7, v48
	v_add_nc_u32_e32 v16, 14, v48
	;; [unrolled: 1-line block ×3, first 2 shown]
	v_lshlrev_b64_e32 v[18:19], 4, v[28:29]
	v_add_co_u32 v12, vcc_lo, s8, v12
	v_lshlrev_b64_e32 v[22:23], 4, v[14:15]
	v_lshlrev_b64_e32 v[24:25], 4, v[16:17]
	s_wait_alu 0xfffd
	v_add_co_ci_u32_e64 v13, null, s9, v13, vcc_lo
	v_add_co_u32 v18, vcc_lo, s10, v18
	v_lshlrev_b64_e32 v[20:21], 4, v[20:21]
	s_wait_alu 0xfffd
	v_add_co_ci_u32_e64 v19, null, s11, v19, vcc_lo
	v_add_co_u32 v22, vcc_lo, s8, v22
	s_wait_alu 0xfffd
	v_add_co_ci_u32_e64 v23, null, s9, v23, vcc_lo
	v_add_co_u32 v24, vcc_lo, s8, v24
	;; [unrolled: 3-line block ×3, first 2 shown]
	s_wait_alu 0xfffd
	v_add_co_ci_u32_e64 v27, null, s9, v21, vcc_lo
	global_load_b128 v[12:15], v[12:13], off
	global_load_b128 v[16:19], v[18:19], off
	s_clause 0x2
	global_load_b128 v[20:23], v[22:23], off
	global_load_b128 v[50:53], v[24:25], off
	global_load_b128 v[54:57], v[26:27], off
	s_mov_b32 s5, -1
	s_wait_loadcnt 0x3
	v_fma_f64 v[24:25], v[12:13], v[16:17], v[36:37]
	v_fma_f64 v[26:27], v[14:15], v[16:17], v[34:35]
	s_wait_loadcnt 0x2
	v_fma_f64 v[34:35], v[20:21], v[16:17], v[42:43]
	v_fma_f64 v[36:37], v[22:23], v[16:17], v[44:45]
	s_wait_loadcnt 0x1
	v_fma_f64 v[38:39], v[50:51], v[16:17], v[38:39]
	v_fma_f64 v[40:41], v[52:53], v[16:17], v[40:41]
	s_wait_loadcnt 0x0
	v_fma_f64 v[32:33], v[54:55], v[16:17], v[32:33]
	v_fma_f64 v[30:31], v[56:57], v[16:17], v[30:31]
                                        ; implicit-def: $vgpr44_vgpr45
                                        ; implicit-def: $vgpr42_vgpr43
	v_fma_f64 v[14:15], -v[14:15], v[18:19], v[24:25]
	v_fma_f64 v[12:13], v[12:13], v[18:19], v[26:27]
	v_fma_f64 v[24:25], -v[22:23], v[18:19], v[34:35]
	v_fma_f64 v[26:27], v[20:21], v[18:19], v[36:37]
	;; [unrolled: 2-line block ×4, first 2 shown]
                                        ; implicit-def: $vgpr40_vgpr41
                                        ; implicit-def: $vgpr38_vgpr39
                                        ; implicit-def: $vgpr30_vgpr31
                                        ; implicit-def: $vgpr32_vgpr33
                                        ; implicit-def: $vgpr36_vgpr37
                                        ; implicit-def: $vgpr34_vgpr35
	s_cbranch_scc1 .LBB138_19
; %bb.21:                               ;   in Loop: Header=BB138_20 Depth=2
	v_dual_mov_b32 v31, v29 :: v_dual_add_nc_u32 v30, 1, v48
	v_add_nc_u32_e32 v28, 1, v28
	s_add_co_i32 s4, s4, 2
	s_mov_b32 s5, 0
	s_delay_alu instid0(VALU_DEP_2) | instskip(NEXT) | instid1(VALU_DEP_2)
	v_lshlrev_b64_e32 v[30:31], 4, v[30:31]
	v_lshlrev_b64_e32 v[32:33], 4, v[28:29]
	v_add_nc_u32_e32 v28, 8, v48
	s_delay_alu instid0(VALU_DEP_3) | instskip(SKIP_1) | instid1(VALU_DEP_4)
	v_add_co_u32 v30, vcc_lo, s8, v30
	s_wait_alu 0xfffd
	v_add_co_ci_u32_e64 v31, null, s9, v31, vcc_lo
	s_delay_alu instid0(VALU_DEP_4)
	v_add_co_u32 v34, vcc_lo, s10, v32
	v_lshlrev_b64_e32 v[36:37], 4, v[28:29]
	v_add_nc_u32_e32 v28, 15, v48
	s_wait_alu 0xfffd
	v_add_co_ci_u32_e64 v35, null, s11, v33, vcc_lo
	global_load_b128 v[30:33], v[30:31], off
	global_load_b128 v[50:53], v[34:35], off
	v_lshlrev_b64_e32 v[34:35], 4, v[28:29]
	v_add_nc_u32_e32 v28, 22, v48
	v_add_co_u32 v36, vcc_lo, s8, v36
	s_wait_alu 0xfffd
	v_add_co_ci_u32_e64 v37, null, s9, v37, vcc_lo
	s_delay_alu instid0(VALU_DEP_3) | instskip(SKIP_3) | instid1(VALU_DEP_3)
	v_lshlrev_b64_e32 v[38:39], 4, v[28:29]
	v_add_co_u32 v34, vcc_lo, s8, v34
	s_wait_alu 0xfffd
	v_add_co_ci_u32_e64 v35, null, s9, v35, vcc_lo
	v_add_co_u32 v42, vcc_lo, s8, v38
	s_wait_alu 0xfffd
	v_add_co_ci_u32_e64 v43, null, s9, v39, vcc_lo
	s_clause 0x2
	global_load_b128 v[38:41], v[36:37], off
	global_load_b128 v[54:57], v[34:35], off
	;; [unrolled: 1-line block ×3, first 2 shown]
	s_wait_loadcnt 0x3
	v_fma_f64 v[34:35], v[30:31], v[50:51], v[14:15]
	v_fma_f64 v[42:43], v[32:33], v[50:51], v[12:13]
	s_wait_loadcnt 0x2
	v_fma_f64 v[44:45], v[38:39], v[50:51], v[24:25]
	v_fma_f64 v[62:63], v[40:41], v[50:51], v[26:27]
	;; [unrolled: 3-line block ×4, first 2 shown]
	v_fma_f64 v[36:37], -v[32:33], v[52:53], v[34:35]
	v_fma_f64 v[34:35], v[30:31], v[52:53], v[42:43]
	v_fma_f64 v[42:43], -v[40:41], v[52:53], v[44:45]
	v_fma_f64 v[44:45], v[38:39], v[52:53], v[62:63]
	;; [unrolled: 2-line block ×4, first 2 shown]
	s_branch .LBB138_19
.LBB138_22:
	s_or_b32 exec_lo, exec_lo, s2
.LBB138_23:
	s_wait_alu 0xfffe
	s_or_b32 exec_lo, exec_lo, s3
.LBB138_24:
	v_mbcnt_lo_u32_b32 v42, -1, 0
	s_delay_alu instid0(VALU_DEP_1) | instskip(NEXT) | instid1(VALU_DEP_1)
	v_xor_b32_e32 v10, 8, v42
	v_cmp_gt_i32_e32 vcc_lo, 32, v10
	s_wait_alu 0xfffd
	v_cndmask_b32_e32 v10, v42, v10, vcc_lo
	s_delay_alu instid0(VALU_DEP_1)
	v_lshlrev_b32_e32 v41, 2, v10
	ds_bpermute_b32 v10, v41, v14
	ds_bpermute_b32 v11, v41, v15
	;; [unrolled: 1-line block ×16, first 2 shown]
	s_wait_dscnt 0xe
	v_add_f64_e32 v[10:11], v[14:15], v[10:11]
	s_wait_dscnt 0xc
	v_add_f64_e32 v[12:13], v[12:13], v[28:29]
	s_wait_dscnt 0xa
	v_add_f64_e32 v[14:15], v[24:25], v[30:31]
	s_wait_dscnt 0x8
	v_add_f64_e32 v[24:25], v[26:27], v[32:33]
	v_xor_b32_e32 v26, 4, v42
	s_wait_dscnt 0x6
	v_add_f64_e32 v[20:21], v[20:21], v[34:35]
	s_wait_dscnt 0x4
	v_add_f64_e32 v[22:23], v[22:23], v[36:37]
	;; [unrolled: 2-line block ×3, first 2 shown]
	v_cmp_gt_i32_e32 vcc_lo, 32, v26
	s_wait_dscnt 0x0
	v_add_f64_e32 v[18:19], v[18:19], v[40:41]
	s_wait_alu 0xfffd
	v_cndmask_b32_e32 v26, v42, v26, vcc_lo
	s_delay_alu instid0(VALU_DEP_1)
	v_lshlrev_b32_e32 v41, 2, v26
	ds_bpermute_b32 v26, v41, v10
	ds_bpermute_b32 v27, v41, v11
	;; [unrolled: 1-line block ×16, first 2 shown]
	s_wait_dscnt 0xe
	v_add_f64_e32 v[10:11], v[10:11], v[26:27]
	s_wait_dscnt 0xc
	v_add_f64_e32 v[12:13], v[12:13], v[28:29]
	;; [unrolled: 2-line block ×6, first 2 shown]
	v_xor_b32_e32 v22, 2, v42
	s_wait_dscnt 0x2
	v_add_f64_e32 v[16:17], v[16:17], v[38:39]
	s_wait_dscnt 0x0
	v_add_f64_e32 v[18:19], v[18:19], v[40:41]
	v_cmp_gt_i32_e32 vcc_lo, 32, v22
	s_wait_alu 0xfffd
	v_cndmask_b32_e32 v22, v42, v22, vcc_lo
	s_delay_alu instid0(VALU_DEP_1)
	v_lshlrev_b32_e32 v41, 2, v22
	ds_bpermute_b32 v22, v41, v10
	ds_bpermute_b32 v23, v41, v11
	;; [unrolled: 1-line block ×16, first 2 shown]
	s_wait_dscnt 0xe
	v_add_f64_e32 v[10:11], v[10:11], v[22:23]
	s_wait_dscnt 0xc
	v_add_f64_e32 v[24:25], v[12:13], v[24:25]
	;; [unrolled: 2-line block ×4, first 2 shown]
	v_xor_b32_e32 v26, 1, v42
	s_wait_dscnt 0x6
	v_add_f64_e32 v[14:15], v[20:21], v[34:35]
	s_wait_dscnt 0x4
	v_add_f64_e32 v[20:21], v[28:29], v[36:37]
	;; [unrolled: 2-line block ×3, first 2 shown]
	v_cmp_gt_i32_e32 vcc_lo, 32, v26
	s_wait_dscnt 0x0
	v_add_f64_e32 v[18:19], v[18:19], v[40:41]
	s_wait_alu 0xfffd
	v_cndmask_b32_e32 v26, v42, v26, vcc_lo
	v_cmp_eq_u32_e32 vcc_lo, 15, v0
	s_delay_alu instid0(VALU_DEP_2)
	v_lshlrev_b32_e32 v29, 2, v26
	ds_bpermute_b32 v40, v29, v10
	ds_bpermute_b32 v41, v29, v11
	;; [unrolled: 1-line block ×16, first 2 shown]
	s_and_b32 exec_lo, exec_lo, vcc_lo
	s_cbranch_execz .LBB138_29
; %bb.25:
	v_cmp_eq_f64_e32 vcc_lo, 0, v[5:6]
	v_cmp_eq_f64_e64 s2, 0, v[7:8]
	s_wait_dscnt 0xe
	v_add_f64_e32 v[10:11], v[10:11], v[40:41]
	s_wait_dscnt 0xc
	v_add_f64_e32 v[24:25], v[24:25], v[38:39]
	;; [unrolled: 2-line block ×8, first 2 shown]
	s_load_b64 s[0:1], s[0:1], 0x48
	s_and_b32 s2, vcc_lo, s2
	s_wait_alu 0xfffe
	s_and_saveexec_b32 s3, s2
	s_wait_alu 0xfffe
	s_xor_b32 s2, exec_lo, s3
	s_cbranch_execz .LBB138_27
; %bb.26:
	v_mul_f64_e64 v[5:6], v[24:25], -v[3:4]
	v_mul_f64_e32 v[7:8], v[1:2], v[24:25]
	v_mul_f64_e64 v[24:25], v[22:23], -v[3:4]
	v_mul_f64_e32 v[22:23], v[1:2], v[22:23]
	;; [unrolled: 2-line block ×4, first 2 shown]
	v_fma_f64 v[5:6], v[1:2], v[10:11], v[5:6]
	v_fma_f64 v[7:8], v[3:4], v[10:11], v[7:8]
	;; [unrolled: 1-line block ×8, first 2 shown]
	v_lshlrev_b32_e32 v14, 2, v9
                                        ; implicit-def: $vgpr9
                                        ; implicit-def: $vgpr24_vgpr25
                                        ; implicit-def: $vgpr22_vgpr23
                                        ; implicit-def: $vgpr16_vgpr17
	s_delay_alu instid0(VALU_DEP_1) | instskip(NEXT) | instid1(VALU_DEP_1)
	v_ashrrev_i32_e32 v15, 31, v14
	v_lshlrev_b64_e32 v[14:15], 4, v[14:15]
	s_wait_kmcnt 0x0
	s_delay_alu instid0(VALU_DEP_1) | instskip(SKIP_1) | instid1(VALU_DEP_2)
	v_add_co_u32 v14, vcc_lo, s0, v14
	s_wait_alu 0xfffd
	v_add_co_ci_u32_e64 v15, null, s1, v15, vcc_lo
	s_clause 0x3
	global_store_b128 v[14:15], v[5:8], off
	global_store_b128 v[14:15], v[10:13], off offset:16
	global_store_b128 v[14:15], v[18:21], off offset:32
	global_store_b128 v[14:15], v[0:3], off offset:48
                                        ; implicit-def: $vgpr10_vgpr11
                                        ; implicit-def: $vgpr12_vgpr13
                                        ; implicit-def: $vgpr14_vgpr15
                                        ; implicit-def: $vgpr20_vgpr21
                                        ; implicit-def: $vgpr18_vgpr19
                                        ; implicit-def: $vgpr7_vgpr8
                                        ; implicit-def: $vgpr3_vgpr4
.LBB138_27:
	s_wait_alu 0xfffe
	s_and_not1_saveexec_b32 s2, s2
	s_cbranch_execz .LBB138_29
; %bb.28:
	v_lshlrev_b32_e32 v26, 2, v9
	v_mul_f64_e64 v[44:45], v[24:25], -v[3:4]
	v_mul_f64_e32 v[24:25], v[1:2], v[24:25]
	v_mul_f64_e64 v[46:47], v[22:23], -v[3:4]
	v_mul_f64_e32 v[22:23], v[1:2], v[22:23]
	v_ashrrev_i32_e32 v27, 31, v26
	v_mul_f64_e64 v[48:49], v[20:21], -v[3:4]
	v_mul_f64_e32 v[20:21], v[1:2], v[20:21]
	v_mul_f64_e64 v[50:51], v[18:19], -v[3:4]
	v_mul_f64_e32 v[18:19], v[1:2], v[18:19]
	v_lshlrev_b64_e32 v[26:27], 4, v[26:27]
	s_wait_kmcnt 0x0
	s_delay_alu instid0(VALU_DEP_1) | instskip(SKIP_1) | instid1(VALU_DEP_2)
	v_add_co_u32 v42, vcc_lo, s0, v26
	s_wait_alu 0xfffd
	v_add_co_ci_u32_e64 v43, null, s1, v27, vcc_lo
	s_clause 0x3
	global_load_b128 v[26:29], v[42:43], off
	global_load_b128 v[30:33], v[42:43], off offset:16
	global_load_b128 v[34:37], v[42:43], off offset:32
	;; [unrolled: 1-line block ×3, first 2 shown]
	v_fma_f64 v[44:45], v[1:2], v[10:11], v[44:45]
	v_fma_f64 v[9:10], v[3:4], v[10:11], v[24:25]
	;; [unrolled: 1-line block ×8, first 2 shown]
	s_wait_loadcnt 0x3
	v_fma_f64 v[15:16], v[5:6], v[26:27], v[44:45]
	v_fma_f64 v[9:10], v[7:8], v[26:27], v[9:10]
	s_wait_loadcnt 0x2
	v_fma_f64 v[17:18], v[5:6], v[30:31], v[24:25]
	v_fma_f64 v[11:12], v[7:8], v[30:31], v[11:12]
	;; [unrolled: 3-line block ×4, first 2 shown]
	v_fma_f64 v[0:1], -v[7:8], v[28:29], v[15:16]
	v_fma_f64 v[2:3], v[5:6], v[28:29], v[9:10]
	v_fma_f64 v[9:10], -v[7:8], v[32:33], v[17:18]
	v_fma_f64 v[11:12], v[5:6], v[32:33], v[11:12]
	;; [unrolled: 2-line block ×4, first 2 shown]
	s_clause 0x3
	global_store_b128 v[42:43], v[0:3], off
	global_store_b128 v[42:43], v[9:12], off offset:16
	global_store_b128 v[42:43], v[13:16], off offset:32
	;; [unrolled: 1-line block ×3, first 2 shown]
.LBB138_29:
	s_endpgm
	.section	.rodata,"a",@progbits
	.p2align	6, 0x0
	.amdhsa_kernel _ZN9rocsparseL19gebsrmvn_4xn_kernelILj128ELj7ELj16E21rocsparse_complex_numIdEEEvi20rocsparse_direction_NS_24const_host_device_scalarIT2_EEPKiS8_PKS5_SA_S6_PS5_21rocsparse_index_base_b
		.amdhsa_group_segment_fixed_size 0
		.amdhsa_private_segment_fixed_size 0
		.amdhsa_kernarg_size 88
		.amdhsa_user_sgpr_count 2
		.amdhsa_user_sgpr_dispatch_ptr 0
		.amdhsa_user_sgpr_queue_ptr 0
		.amdhsa_user_sgpr_kernarg_segment_ptr 1
		.amdhsa_user_sgpr_dispatch_id 0
		.amdhsa_user_sgpr_private_segment_size 0
		.amdhsa_wavefront_size32 1
		.amdhsa_uses_dynamic_stack 0
		.amdhsa_enable_private_segment 0
		.amdhsa_system_sgpr_workgroup_id_x 1
		.amdhsa_system_sgpr_workgroup_id_y 0
		.amdhsa_system_sgpr_workgroup_id_z 0
		.amdhsa_system_sgpr_workgroup_info 0
		.amdhsa_system_vgpr_workitem_id 0
		.amdhsa_next_free_vgpr 70
		.amdhsa_next_free_sgpr 14
		.amdhsa_reserve_vcc 1
		.amdhsa_float_round_mode_32 0
		.amdhsa_float_round_mode_16_64 0
		.amdhsa_float_denorm_mode_32 3
		.amdhsa_float_denorm_mode_16_64 3
		.amdhsa_fp16_overflow 0
		.amdhsa_workgroup_processor_mode 1
		.amdhsa_memory_ordered 1
		.amdhsa_forward_progress 1
		.amdhsa_inst_pref_size 32
		.amdhsa_round_robin_scheduling 0
		.amdhsa_exception_fp_ieee_invalid_op 0
		.amdhsa_exception_fp_denorm_src 0
		.amdhsa_exception_fp_ieee_div_zero 0
		.amdhsa_exception_fp_ieee_overflow 0
		.amdhsa_exception_fp_ieee_underflow 0
		.amdhsa_exception_fp_ieee_inexact 0
		.amdhsa_exception_int_div_zero 0
	.end_amdhsa_kernel
	.section	.text._ZN9rocsparseL19gebsrmvn_4xn_kernelILj128ELj7ELj16E21rocsparse_complex_numIdEEEvi20rocsparse_direction_NS_24const_host_device_scalarIT2_EEPKiS8_PKS5_SA_S6_PS5_21rocsparse_index_base_b,"axG",@progbits,_ZN9rocsparseL19gebsrmvn_4xn_kernelILj128ELj7ELj16E21rocsparse_complex_numIdEEEvi20rocsparse_direction_NS_24const_host_device_scalarIT2_EEPKiS8_PKS5_SA_S6_PS5_21rocsparse_index_base_b,comdat
.Lfunc_end138:
	.size	_ZN9rocsparseL19gebsrmvn_4xn_kernelILj128ELj7ELj16E21rocsparse_complex_numIdEEEvi20rocsparse_direction_NS_24const_host_device_scalarIT2_EEPKiS8_PKS5_SA_S6_PS5_21rocsparse_index_base_b, .Lfunc_end138-_ZN9rocsparseL19gebsrmvn_4xn_kernelILj128ELj7ELj16E21rocsparse_complex_numIdEEEvi20rocsparse_direction_NS_24const_host_device_scalarIT2_EEPKiS8_PKS5_SA_S6_PS5_21rocsparse_index_base_b
                                        ; -- End function
	.set _ZN9rocsparseL19gebsrmvn_4xn_kernelILj128ELj7ELj16E21rocsparse_complex_numIdEEEvi20rocsparse_direction_NS_24const_host_device_scalarIT2_EEPKiS8_PKS5_SA_S6_PS5_21rocsparse_index_base_b.num_vgpr, 70
	.set _ZN9rocsparseL19gebsrmvn_4xn_kernelILj128ELj7ELj16E21rocsparse_complex_numIdEEEvi20rocsparse_direction_NS_24const_host_device_scalarIT2_EEPKiS8_PKS5_SA_S6_PS5_21rocsparse_index_base_b.num_agpr, 0
	.set _ZN9rocsparseL19gebsrmvn_4xn_kernelILj128ELj7ELj16E21rocsparse_complex_numIdEEEvi20rocsparse_direction_NS_24const_host_device_scalarIT2_EEPKiS8_PKS5_SA_S6_PS5_21rocsparse_index_base_b.numbered_sgpr, 14
	.set _ZN9rocsparseL19gebsrmvn_4xn_kernelILj128ELj7ELj16E21rocsparse_complex_numIdEEEvi20rocsparse_direction_NS_24const_host_device_scalarIT2_EEPKiS8_PKS5_SA_S6_PS5_21rocsparse_index_base_b.num_named_barrier, 0
	.set _ZN9rocsparseL19gebsrmvn_4xn_kernelILj128ELj7ELj16E21rocsparse_complex_numIdEEEvi20rocsparse_direction_NS_24const_host_device_scalarIT2_EEPKiS8_PKS5_SA_S6_PS5_21rocsparse_index_base_b.private_seg_size, 0
	.set _ZN9rocsparseL19gebsrmvn_4xn_kernelILj128ELj7ELj16E21rocsparse_complex_numIdEEEvi20rocsparse_direction_NS_24const_host_device_scalarIT2_EEPKiS8_PKS5_SA_S6_PS5_21rocsparse_index_base_b.uses_vcc, 1
	.set _ZN9rocsparseL19gebsrmvn_4xn_kernelILj128ELj7ELj16E21rocsparse_complex_numIdEEEvi20rocsparse_direction_NS_24const_host_device_scalarIT2_EEPKiS8_PKS5_SA_S6_PS5_21rocsparse_index_base_b.uses_flat_scratch, 0
	.set _ZN9rocsparseL19gebsrmvn_4xn_kernelILj128ELj7ELj16E21rocsparse_complex_numIdEEEvi20rocsparse_direction_NS_24const_host_device_scalarIT2_EEPKiS8_PKS5_SA_S6_PS5_21rocsparse_index_base_b.has_dyn_sized_stack, 0
	.set _ZN9rocsparseL19gebsrmvn_4xn_kernelILj128ELj7ELj16E21rocsparse_complex_numIdEEEvi20rocsparse_direction_NS_24const_host_device_scalarIT2_EEPKiS8_PKS5_SA_S6_PS5_21rocsparse_index_base_b.has_recursion, 0
	.set _ZN9rocsparseL19gebsrmvn_4xn_kernelILj128ELj7ELj16E21rocsparse_complex_numIdEEEvi20rocsparse_direction_NS_24const_host_device_scalarIT2_EEPKiS8_PKS5_SA_S6_PS5_21rocsparse_index_base_b.has_indirect_call, 0
	.section	.AMDGPU.csdata,"",@progbits
; Kernel info:
; codeLenInByte = 3988
; TotalNumSgprs: 16
; NumVgprs: 70
; ScratchSize: 0
; MemoryBound: 0
; FloatMode: 240
; IeeeMode: 1
; LDSByteSize: 0 bytes/workgroup (compile time only)
; SGPRBlocks: 0
; VGPRBlocks: 8
; NumSGPRsForWavesPerEU: 16
; NumVGPRsForWavesPerEU: 70
; Occupancy: 16
; WaveLimiterHint : 1
; COMPUTE_PGM_RSRC2:SCRATCH_EN: 0
; COMPUTE_PGM_RSRC2:USER_SGPR: 2
; COMPUTE_PGM_RSRC2:TRAP_HANDLER: 0
; COMPUTE_PGM_RSRC2:TGID_X_EN: 1
; COMPUTE_PGM_RSRC2:TGID_Y_EN: 0
; COMPUTE_PGM_RSRC2:TGID_Z_EN: 0
; COMPUTE_PGM_RSRC2:TIDIG_COMP_CNT: 0
	.section	.text._ZN9rocsparseL19gebsrmvn_4xn_kernelILj128ELj7ELj32E21rocsparse_complex_numIdEEEvi20rocsparse_direction_NS_24const_host_device_scalarIT2_EEPKiS8_PKS5_SA_S6_PS5_21rocsparse_index_base_b,"axG",@progbits,_ZN9rocsparseL19gebsrmvn_4xn_kernelILj128ELj7ELj32E21rocsparse_complex_numIdEEEvi20rocsparse_direction_NS_24const_host_device_scalarIT2_EEPKiS8_PKS5_SA_S6_PS5_21rocsparse_index_base_b,comdat
	.globl	_ZN9rocsparseL19gebsrmvn_4xn_kernelILj128ELj7ELj32E21rocsparse_complex_numIdEEEvi20rocsparse_direction_NS_24const_host_device_scalarIT2_EEPKiS8_PKS5_SA_S6_PS5_21rocsparse_index_base_b ; -- Begin function _ZN9rocsparseL19gebsrmvn_4xn_kernelILj128ELj7ELj32E21rocsparse_complex_numIdEEEvi20rocsparse_direction_NS_24const_host_device_scalarIT2_EEPKiS8_PKS5_SA_S6_PS5_21rocsparse_index_base_b
	.p2align	8
	.type	_ZN9rocsparseL19gebsrmvn_4xn_kernelILj128ELj7ELj32E21rocsparse_complex_numIdEEEvi20rocsparse_direction_NS_24const_host_device_scalarIT2_EEPKiS8_PKS5_SA_S6_PS5_21rocsparse_index_base_b,@function
_ZN9rocsparseL19gebsrmvn_4xn_kernelILj128ELj7ELj32E21rocsparse_complex_numIdEEEvi20rocsparse_direction_NS_24const_host_device_scalarIT2_EEPKiS8_PKS5_SA_S6_PS5_21rocsparse_index_base_b: ; @_ZN9rocsparseL19gebsrmvn_4xn_kernelILj128ELj7ELj32E21rocsparse_complex_numIdEEEvi20rocsparse_direction_NS_24const_host_device_scalarIT2_EEPKiS8_PKS5_SA_S6_PS5_21rocsparse_index_base_b
; %bb.0:
	s_clause 0x1
	s_load_b64 s[12:13], s[0:1], 0x50
	s_load_b64 s[2:3], s[0:1], 0x8
	s_add_nc_u64 s[4:5], s[0:1], 8
	s_load_b64 s[6:7], s[0:1], 0x38
	s_wait_kmcnt 0x0
	s_bitcmp1_b32 s13, 0
	s_cselect_b32 s2, s4, s2
	s_cselect_b32 s3, s5, s3
	s_delay_alu instid0(SALU_CYCLE_1)
	v_dual_mov_b32 v1, s2 :: v_dual_mov_b32 v2, s3
	s_add_nc_u64 s[2:3], s[0:1], 56
	s_wait_alu 0xfffe
	s_cselect_b32 s2, s2, s6
	s_cselect_b32 s3, s3, s7
	flat_load_b128 v[1:4], v[1:2]
	s_wait_alu 0xfffe
	v_dual_mov_b32 v5, s2 :: v_dual_mov_b32 v6, s3
	flat_load_b128 v[5:8], v[5:6]
	s_wait_loadcnt_dscnt 0x101
	v_cmp_eq_f64_e32 vcc_lo, 0, v[1:2]
	v_cmp_eq_f64_e64 s2, 0, v[3:4]
	s_and_b32 s4, vcc_lo, s2
	s_mov_b32 s2, -1
	s_and_saveexec_b32 s3, s4
	s_cbranch_execz .LBB139_2
; %bb.1:
	s_wait_loadcnt_dscnt 0x0
	v_cmp_neq_f64_e32 vcc_lo, 1.0, v[5:6]
	v_cmp_neq_f64_e64 s2, 0, v[7:8]
	s_wait_alu 0xfffe
	s_or_b32 s2, vcc_lo, s2
	s_wait_alu 0xfffe
	s_or_not1_b32 s2, s2, exec_lo
.LBB139_2:
	s_wait_alu 0xfffe
	s_or_b32 exec_lo, exec_lo, s3
	s_and_saveexec_b32 s3, s2
	s_cbranch_execz .LBB139_29
; %bb.3:
	s_load_b64 s[2:3], s[0:1], 0x0
	v_lshrrev_b32_e32 v9, 5, v0
	s_delay_alu instid0(VALU_DEP_1) | instskip(SKIP_1) | instid1(VALU_DEP_1)
	v_lshl_or_b32 v9, ttmp9, 2, v9
	s_wait_kmcnt 0x0
	v_cmp_gt_i32_e32 vcc_lo, s2, v9
	s_and_b32 exec_lo, exec_lo, vcc_lo
	s_cbranch_execz .LBB139_29
; %bb.4:
	s_load_b256 s[4:11], s[0:1], 0x18
	v_ashrrev_i32_e32 v10, 31, v9
	v_and_b32_e32 v0, 31, v0
	s_cmp_lg_u32 s3, 0
	s_delay_alu instid0(VALU_DEP_2) | instskip(SKIP_1) | instid1(VALU_DEP_1)
	v_lshlrev_b64_e32 v[10:11], 2, v[9:10]
	s_wait_kmcnt 0x0
	v_add_co_u32 v10, vcc_lo, s4, v10
	s_delay_alu instid0(VALU_DEP_1) | instskip(SKIP_4) | instid1(VALU_DEP_2)
	v_add_co_ci_u32_e64 v11, null, s5, v11, vcc_lo
	global_load_b64 v[11:12], v[10:11], off
	s_wait_loadcnt 0x0
	v_subrev_nc_u32_e32 v10, s12, v11
	v_subrev_nc_u32_e32 v49, s12, v12
	v_add_nc_u32_e32 v10, v10, v0
	s_delay_alu instid0(VALU_DEP_1)
	v_cmp_lt_i32_e64 s2, v10, v49
	s_cbranch_scc0 .LBB139_12
; %bb.5:
	v_mov_b32_e32 v12, 0
	v_mov_b32_e32 v16, 0
	;; [unrolled: 1-line block ×3, first 2 shown]
	v_dual_mov_b32 v24, 0 :: v_dual_mov_b32 v13, 0
	v_dual_mov_b32 v14, 0 :: v_dual_mov_b32 v17, 0
	v_dual_mov_b32 v18, 0 :: v_dual_mov_b32 v21, 0
	v_dual_mov_b32 v22, 0 :: v_dual_mov_b32 v25, 0
	v_dual_mov_b32 v26, 0 :: v_dual_mov_b32 v15, 0
	v_mov_b32_e32 v19, 0
	v_mov_b32_e32 v23, 0
	;; [unrolled: 1-line block ×3, first 2 shown]
	s_and_saveexec_b32 s3, s2
	s_cbranch_execz .LBB139_14
; %bb.6:
	v_dual_mov_b32 v12, 0 :: v_dual_mov_b32 v29, 0
	v_dual_mov_b32 v13, 0 :: v_dual_mov_b32 v14, 0
	;; [unrolled: 1-line block ×5, first 2 shown]
	v_mul_lo_u32 v50, v10, 28
	v_dual_mov_b32 v21, 0 :: v_dual_mov_b32 v22, 0
	v_dual_mov_b32 v23, 0 :: v_dual_mov_b32 v24, 0
	;; [unrolled: 1-line block ×4, first 2 shown]
	s_mov_b32 s4, 0
	s_branch .LBB139_8
.LBB139_7:                              ;   in Loop: Header=BB139_8 Depth=1
	v_add_nc_u32_e32 v30, 32, v30
	v_add_nc_u32_e32 v50, 0x380, v50
	s_delay_alu instid0(VALU_DEP_2)
	v_cmp_ge_i32_e32 vcc_lo, v30, v49
	s_or_b32 s4, vcc_lo, s4
	s_wait_alu 0xfffe
	s_and_not1_b32 exec_lo, exec_lo, s4
	s_cbranch_execz .LBB139_13
.LBB139_8:                              ; =>This Loop Header: Depth=1
                                        ;     Child Loop BB139_10 Depth 2
	s_delay_alu instid0(VALU_DEP_1)
	v_ashrrev_i32_e32 v31, 31, v30
	v_mov_b32_e32 v42, v13
	v_mov_b32_e32 v46, v15
	;; [unrolled: 1-line block ×4, first 2 shown]
	v_lshlrev_b64_e32 v[31:32], 2, v[30:31]
	v_mov_b32_e32 v44, v25
	v_mov_b32_e32 v40, v27
	v_dual_mov_b32 v28, v50 :: v_dual_mov_b32 v41, v12
	v_mov_b32_e32 v45, v14
	v_add_co_u32 v31, vcc_lo, s6, v31
	s_wait_alu 0xfffd
	v_add_co_ci_u32_e64 v32, null, s7, v32, vcc_lo
	v_mov_b32_e32 v33, v16
	v_mov_b32_e32 v39, v26
	s_mov_b32 s5, 0
	global_load_b32 v31, v[31:32], off
	v_mov_b32_e32 v37, v20
	v_mov_b32_e32 v43, v24
	s_wait_loadcnt 0x0
	v_subrev_nc_u32_e32 v35, s12, v31
	v_dual_mov_b32 v32, v19 :: v_dual_mov_b32 v31, v18
	s_delay_alu instid0(VALU_DEP_2)
	v_mul_lo_u32 v51, v35, 7
	v_dual_mov_b32 v36, v23 :: v_dual_mov_b32 v35, v22
	s_branch .LBB139_10
.LBB139_9:                              ;   in Loop: Header=BB139_8 Depth=1
                                        ; implicit-def: $vgpr39_vgpr40
                                        ; implicit-def: $vgpr43_vgpr44
                                        ; implicit-def: $vgpr35_vgpr36
                                        ; implicit-def: $vgpr37_vgpr38
                                        ; implicit-def: $vgpr31_vgpr32
                                        ; implicit-def: $vgpr33_vgpr34
                                        ; implicit-def: $vgpr45_vgpr46
                                        ; implicit-def: $vgpr41_vgpr42
                                        ; implicit-def: $sgpr5
	s_branch .LBB139_7
.LBB139_10:                             ;   Parent Loop BB139_8 Depth=1
                                        ; =>  This Inner Loop Header: Depth=2
	s_wait_alu 0xfffe
	s_delay_alu instid0(VALU_DEP_2) | instskip(SKIP_2) | instid1(VALU_DEP_2)
	v_dual_mov_b32 v48, v29 :: v_dual_add_nc_u32 v47, s5, v51
	v_lshlrev_b64_e32 v[14:15], 4, v[28:29]
	s_cmp_eq_u32 s5, 6
	v_lshlrev_b64_e32 v[12:13], 4, v[47:48]
	s_delay_alu instid0(VALU_DEP_1) | instskip(SKIP_1) | instid1(VALU_DEP_2)
	v_add_co_u32 v12, vcc_lo, s10, v12
	s_wait_alu 0xfffd
	v_add_co_ci_u32_e64 v13, null, s11, v13, vcc_lo
	v_add_co_u32 v24, vcc_lo, s8, v14
	s_wait_alu 0xfffd
	v_add_co_ci_u32_e64 v25, null, s9, v15, vcc_lo
	global_load_b128 v[16:19], v[12:13], off
	s_clause 0x3
	global_load_b128 v[12:15], v[24:25], off
	global_load_b128 v[20:23], v[24:25], off offset:16
	global_load_b128 v[52:55], v[24:25], off offset:32
	;; [unrolled: 1-line block ×3, first 2 shown]
	s_wait_loadcnt 0x3
	v_fma_f64 v[24:25], v[12:13], v[16:17], v[45:46]
	v_fma_f64 v[26:27], v[14:15], v[16:17], v[41:42]
	s_wait_loadcnt 0x2
	v_fma_f64 v[41:42], v[20:21], v[16:17], v[43:44]
	v_fma_f64 v[39:40], v[22:23], v[16:17], v[39:40]
	;; [unrolled: 3-line block ×4, first 2 shown]
	v_fma_f64 v[14:15], -v[14:15], v[18:19], v[24:25]
	v_fma_f64 v[12:13], v[12:13], v[18:19], v[26:27]
	v_fma_f64 v[24:25], -v[22:23], v[18:19], v[41:42]
	v_fma_f64 v[26:27], v[20:21], v[18:19], v[39:40]
	;; [unrolled: 2-line block ×4, first 2 shown]
	s_cbranch_scc1 .LBB139_9
; %bb.11:                               ;   in Loop: Header=BB139_10 Depth=2
	v_dual_mov_b32 v32, v29 :: v_dual_add_nc_u32 v31, 1, v47
	v_dual_mov_b32 v34, v29 :: v_dual_add_nc_u32 v33, 4, v28
	v_add_nc_u32_e32 v28, 8, v28
	s_add_co_i32 s5, s5, 2
	s_delay_alu instid0(VALU_DEP_3) | instskip(NEXT) | instid1(VALU_DEP_3)
	v_lshlrev_b64_e32 v[31:32], 4, v[31:32]
	v_lshlrev_b64_e32 v[33:34], 4, v[33:34]
	s_delay_alu instid0(VALU_DEP_2) | instskip(SKIP_1) | instid1(VALU_DEP_3)
	v_add_co_u32 v31, vcc_lo, s10, v31
	s_wait_alu 0xfffd
	v_add_co_ci_u32_e64 v32, null, s11, v32, vcc_lo
	s_delay_alu instid0(VALU_DEP_3)
	v_add_co_u32 v39, vcc_lo, s8, v33
	s_wait_alu 0xfffd
	v_add_co_ci_u32_e64 v40, null, s9, v34, vcc_lo
	global_load_b128 v[45:48], v[31:32], off
	s_clause 0x3
	global_load_b128 v[31:34], v[39:40], off
	global_load_b128 v[35:38], v[39:40], off offset:16
	global_load_b128 v[52:55], v[39:40], off offset:32
	;; [unrolled: 1-line block ×3, first 2 shown]
	s_wait_loadcnt 0x3
	v_fma_f64 v[39:40], v[31:32], v[45:46], v[14:15]
	v_fma_f64 v[41:42], v[33:34], v[45:46], v[12:13]
	s_wait_loadcnt 0x2
	v_fma_f64 v[43:44], v[35:36], v[45:46], v[24:25]
	v_fma_f64 v[60:61], v[37:38], v[45:46], v[26:27]
	;; [unrolled: 3-line block ×4, first 2 shown]
	v_fma_f64 v[45:46], -v[33:34], v[47:48], v[39:40]
	v_fma_f64 v[41:42], v[31:32], v[47:48], v[41:42]
	v_fma_f64 v[43:44], -v[37:38], v[47:48], v[43:44]
	v_fma_f64 v[39:40], v[35:36], v[47:48], v[60:61]
	;; [unrolled: 2-line block ×4, first 2 shown]
	s_cbranch_execnz .LBB139_10
	s_branch .LBB139_7
.LBB139_12:
                                        ; implicit-def: $vgpr12_vgpr13
                                        ; implicit-def: $vgpr14_vgpr15
                                        ; implicit-def: $vgpr16_vgpr17
                                        ; implicit-def: $vgpr18_vgpr19
                                        ; implicit-def: $vgpr20_vgpr21
                                        ; implicit-def: $vgpr22_vgpr23
                                        ; implicit-def: $vgpr24_vgpr25
                                        ; implicit-def: $vgpr26_vgpr27
	s_branch .LBB139_15
.LBB139_13:
	s_or_b32 exec_lo, exec_lo, s4
.LBB139_14:
	s_wait_alu 0xfffe
	s_or_b32 exec_lo, exec_lo, s3
	s_cbranch_execnz .LBB139_24
.LBB139_15:
	v_mov_b32_e32 v12, 0
	v_mov_b32_e32 v16, 0
	v_mov_b32_e32 v20, 0
	v_dual_mov_b32 v24, 0 :: v_dual_mov_b32 v13, 0
	v_dual_mov_b32 v14, 0 :: v_dual_mov_b32 v17, 0
	;; [unrolled: 1-line block ×5, first 2 shown]
	v_mov_b32_e32 v19, 0
	v_mov_b32_e32 v23, 0
	;; [unrolled: 1-line block ×3, first 2 shown]
	s_and_saveexec_b32 s3, s2
	s_cbranch_execz .LBB139_23
; %bb.16:
	v_mul_lo_u32 v11, v11, 28
	v_mul_lo_u32 v46, v10, 28
	s_mul_i32 s2, s12, 28
	v_mov_b32_e32 v12, 0
	v_mov_b32_e32 v16, 0
	;; [unrolled: 1-line block ×3, first 2 shown]
	v_dual_mov_b32 v24, 0 :: v_dual_mov_b32 v13, 0
	v_mov_b32_e32 v14, 0
	v_mad_u32_u24 v11, v0, 28, v11
	v_dual_mov_b32 v17, 0 :: v_dual_mov_b32 v18, 0
	v_dual_mov_b32 v21, 0 :: v_dual_mov_b32 v22, 0
	;; [unrolled: 1-line block ×3, first 2 shown]
	v_mov_b32_e32 v15, 0
	v_mov_b32_e32 v19, 0
	;; [unrolled: 1-line block ×4, first 2 shown]
	s_wait_alu 0xfffe
	v_subrev_nc_u32_e32 v47, s2, v11
	v_mov_b32_e32 v29, 0
	s_mov_b32 s2, 0
	s_branch .LBB139_18
.LBB139_17:                             ;   in Loop: Header=BB139_18 Depth=1
	v_add_nc_u32_e32 v10, 32, v10
	v_add_nc_u32_e32 v46, 0x380, v46
	;; [unrolled: 1-line block ×3, first 2 shown]
	s_delay_alu instid0(VALU_DEP_3)
	v_cmp_ge_i32_e32 vcc_lo, v10, v49
	s_or_b32 s2, vcc_lo, s2
	s_wait_alu 0xfffe
	s_and_not1_b32 exec_lo, exec_lo, s2
	s_cbranch_execz .LBB139_22
.LBB139_18:                             ; =>This Loop Header: Depth=1
                                        ;     Child Loop BB139_20 Depth 2
	v_ashrrev_i32_e32 v11, 31, v10
	v_dual_mov_b32 v35, v13 :: v_dual_mov_b32 v34, v12
	v_dual_mov_b32 v37, v15 :: v_dual_mov_b32 v36, v14
	s_delay_alu instid0(VALU_DEP_3) | instskip(SKIP_3) | instid1(VALU_DEP_4)
	v_lshlrev_b64_e32 v[30:31], 2, v[10:11]
	v_dual_mov_b32 v33, v17 :: v_dual_mov_b32 v32, v16
	v_dual_mov_b32 v39, v21 :: v_dual_mov_b32 v38, v20
	v_dual_mov_b32 v41, v23 :: v_dual_mov_b32 v40, v22
	v_add_co_u32 v30, vcc_lo, s6, v30
	s_wait_alu 0xfffd
	v_add_co_ci_u32_e64 v31, null, s7, v31, vcc_lo
	v_dual_mov_b32 v43, v25 :: v_dual_mov_b32 v42, v24
	v_dual_mov_b32 v45, v27 :: v_dual_mov_b32 v44, v26
	global_load_b32 v11, v[30:31], off
	v_dual_mov_b32 v31, v19 :: v_dual_mov_b32 v30, v18
	s_mov_b32 s4, 0
	s_wait_loadcnt 0x0
	v_subrev_nc_u32_e32 v11, s12, v11
	s_delay_alu instid0(VALU_DEP_1)
	v_mul_lo_u32 v11, v11, 7
	s_branch .LBB139_20
.LBB139_19:                             ;   in Loop: Header=BB139_20 Depth=2
	s_wait_alu 0xfffe
	s_and_not1_b32 vcc_lo, exec_lo, s5
	s_wait_alu 0xfffe
	s_cbranch_vccz .LBB139_17
.LBB139_20:                             ;   Parent Loop BB139_18 Depth=1
                                        ; =>  This Inner Loop Header: Depth=2
	s_wait_alu 0xfffe
	v_dual_mov_b32 v15, v29 :: v_dual_add_nc_u32 v28, s4, v47
	v_dual_mov_b32 v17, v29 :: v_dual_add_nc_u32 v48, s4, v46
	s_cmp_eq_u32 s4, 6
	s_delay_alu instid0(VALU_DEP_2) | instskip(NEXT) | instid1(VALU_DEP_4)
	v_lshlrev_b64_e32 v[12:13], 4, v[28:29]
	v_dual_mov_b32 v21, v29 :: v_dual_add_nc_u32 v28, s4, v11
	s_delay_alu instid0(VALU_DEP_3) | instskip(SKIP_2) | instid1(VALU_DEP_4)
	v_add_nc_u32_e32 v14, 7, v48
	v_add_nc_u32_e32 v16, 14, v48
	;; [unrolled: 1-line block ×3, first 2 shown]
	v_lshlrev_b64_e32 v[18:19], 4, v[28:29]
	v_add_co_u32 v12, vcc_lo, s8, v12
	v_lshlrev_b64_e32 v[22:23], 4, v[14:15]
	v_lshlrev_b64_e32 v[24:25], 4, v[16:17]
	s_wait_alu 0xfffd
	v_add_co_ci_u32_e64 v13, null, s9, v13, vcc_lo
	v_add_co_u32 v18, vcc_lo, s10, v18
	v_lshlrev_b64_e32 v[20:21], 4, v[20:21]
	s_wait_alu 0xfffd
	v_add_co_ci_u32_e64 v19, null, s11, v19, vcc_lo
	v_add_co_u32 v22, vcc_lo, s8, v22
	s_wait_alu 0xfffd
	v_add_co_ci_u32_e64 v23, null, s9, v23, vcc_lo
	v_add_co_u32 v24, vcc_lo, s8, v24
	;; [unrolled: 3-line block ×3, first 2 shown]
	s_wait_alu 0xfffd
	v_add_co_ci_u32_e64 v27, null, s9, v21, vcc_lo
	global_load_b128 v[12:15], v[12:13], off
	global_load_b128 v[16:19], v[18:19], off
	s_clause 0x2
	global_load_b128 v[20:23], v[22:23], off
	global_load_b128 v[50:53], v[24:25], off
	;; [unrolled: 1-line block ×3, first 2 shown]
	s_mov_b32 s5, -1
	s_wait_loadcnt 0x3
	v_fma_f64 v[24:25], v[12:13], v[16:17], v[36:37]
	v_fma_f64 v[26:27], v[14:15], v[16:17], v[34:35]
	s_wait_loadcnt 0x2
	v_fma_f64 v[34:35], v[20:21], v[16:17], v[42:43]
	v_fma_f64 v[36:37], v[22:23], v[16:17], v[44:45]
	;; [unrolled: 3-line block ×4, first 2 shown]
                                        ; implicit-def: $vgpr44_vgpr45
                                        ; implicit-def: $vgpr42_vgpr43
	v_fma_f64 v[14:15], -v[14:15], v[18:19], v[24:25]
	v_fma_f64 v[12:13], v[12:13], v[18:19], v[26:27]
	v_fma_f64 v[24:25], -v[22:23], v[18:19], v[34:35]
	v_fma_f64 v[26:27], v[20:21], v[18:19], v[36:37]
	v_fma_f64 v[20:21], -v[52:53], v[18:19], v[38:39]
	v_fma_f64 v[22:23], v[50:51], v[18:19], v[40:41]
	v_fma_f64 v[16:17], -v[56:57], v[18:19], v[32:33]
	v_fma_f64 v[18:19], v[54:55], v[18:19], v[30:31]
                                        ; implicit-def: $vgpr40_vgpr41
                                        ; implicit-def: $vgpr38_vgpr39
                                        ; implicit-def: $vgpr30_vgpr31
                                        ; implicit-def: $vgpr32_vgpr33
                                        ; implicit-def: $vgpr36_vgpr37
                                        ; implicit-def: $vgpr34_vgpr35
	s_cbranch_scc1 .LBB139_19
; %bb.21:                               ;   in Loop: Header=BB139_20 Depth=2
	v_dual_mov_b32 v31, v29 :: v_dual_add_nc_u32 v30, 1, v48
	v_add_nc_u32_e32 v28, 1, v28
	s_add_co_i32 s4, s4, 2
	s_mov_b32 s5, 0
	s_delay_alu instid0(VALU_DEP_2) | instskip(NEXT) | instid1(VALU_DEP_2)
	v_lshlrev_b64_e32 v[30:31], 4, v[30:31]
	v_lshlrev_b64_e32 v[32:33], 4, v[28:29]
	v_add_nc_u32_e32 v28, 8, v48
	s_delay_alu instid0(VALU_DEP_3) | instskip(SKIP_1) | instid1(VALU_DEP_4)
	v_add_co_u32 v30, vcc_lo, s8, v30
	s_wait_alu 0xfffd
	v_add_co_ci_u32_e64 v31, null, s9, v31, vcc_lo
	s_delay_alu instid0(VALU_DEP_4)
	v_add_co_u32 v34, vcc_lo, s10, v32
	v_lshlrev_b64_e32 v[36:37], 4, v[28:29]
	v_add_nc_u32_e32 v28, 15, v48
	s_wait_alu 0xfffd
	v_add_co_ci_u32_e64 v35, null, s11, v33, vcc_lo
	global_load_b128 v[30:33], v[30:31], off
	global_load_b128 v[50:53], v[34:35], off
	v_lshlrev_b64_e32 v[34:35], 4, v[28:29]
	v_add_nc_u32_e32 v28, 22, v48
	v_add_co_u32 v36, vcc_lo, s8, v36
	s_wait_alu 0xfffd
	v_add_co_ci_u32_e64 v37, null, s9, v37, vcc_lo
	s_delay_alu instid0(VALU_DEP_3) | instskip(SKIP_3) | instid1(VALU_DEP_3)
	v_lshlrev_b64_e32 v[38:39], 4, v[28:29]
	v_add_co_u32 v34, vcc_lo, s8, v34
	s_wait_alu 0xfffd
	v_add_co_ci_u32_e64 v35, null, s9, v35, vcc_lo
	v_add_co_u32 v42, vcc_lo, s8, v38
	s_wait_alu 0xfffd
	v_add_co_ci_u32_e64 v43, null, s9, v39, vcc_lo
	s_clause 0x2
	global_load_b128 v[38:41], v[36:37], off
	global_load_b128 v[54:57], v[34:35], off
	;; [unrolled: 1-line block ×3, first 2 shown]
	s_wait_loadcnt 0x3
	v_fma_f64 v[34:35], v[30:31], v[50:51], v[14:15]
	v_fma_f64 v[42:43], v[32:33], v[50:51], v[12:13]
	s_wait_loadcnt 0x2
	v_fma_f64 v[44:45], v[38:39], v[50:51], v[24:25]
	v_fma_f64 v[62:63], v[40:41], v[50:51], v[26:27]
	;; [unrolled: 3-line block ×4, first 2 shown]
	v_fma_f64 v[36:37], -v[32:33], v[52:53], v[34:35]
	v_fma_f64 v[34:35], v[30:31], v[52:53], v[42:43]
	v_fma_f64 v[42:43], -v[40:41], v[52:53], v[44:45]
	v_fma_f64 v[44:45], v[38:39], v[52:53], v[62:63]
	;; [unrolled: 2-line block ×4, first 2 shown]
	s_branch .LBB139_19
.LBB139_22:
	s_or_b32 exec_lo, exec_lo, s2
.LBB139_23:
	s_wait_alu 0xfffe
	s_or_b32 exec_lo, exec_lo, s3
.LBB139_24:
	v_mbcnt_lo_u32_b32 v42, -1, 0
	s_delay_alu instid0(VALU_DEP_1) | instskip(NEXT) | instid1(VALU_DEP_1)
	v_xor_b32_e32 v10, 16, v42
	v_cmp_gt_i32_e32 vcc_lo, 32, v10
	s_wait_alu 0xfffd
	v_cndmask_b32_e32 v10, v42, v10, vcc_lo
	s_delay_alu instid0(VALU_DEP_1)
	v_lshlrev_b32_e32 v41, 2, v10
	ds_bpermute_b32 v10, v41, v14
	ds_bpermute_b32 v11, v41, v15
	;; [unrolled: 1-line block ×16, first 2 shown]
	s_wait_dscnt 0xe
	v_add_f64_e32 v[10:11], v[14:15], v[10:11]
	s_wait_dscnt 0xc
	v_add_f64_e32 v[12:13], v[12:13], v[28:29]
	;; [unrolled: 2-line block ×4, first 2 shown]
	v_xor_b32_e32 v26, 8, v42
	s_wait_dscnt 0x6
	v_add_f64_e32 v[20:21], v[20:21], v[34:35]
	s_wait_dscnt 0x4
	v_add_f64_e32 v[22:23], v[22:23], v[36:37]
	;; [unrolled: 2-line block ×3, first 2 shown]
	v_cmp_gt_i32_e32 vcc_lo, 32, v26
	s_wait_dscnt 0x0
	v_add_f64_e32 v[18:19], v[18:19], v[40:41]
	s_wait_alu 0xfffd
	v_cndmask_b32_e32 v26, v42, v26, vcc_lo
	s_delay_alu instid0(VALU_DEP_1)
	v_lshlrev_b32_e32 v41, 2, v26
	ds_bpermute_b32 v26, v41, v10
	ds_bpermute_b32 v27, v41, v11
	;; [unrolled: 1-line block ×16, first 2 shown]
	s_wait_dscnt 0xe
	v_add_f64_e32 v[10:11], v[10:11], v[26:27]
	v_xor_b32_e32 v26, 4, v42
	s_wait_dscnt 0xc
	v_add_f64_e32 v[12:13], v[12:13], v[28:29]
	s_wait_dscnt 0xa
	v_add_f64_e32 v[14:15], v[14:15], v[30:31]
	;; [unrolled: 2-line block ×3, first 2 shown]
	v_cmp_gt_i32_e32 vcc_lo, 32, v26
	s_wait_dscnt 0x6
	v_add_f64_e32 v[20:21], v[20:21], v[34:35]
	s_wait_dscnt 0x4
	v_add_f64_e32 v[22:23], v[22:23], v[36:37]
	;; [unrolled: 2-line block ×3, first 2 shown]
	s_wait_alu 0xfffd
	v_cndmask_b32_e32 v26, v42, v26, vcc_lo
	s_wait_dscnt 0x0
	v_add_f64_e32 v[18:19], v[18:19], v[40:41]
	s_delay_alu instid0(VALU_DEP_2)
	v_lshlrev_b32_e32 v41, 2, v26
	ds_bpermute_b32 v26, v41, v10
	ds_bpermute_b32 v27, v41, v11
	;; [unrolled: 1-line block ×16, first 2 shown]
	s_wait_dscnt 0xe
	v_add_f64_e32 v[10:11], v[10:11], v[26:27]
	s_wait_dscnt 0xc
	v_add_f64_e32 v[12:13], v[12:13], v[28:29]
	;; [unrolled: 2-line block ×6, first 2 shown]
	v_xor_b32_e32 v22, 2, v42
	s_wait_dscnt 0x2
	v_add_f64_e32 v[16:17], v[16:17], v[38:39]
	s_wait_dscnt 0x0
	v_add_f64_e32 v[18:19], v[18:19], v[40:41]
	v_cmp_gt_i32_e32 vcc_lo, 32, v22
	s_wait_alu 0xfffd
	v_cndmask_b32_e32 v22, v42, v22, vcc_lo
	s_delay_alu instid0(VALU_DEP_1)
	v_lshlrev_b32_e32 v41, 2, v22
	ds_bpermute_b32 v22, v41, v10
	ds_bpermute_b32 v23, v41, v11
	;; [unrolled: 1-line block ×16, first 2 shown]
	s_wait_dscnt 0xe
	v_add_f64_e32 v[10:11], v[10:11], v[22:23]
	s_wait_dscnt 0xc
	v_add_f64_e32 v[24:25], v[12:13], v[24:25]
	;; [unrolled: 2-line block ×4, first 2 shown]
	v_xor_b32_e32 v26, 1, v42
	s_wait_dscnt 0x6
	v_add_f64_e32 v[14:15], v[20:21], v[34:35]
	s_wait_dscnt 0x4
	v_add_f64_e32 v[20:21], v[28:29], v[36:37]
	s_wait_dscnt 0x2
	v_add_f64_e32 v[16:17], v[16:17], v[38:39]
	v_cmp_gt_i32_e32 vcc_lo, 32, v26
	s_wait_dscnt 0x0
	v_add_f64_e32 v[18:19], v[18:19], v[40:41]
	s_wait_alu 0xfffd
	v_cndmask_b32_e32 v26, v42, v26, vcc_lo
	v_cmp_eq_u32_e32 vcc_lo, 31, v0
	s_delay_alu instid0(VALU_DEP_2)
	v_lshlrev_b32_e32 v29, 2, v26
	ds_bpermute_b32 v40, v29, v10
	ds_bpermute_b32 v41, v29, v11
	;; [unrolled: 1-line block ×16, first 2 shown]
	s_and_b32 exec_lo, exec_lo, vcc_lo
	s_cbranch_execz .LBB139_29
; %bb.25:
	v_cmp_eq_f64_e32 vcc_lo, 0, v[5:6]
	v_cmp_eq_f64_e64 s2, 0, v[7:8]
	s_wait_dscnt 0xe
	v_add_f64_e32 v[10:11], v[10:11], v[40:41]
	s_wait_dscnt 0xc
	v_add_f64_e32 v[24:25], v[24:25], v[38:39]
	;; [unrolled: 2-line block ×8, first 2 shown]
	s_load_b64 s[0:1], s[0:1], 0x48
	s_and_b32 s2, vcc_lo, s2
	s_wait_alu 0xfffe
	s_and_saveexec_b32 s3, s2
	s_wait_alu 0xfffe
	s_xor_b32 s2, exec_lo, s3
	s_cbranch_execz .LBB139_27
; %bb.26:
	v_mul_f64_e64 v[5:6], v[24:25], -v[3:4]
	v_mul_f64_e32 v[7:8], v[1:2], v[24:25]
	v_mul_f64_e64 v[24:25], v[22:23], -v[3:4]
	v_mul_f64_e32 v[22:23], v[1:2], v[22:23]
	;; [unrolled: 2-line block ×4, first 2 shown]
	v_fma_f64 v[5:6], v[1:2], v[10:11], v[5:6]
	v_fma_f64 v[7:8], v[3:4], v[10:11], v[7:8]
	;; [unrolled: 1-line block ×8, first 2 shown]
	v_lshlrev_b32_e32 v14, 2, v9
                                        ; implicit-def: $vgpr9
                                        ; implicit-def: $vgpr24_vgpr25
                                        ; implicit-def: $vgpr22_vgpr23
                                        ; implicit-def: $vgpr16_vgpr17
	s_delay_alu instid0(VALU_DEP_1) | instskip(NEXT) | instid1(VALU_DEP_1)
	v_ashrrev_i32_e32 v15, 31, v14
	v_lshlrev_b64_e32 v[14:15], 4, v[14:15]
	s_wait_kmcnt 0x0
	s_delay_alu instid0(VALU_DEP_1) | instskip(SKIP_1) | instid1(VALU_DEP_2)
	v_add_co_u32 v14, vcc_lo, s0, v14
	s_wait_alu 0xfffd
	v_add_co_ci_u32_e64 v15, null, s1, v15, vcc_lo
	s_clause 0x3
	global_store_b128 v[14:15], v[5:8], off
	global_store_b128 v[14:15], v[10:13], off offset:16
	global_store_b128 v[14:15], v[18:21], off offset:32
	;; [unrolled: 1-line block ×3, first 2 shown]
                                        ; implicit-def: $vgpr10_vgpr11
                                        ; implicit-def: $vgpr12_vgpr13
                                        ; implicit-def: $vgpr14_vgpr15
                                        ; implicit-def: $vgpr20_vgpr21
                                        ; implicit-def: $vgpr18_vgpr19
                                        ; implicit-def: $vgpr7_vgpr8
                                        ; implicit-def: $vgpr3_vgpr4
.LBB139_27:
	s_wait_alu 0xfffe
	s_and_not1_saveexec_b32 s2, s2
	s_cbranch_execz .LBB139_29
; %bb.28:
	v_lshlrev_b32_e32 v26, 2, v9
	v_mul_f64_e64 v[44:45], v[24:25], -v[3:4]
	v_mul_f64_e32 v[24:25], v[1:2], v[24:25]
	v_mul_f64_e64 v[46:47], v[22:23], -v[3:4]
	v_mul_f64_e32 v[22:23], v[1:2], v[22:23]
	v_ashrrev_i32_e32 v27, 31, v26
	v_mul_f64_e64 v[48:49], v[20:21], -v[3:4]
	v_mul_f64_e32 v[20:21], v[1:2], v[20:21]
	v_mul_f64_e64 v[50:51], v[18:19], -v[3:4]
	v_mul_f64_e32 v[18:19], v[1:2], v[18:19]
	v_lshlrev_b64_e32 v[26:27], 4, v[26:27]
	s_wait_kmcnt 0x0
	s_delay_alu instid0(VALU_DEP_1) | instskip(SKIP_1) | instid1(VALU_DEP_2)
	v_add_co_u32 v42, vcc_lo, s0, v26
	s_wait_alu 0xfffd
	v_add_co_ci_u32_e64 v43, null, s1, v27, vcc_lo
	s_clause 0x3
	global_load_b128 v[26:29], v[42:43], off
	global_load_b128 v[30:33], v[42:43], off offset:16
	global_load_b128 v[34:37], v[42:43], off offset:32
	;; [unrolled: 1-line block ×3, first 2 shown]
	v_fma_f64 v[44:45], v[1:2], v[10:11], v[44:45]
	v_fma_f64 v[9:10], v[3:4], v[10:11], v[24:25]
	;; [unrolled: 1-line block ×8, first 2 shown]
	s_wait_loadcnt 0x3
	v_fma_f64 v[15:16], v[5:6], v[26:27], v[44:45]
	v_fma_f64 v[9:10], v[7:8], v[26:27], v[9:10]
	s_wait_loadcnt 0x2
	v_fma_f64 v[17:18], v[5:6], v[30:31], v[24:25]
	v_fma_f64 v[11:12], v[7:8], v[30:31], v[11:12]
	;; [unrolled: 3-line block ×4, first 2 shown]
	v_fma_f64 v[0:1], -v[7:8], v[28:29], v[15:16]
	v_fma_f64 v[2:3], v[5:6], v[28:29], v[9:10]
	v_fma_f64 v[9:10], -v[7:8], v[32:33], v[17:18]
	v_fma_f64 v[11:12], v[5:6], v[32:33], v[11:12]
	;; [unrolled: 2-line block ×4, first 2 shown]
	s_clause 0x3
	global_store_b128 v[42:43], v[0:3], off
	global_store_b128 v[42:43], v[9:12], off offset:16
	global_store_b128 v[42:43], v[13:16], off offset:32
	;; [unrolled: 1-line block ×3, first 2 shown]
.LBB139_29:
	s_endpgm
	.section	.rodata,"a",@progbits
	.p2align	6, 0x0
	.amdhsa_kernel _ZN9rocsparseL19gebsrmvn_4xn_kernelILj128ELj7ELj32E21rocsparse_complex_numIdEEEvi20rocsparse_direction_NS_24const_host_device_scalarIT2_EEPKiS8_PKS5_SA_S6_PS5_21rocsparse_index_base_b
		.amdhsa_group_segment_fixed_size 0
		.amdhsa_private_segment_fixed_size 0
		.amdhsa_kernarg_size 88
		.amdhsa_user_sgpr_count 2
		.amdhsa_user_sgpr_dispatch_ptr 0
		.amdhsa_user_sgpr_queue_ptr 0
		.amdhsa_user_sgpr_kernarg_segment_ptr 1
		.amdhsa_user_sgpr_dispatch_id 0
		.amdhsa_user_sgpr_private_segment_size 0
		.amdhsa_wavefront_size32 1
		.amdhsa_uses_dynamic_stack 0
		.amdhsa_enable_private_segment 0
		.amdhsa_system_sgpr_workgroup_id_x 1
		.amdhsa_system_sgpr_workgroup_id_y 0
		.amdhsa_system_sgpr_workgroup_id_z 0
		.amdhsa_system_sgpr_workgroup_info 0
		.amdhsa_system_vgpr_workitem_id 0
		.amdhsa_next_free_vgpr 70
		.amdhsa_next_free_sgpr 14
		.amdhsa_reserve_vcc 1
		.amdhsa_float_round_mode_32 0
		.amdhsa_float_round_mode_16_64 0
		.amdhsa_float_denorm_mode_32 3
		.amdhsa_float_denorm_mode_16_64 3
		.amdhsa_fp16_overflow 0
		.amdhsa_workgroup_processor_mode 1
		.amdhsa_memory_ordered 1
		.amdhsa_forward_progress 1
		.amdhsa_inst_pref_size 33
		.amdhsa_round_robin_scheduling 0
		.amdhsa_exception_fp_ieee_invalid_op 0
		.amdhsa_exception_fp_denorm_src 0
		.amdhsa_exception_fp_ieee_div_zero 0
		.amdhsa_exception_fp_ieee_overflow 0
		.amdhsa_exception_fp_ieee_underflow 0
		.amdhsa_exception_fp_ieee_inexact 0
		.amdhsa_exception_int_div_zero 0
	.end_amdhsa_kernel
	.section	.text._ZN9rocsparseL19gebsrmvn_4xn_kernelILj128ELj7ELj32E21rocsparse_complex_numIdEEEvi20rocsparse_direction_NS_24const_host_device_scalarIT2_EEPKiS8_PKS5_SA_S6_PS5_21rocsparse_index_base_b,"axG",@progbits,_ZN9rocsparseL19gebsrmvn_4xn_kernelILj128ELj7ELj32E21rocsparse_complex_numIdEEEvi20rocsparse_direction_NS_24const_host_device_scalarIT2_EEPKiS8_PKS5_SA_S6_PS5_21rocsparse_index_base_b,comdat
.Lfunc_end139:
	.size	_ZN9rocsparseL19gebsrmvn_4xn_kernelILj128ELj7ELj32E21rocsparse_complex_numIdEEEvi20rocsparse_direction_NS_24const_host_device_scalarIT2_EEPKiS8_PKS5_SA_S6_PS5_21rocsparse_index_base_b, .Lfunc_end139-_ZN9rocsparseL19gebsrmvn_4xn_kernelILj128ELj7ELj32E21rocsparse_complex_numIdEEEvi20rocsparse_direction_NS_24const_host_device_scalarIT2_EEPKiS8_PKS5_SA_S6_PS5_21rocsparse_index_base_b
                                        ; -- End function
	.set _ZN9rocsparseL19gebsrmvn_4xn_kernelILj128ELj7ELj32E21rocsparse_complex_numIdEEEvi20rocsparse_direction_NS_24const_host_device_scalarIT2_EEPKiS8_PKS5_SA_S6_PS5_21rocsparse_index_base_b.num_vgpr, 70
	.set _ZN9rocsparseL19gebsrmvn_4xn_kernelILj128ELj7ELj32E21rocsparse_complex_numIdEEEvi20rocsparse_direction_NS_24const_host_device_scalarIT2_EEPKiS8_PKS5_SA_S6_PS5_21rocsparse_index_base_b.num_agpr, 0
	.set _ZN9rocsparseL19gebsrmvn_4xn_kernelILj128ELj7ELj32E21rocsparse_complex_numIdEEEvi20rocsparse_direction_NS_24const_host_device_scalarIT2_EEPKiS8_PKS5_SA_S6_PS5_21rocsparse_index_base_b.numbered_sgpr, 14
	.set _ZN9rocsparseL19gebsrmvn_4xn_kernelILj128ELj7ELj32E21rocsparse_complex_numIdEEEvi20rocsparse_direction_NS_24const_host_device_scalarIT2_EEPKiS8_PKS5_SA_S6_PS5_21rocsparse_index_base_b.num_named_barrier, 0
	.set _ZN9rocsparseL19gebsrmvn_4xn_kernelILj128ELj7ELj32E21rocsparse_complex_numIdEEEvi20rocsparse_direction_NS_24const_host_device_scalarIT2_EEPKiS8_PKS5_SA_S6_PS5_21rocsparse_index_base_b.private_seg_size, 0
	.set _ZN9rocsparseL19gebsrmvn_4xn_kernelILj128ELj7ELj32E21rocsparse_complex_numIdEEEvi20rocsparse_direction_NS_24const_host_device_scalarIT2_EEPKiS8_PKS5_SA_S6_PS5_21rocsparse_index_base_b.uses_vcc, 1
	.set _ZN9rocsparseL19gebsrmvn_4xn_kernelILj128ELj7ELj32E21rocsparse_complex_numIdEEEvi20rocsparse_direction_NS_24const_host_device_scalarIT2_EEPKiS8_PKS5_SA_S6_PS5_21rocsparse_index_base_b.uses_flat_scratch, 0
	.set _ZN9rocsparseL19gebsrmvn_4xn_kernelILj128ELj7ELj32E21rocsparse_complex_numIdEEEvi20rocsparse_direction_NS_24const_host_device_scalarIT2_EEPKiS8_PKS5_SA_S6_PS5_21rocsparse_index_base_b.has_dyn_sized_stack, 0
	.set _ZN9rocsparseL19gebsrmvn_4xn_kernelILj128ELj7ELj32E21rocsparse_complex_numIdEEEvi20rocsparse_direction_NS_24const_host_device_scalarIT2_EEPKiS8_PKS5_SA_S6_PS5_21rocsparse_index_base_b.has_recursion, 0
	.set _ZN9rocsparseL19gebsrmvn_4xn_kernelILj128ELj7ELj32E21rocsparse_complex_numIdEEEvi20rocsparse_direction_NS_24const_host_device_scalarIT2_EEPKiS8_PKS5_SA_S6_PS5_21rocsparse_index_base_b.has_indirect_call, 0
	.section	.AMDGPU.csdata,"",@progbits
; Kernel info:
; codeLenInByte = 4204
; TotalNumSgprs: 16
; NumVgprs: 70
; ScratchSize: 0
; MemoryBound: 0
; FloatMode: 240
; IeeeMode: 1
; LDSByteSize: 0 bytes/workgroup (compile time only)
; SGPRBlocks: 0
; VGPRBlocks: 8
; NumSGPRsForWavesPerEU: 16
; NumVGPRsForWavesPerEU: 70
; Occupancy: 16
; WaveLimiterHint : 1
; COMPUTE_PGM_RSRC2:SCRATCH_EN: 0
; COMPUTE_PGM_RSRC2:USER_SGPR: 2
; COMPUTE_PGM_RSRC2:TRAP_HANDLER: 0
; COMPUTE_PGM_RSRC2:TGID_X_EN: 1
; COMPUTE_PGM_RSRC2:TGID_Y_EN: 0
; COMPUTE_PGM_RSRC2:TGID_Z_EN: 0
; COMPUTE_PGM_RSRC2:TIDIG_COMP_CNT: 0
	.section	.text._ZN9rocsparseL19gebsrmvn_4xn_kernelILj128ELj7ELj64E21rocsparse_complex_numIdEEEvi20rocsparse_direction_NS_24const_host_device_scalarIT2_EEPKiS8_PKS5_SA_S6_PS5_21rocsparse_index_base_b,"axG",@progbits,_ZN9rocsparseL19gebsrmvn_4xn_kernelILj128ELj7ELj64E21rocsparse_complex_numIdEEEvi20rocsparse_direction_NS_24const_host_device_scalarIT2_EEPKiS8_PKS5_SA_S6_PS5_21rocsparse_index_base_b,comdat
	.globl	_ZN9rocsparseL19gebsrmvn_4xn_kernelILj128ELj7ELj64E21rocsparse_complex_numIdEEEvi20rocsparse_direction_NS_24const_host_device_scalarIT2_EEPKiS8_PKS5_SA_S6_PS5_21rocsparse_index_base_b ; -- Begin function _ZN9rocsparseL19gebsrmvn_4xn_kernelILj128ELj7ELj64E21rocsparse_complex_numIdEEEvi20rocsparse_direction_NS_24const_host_device_scalarIT2_EEPKiS8_PKS5_SA_S6_PS5_21rocsparse_index_base_b
	.p2align	8
	.type	_ZN9rocsparseL19gebsrmvn_4xn_kernelILj128ELj7ELj64E21rocsparse_complex_numIdEEEvi20rocsparse_direction_NS_24const_host_device_scalarIT2_EEPKiS8_PKS5_SA_S6_PS5_21rocsparse_index_base_b,@function
_ZN9rocsparseL19gebsrmvn_4xn_kernelILj128ELj7ELj64E21rocsparse_complex_numIdEEEvi20rocsparse_direction_NS_24const_host_device_scalarIT2_EEPKiS8_PKS5_SA_S6_PS5_21rocsparse_index_base_b: ; @_ZN9rocsparseL19gebsrmvn_4xn_kernelILj128ELj7ELj64E21rocsparse_complex_numIdEEEvi20rocsparse_direction_NS_24const_host_device_scalarIT2_EEPKiS8_PKS5_SA_S6_PS5_21rocsparse_index_base_b
; %bb.0:
	s_clause 0x1
	s_load_b64 s[12:13], s[0:1], 0x50
	s_load_b64 s[2:3], s[0:1], 0x8
	s_add_nc_u64 s[4:5], s[0:1], 8
	s_load_b64 s[6:7], s[0:1], 0x38
	s_wait_kmcnt 0x0
	s_bitcmp1_b32 s13, 0
	s_cselect_b32 s2, s4, s2
	s_cselect_b32 s3, s5, s3
	s_delay_alu instid0(SALU_CYCLE_1)
	v_dual_mov_b32 v1, s2 :: v_dual_mov_b32 v2, s3
	s_add_nc_u64 s[2:3], s[0:1], 56
	s_wait_alu 0xfffe
	s_cselect_b32 s2, s2, s6
	s_cselect_b32 s3, s3, s7
	flat_load_b128 v[1:4], v[1:2]
	s_wait_alu 0xfffe
	v_dual_mov_b32 v5, s2 :: v_dual_mov_b32 v6, s3
	flat_load_b128 v[5:8], v[5:6]
	s_wait_loadcnt_dscnt 0x101
	v_cmp_eq_f64_e32 vcc_lo, 0, v[1:2]
	v_cmp_eq_f64_e64 s2, 0, v[3:4]
	s_and_b32 s4, vcc_lo, s2
	s_mov_b32 s2, -1
	s_and_saveexec_b32 s3, s4
	s_cbranch_execz .LBB140_2
; %bb.1:
	s_wait_loadcnt_dscnt 0x0
	v_cmp_neq_f64_e32 vcc_lo, 1.0, v[5:6]
	v_cmp_neq_f64_e64 s2, 0, v[7:8]
	s_wait_alu 0xfffe
	s_or_b32 s2, vcc_lo, s2
	s_wait_alu 0xfffe
	s_or_not1_b32 s2, s2, exec_lo
.LBB140_2:
	s_wait_alu 0xfffe
	s_or_b32 exec_lo, exec_lo, s3
	s_and_saveexec_b32 s3, s2
	s_cbranch_execz .LBB140_29
; %bb.3:
	s_load_b64 s[2:3], s[0:1], 0x0
	v_lshrrev_b32_e32 v9, 6, v0
	s_delay_alu instid0(VALU_DEP_1) | instskip(SKIP_1) | instid1(VALU_DEP_1)
	v_lshl_or_b32 v9, ttmp9, 1, v9
	s_wait_kmcnt 0x0
	v_cmp_gt_i32_e32 vcc_lo, s2, v9
	s_and_b32 exec_lo, exec_lo, vcc_lo
	s_cbranch_execz .LBB140_29
; %bb.4:
	s_load_b256 s[4:11], s[0:1], 0x18
	v_ashrrev_i32_e32 v10, 31, v9
	v_and_b32_e32 v0, 63, v0
	s_cmp_lg_u32 s3, 0
	s_delay_alu instid0(VALU_DEP_2) | instskip(SKIP_1) | instid1(VALU_DEP_1)
	v_lshlrev_b64_e32 v[10:11], 2, v[9:10]
	s_wait_kmcnt 0x0
	v_add_co_u32 v10, vcc_lo, s4, v10
	s_delay_alu instid0(VALU_DEP_1) | instskip(SKIP_4) | instid1(VALU_DEP_2)
	v_add_co_ci_u32_e64 v11, null, s5, v11, vcc_lo
	global_load_b64 v[15:16], v[10:11], off
	s_wait_loadcnt 0x0
	v_subrev_nc_u32_e32 v10, s12, v15
	v_subrev_nc_u32_e32 v49, s12, v16
	v_add_nc_u32_e32 v14, v10, v0
	s_delay_alu instid0(VALU_DEP_1)
	v_cmp_lt_i32_e64 s2, v14, v49
	s_cbranch_scc0 .LBB140_12
; %bb.5:
	v_mov_b32_e32 v10, 0
	v_mov_b32_e32 v16, 0
	v_mov_b32_e32 v20, 0
	v_dual_mov_b32 v24, 0 :: v_dual_mov_b32 v11, 0
	v_dual_mov_b32 v12, 0 :: v_dual_mov_b32 v17, 0
	;; [unrolled: 1-line block ×5, first 2 shown]
	v_mov_b32_e32 v19, 0
	v_mov_b32_e32 v23, 0
	;; [unrolled: 1-line block ×3, first 2 shown]
	s_and_saveexec_b32 s3, s2
	s_cbranch_execz .LBB140_14
; %bb.6:
	v_dual_mov_b32 v10, 0 :: v_dual_mov_b32 v29, 0
	v_dual_mov_b32 v11, 0 :: v_dual_mov_b32 v12, 0
	;; [unrolled: 1-line block ×5, first 2 shown]
	v_mul_lo_u32 v50, v14, 28
	v_dual_mov_b32 v21, 0 :: v_dual_mov_b32 v22, 0
	v_dual_mov_b32 v23, 0 :: v_dual_mov_b32 v24, 0
	;; [unrolled: 1-line block ×4, first 2 shown]
	s_mov_b32 s4, 0
	s_branch .LBB140_8
.LBB140_7:                              ;   in Loop: Header=BB140_8 Depth=1
	v_add_nc_u32_e32 v30, 64, v30
	v_add_nc_u32_e32 v50, 0x700, v50
	s_delay_alu instid0(VALU_DEP_2)
	v_cmp_ge_i32_e32 vcc_lo, v30, v49
	s_or_b32 s4, vcc_lo, s4
	s_wait_alu 0xfffe
	s_and_not1_b32 exec_lo, exec_lo, s4
	s_cbranch_execz .LBB140_13
.LBB140_8:                              ; =>This Loop Header: Depth=1
                                        ;     Child Loop BB140_10 Depth 2
	s_delay_alu instid0(VALU_DEP_1)
	v_ashrrev_i32_e32 v31, 31, v30
	v_mov_b32_e32 v42, v11
	v_mov_b32_e32 v46, v13
	;; [unrolled: 1-line block ×4, first 2 shown]
	v_lshlrev_b64_e32 v[31:32], 2, v[30:31]
	v_mov_b32_e32 v44, v25
	v_mov_b32_e32 v40, v27
	v_dual_mov_b32 v28, v50 :: v_dual_mov_b32 v41, v10
	v_mov_b32_e32 v45, v12
	v_add_co_u32 v31, vcc_lo, s6, v31
	s_wait_alu 0xfffd
	v_add_co_ci_u32_e64 v32, null, s7, v32, vcc_lo
	v_mov_b32_e32 v33, v16
	v_mov_b32_e32 v39, v26
	s_mov_b32 s5, 0
	global_load_b32 v31, v[31:32], off
	v_mov_b32_e32 v37, v20
	v_mov_b32_e32 v43, v24
	s_wait_loadcnt 0x0
	v_subrev_nc_u32_e32 v35, s12, v31
	v_dual_mov_b32 v32, v19 :: v_dual_mov_b32 v31, v18
	s_delay_alu instid0(VALU_DEP_2)
	v_mul_lo_u32 v51, v35, 7
	v_dual_mov_b32 v36, v23 :: v_dual_mov_b32 v35, v22
	s_branch .LBB140_10
.LBB140_9:                              ;   in Loop: Header=BB140_8 Depth=1
                                        ; implicit-def: $vgpr39_vgpr40
                                        ; implicit-def: $vgpr43_vgpr44
                                        ; implicit-def: $vgpr35_vgpr36
                                        ; implicit-def: $vgpr37_vgpr38
                                        ; implicit-def: $vgpr31_vgpr32
                                        ; implicit-def: $vgpr33_vgpr34
                                        ; implicit-def: $vgpr45_vgpr46
                                        ; implicit-def: $vgpr41_vgpr42
                                        ; implicit-def: $sgpr5
	s_branch .LBB140_7
.LBB140_10:                             ;   Parent Loop BB140_8 Depth=1
                                        ; =>  This Inner Loop Header: Depth=2
	s_wait_alu 0xfffe
	s_delay_alu instid0(VALU_DEP_2) | instskip(SKIP_2) | instid1(VALU_DEP_2)
	v_dual_mov_b32 v48, v29 :: v_dual_add_nc_u32 v47, s5, v51
	v_lshlrev_b64_e32 v[12:13], 4, v[28:29]
	s_cmp_eq_u32 s5, 6
	v_lshlrev_b64_e32 v[10:11], 4, v[47:48]
	s_delay_alu instid0(VALU_DEP_1) | instskip(SKIP_1) | instid1(VALU_DEP_2)
	v_add_co_u32 v10, vcc_lo, s10, v10
	s_wait_alu 0xfffd
	v_add_co_ci_u32_e64 v11, null, s11, v11, vcc_lo
	v_add_co_u32 v24, vcc_lo, s8, v12
	s_wait_alu 0xfffd
	v_add_co_ci_u32_e64 v25, null, s9, v13, vcc_lo
	global_load_b128 v[16:19], v[10:11], off
	s_clause 0x3
	global_load_b128 v[10:13], v[24:25], off
	global_load_b128 v[20:23], v[24:25], off offset:16
	global_load_b128 v[52:55], v[24:25], off offset:32
	;; [unrolled: 1-line block ×3, first 2 shown]
	s_wait_loadcnt 0x3
	v_fma_f64 v[24:25], v[10:11], v[16:17], v[45:46]
	v_fma_f64 v[26:27], v[12:13], v[16:17], v[41:42]
	s_wait_loadcnt 0x2
	v_fma_f64 v[41:42], v[20:21], v[16:17], v[43:44]
	v_fma_f64 v[39:40], v[22:23], v[16:17], v[39:40]
	;; [unrolled: 3-line block ×4, first 2 shown]
	v_fma_f64 v[12:13], -v[12:13], v[18:19], v[24:25]
	v_fma_f64 v[10:11], v[10:11], v[18:19], v[26:27]
	v_fma_f64 v[24:25], -v[22:23], v[18:19], v[41:42]
	v_fma_f64 v[26:27], v[20:21], v[18:19], v[39:40]
	;; [unrolled: 2-line block ×4, first 2 shown]
	s_cbranch_scc1 .LBB140_9
; %bb.11:                               ;   in Loop: Header=BB140_10 Depth=2
	v_dual_mov_b32 v32, v29 :: v_dual_add_nc_u32 v31, 1, v47
	v_dual_mov_b32 v34, v29 :: v_dual_add_nc_u32 v33, 4, v28
	v_add_nc_u32_e32 v28, 8, v28
	s_add_co_i32 s5, s5, 2
	s_delay_alu instid0(VALU_DEP_3) | instskip(NEXT) | instid1(VALU_DEP_3)
	v_lshlrev_b64_e32 v[31:32], 4, v[31:32]
	v_lshlrev_b64_e32 v[33:34], 4, v[33:34]
	s_delay_alu instid0(VALU_DEP_2) | instskip(SKIP_1) | instid1(VALU_DEP_3)
	v_add_co_u32 v31, vcc_lo, s10, v31
	s_wait_alu 0xfffd
	v_add_co_ci_u32_e64 v32, null, s11, v32, vcc_lo
	s_delay_alu instid0(VALU_DEP_3)
	v_add_co_u32 v39, vcc_lo, s8, v33
	s_wait_alu 0xfffd
	v_add_co_ci_u32_e64 v40, null, s9, v34, vcc_lo
	global_load_b128 v[45:48], v[31:32], off
	s_clause 0x3
	global_load_b128 v[31:34], v[39:40], off
	global_load_b128 v[35:38], v[39:40], off offset:16
	global_load_b128 v[52:55], v[39:40], off offset:32
	;; [unrolled: 1-line block ×3, first 2 shown]
	s_wait_loadcnt 0x3
	v_fma_f64 v[39:40], v[31:32], v[45:46], v[12:13]
	v_fma_f64 v[41:42], v[33:34], v[45:46], v[10:11]
	s_wait_loadcnt 0x2
	v_fma_f64 v[43:44], v[35:36], v[45:46], v[24:25]
	v_fma_f64 v[60:61], v[37:38], v[45:46], v[26:27]
	;; [unrolled: 3-line block ×4, first 2 shown]
	v_fma_f64 v[45:46], -v[33:34], v[47:48], v[39:40]
	v_fma_f64 v[41:42], v[31:32], v[47:48], v[41:42]
	v_fma_f64 v[43:44], -v[37:38], v[47:48], v[43:44]
	v_fma_f64 v[39:40], v[35:36], v[47:48], v[60:61]
	;; [unrolled: 2-line block ×4, first 2 shown]
	s_cbranch_execnz .LBB140_10
	s_branch .LBB140_7
.LBB140_12:
                                        ; implicit-def: $vgpr10_vgpr11
                                        ; implicit-def: $vgpr12_vgpr13
                                        ; implicit-def: $vgpr16_vgpr17
                                        ; implicit-def: $vgpr18_vgpr19
                                        ; implicit-def: $vgpr20_vgpr21
                                        ; implicit-def: $vgpr22_vgpr23
                                        ; implicit-def: $vgpr24_vgpr25
                                        ; implicit-def: $vgpr26_vgpr27
	s_branch .LBB140_15
.LBB140_13:
	s_or_b32 exec_lo, exec_lo, s4
.LBB140_14:
	s_wait_alu 0xfffe
	s_or_b32 exec_lo, exec_lo, s3
	s_cbranch_execnz .LBB140_24
.LBB140_15:
	v_mov_b32_e32 v10, 0
	v_mov_b32_e32 v16, 0
	v_mov_b32_e32 v20, 0
	v_dual_mov_b32 v24, 0 :: v_dual_mov_b32 v11, 0
	v_dual_mov_b32 v12, 0 :: v_dual_mov_b32 v17, 0
	;; [unrolled: 1-line block ×5, first 2 shown]
	v_mov_b32_e32 v19, 0
	v_mov_b32_e32 v23, 0
	;; [unrolled: 1-line block ×3, first 2 shown]
	s_and_saveexec_b32 s3, s2
	s_cbranch_execz .LBB140_23
; %bb.16:
	v_mul_lo_u32 v15, v15, 28
	v_mul_lo_u32 v46, v14, 28
	s_mul_i32 s2, s12, 28
	v_mov_b32_e32 v10, 0
	v_mov_b32_e32 v16, 0
	;; [unrolled: 1-line block ×3, first 2 shown]
	v_dual_mov_b32 v24, 0 :: v_dual_mov_b32 v11, 0
	v_mov_b32_e32 v12, 0
	v_mad_u32_u24 v15, v0, 28, v15
	v_dual_mov_b32 v17, 0 :: v_dual_mov_b32 v18, 0
	v_dual_mov_b32 v21, 0 :: v_dual_mov_b32 v22, 0
	;; [unrolled: 1-line block ×3, first 2 shown]
	v_mov_b32_e32 v13, 0
	v_mov_b32_e32 v19, 0
	;; [unrolled: 1-line block ×4, first 2 shown]
	s_wait_alu 0xfffe
	v_subrev_nc_u32_e32 v47, s2, v15
	v_mov_b32_e32 v29, 0
	s_mov_b32 s2, 0
	s_branch .LBB140_18
.LBB140_17:                             ;   in Loop: Header=BB140_18 Depth=1
	v_add_nc_u32_e32 v14, 64, v14
	v_add_nc_u32_e32 v46, 0x700, v46
	v_add_nc_u32_e32 v47, 0x700, v47
	s_delay_alu instid0(VALU_DEP_3)
	v_cmp_ge_i32_e32 vcc_lo, v14, v49
	s_or_b32 s2, vcc_lo, s2
	s_wait_alu 0xfffe
	s_and_not1_b32 exec_lo, exec_lo, s2
	s_cbranch_execz .LBB140_22
.LBB140_18:                             ; =>This Loop Header: Depth=1
                                        ;     Child Loop BB140_20 Depth 2
	v_ashrrev_i32_e32 v15, 31, v14
	v_dual_mov_b32 v35, v11 :: v_dual_mov_b32 v34, v10
	v_dual_mov_b32 v37, v13 :: v_dual_mov_b32 v36, v12
	s_delay_alu instid0(VALU_DEP_3) | instskip(SKIP_3) | instid1(VALU_DEP_4)
	v_lshlrev_b64_e32 v[30:31], 2, v[14:15]
	v_dual_mov_b32 v33, v17 :: v_dual_mov_b32 v32, v16
	v_dual_mov_b32 v39, v21 :: v_dual_mov_b32 v38, v20
	;; [unrolled: 1-line block ×3, first 2 shown]
	v_add_co_u32 v30, vcc_lo, s6, v30
	s_wait_alu 0xfffd
	v_add_co_ci_u32_e64 v31, null, s7, v31, vcc_lo
	v_dual_mov_b32 v43, v25 :: v_dual_mov_b32 v42, v24
	v_dual_mov_b32 v45, v27 :: v_dual_mov_b32 v44, v26
	global_load_b32 v15, v[30:31], off
	v_dual_mov_b32 v31, v19 :: v_dual_mov_b32 v30, v18
	s_mov_b32 s4, 0
	s_wait_loadcnt 0x0
	v_subrev_nc_u32_e32 v15, s12, v15
	s_delay_alu instid0(VALU_DEP_1)
	v_mul_lo_u32 v15, v15, 7
	s_branch .LBB140_20
.LBB140_19:                             ;   in Loop: Header=BB140_20 Depth=2
	s_wait_alu 0xfffe
	s_and_not1_b32 vcc_lo, exec_lo, s5
	s_wait_alu 0xfffe
	s_cbranch_vccz .LBB140_17
.LBB140_20:                             ;   Parent Loop BB140_18 Depth=1
                                        ; =>  This Inner Loop Header: Depth=2
	s_wait_alu 0xfffe
	v_dual_mov_b32 v13, v29 :: v_dual_add_nc_u32 v28, s4, v47
	v_dual_mov_b32 v17, v29 :: v_dual_add_nc_u32 v48, s4, v46
	s_cmp_eq_u32 s4, 6
	s_delay_alu instid0(VALU_DEP_2) | instskip(NEXT) | instid1(VALU_DEP_4)
	v_lshlrev_b64_e32 v[10:11], 4, v[28:29]
	v_dual_mov_b32 v21, v29 :: v_dual_add_nc_u32 v28, s4, v15
	s_delay_alu instid0(VALU_DEP_3) | instskip(SKIP_2) | instid1(VALU_DEP_4)
	v_add_nc_u32_e32 v12, 7, v48
	v_add_nc_u32_e32 v16, 14, v48
	;; [unrolled: 1-line block ×3, first 2 shown]
	v_lshlrev_b64_e32 v[18:19], 4, v[28:29]
	v_add_co_u32 v10, vcc_lo, s8, v10
	v_lshlrev_b64_e32 v[22:23], 4, v[12:13]
	v_lshlrev_b64_e32 v[24:25], 4, v[16:17]
	s_wait_alu 0xfffd
	v_add_co_ci_u32_e64 v11, null, s9, v11, vcc_lo
	v_add_co_u32 v18, vcc_lo, s10, v18
	v_lshlrev_b64_e32 v[20:21], 4, v[20:21]
	s_wait_alu 0xfffd
	v_add_co_ci_u32_e64 v19, null, s11, v19, vcc_lo
	v_add_co_u32 v22, vcc_lo, s8, v22
	s_wait_alu 0xfffd
	v_add_co_ci_u32_e64 v23, null, s9, v23, vcc_lo
	v_add_co_u32 v24, vcc_lo, s8, v24
	;; [unrolled: 3-line block ×3, first 2 shown]
	s_wait_alu 0xfffd
	v_add_co_ci_u32_e64 v27, null, s9, v21, vcc_lo
	global_load_b128 v[10:13], v[10:11], off
	global_load_b128 v[16:19], v[18:19], off
	s_clause 0x2
	global_load_b128 v[20:23], v[22:23], off
	global_load_b128 v[50:53], v[24:25], off
	;; [unrolled: 1-line block ×3, first 2 shown]
	s_mov_b32 s5, -1
	s_wait_loadcnt 0x3
	v_fma_f64 v[24:25], v[10:11], v[16:17], v[36:37]
	v_fma_f64 v[26:27], v[12:13], v[16:17], v[34:35]
	s_wait_loadcnt 0x2
	v_fma_f64 v[34:35], v[20:21], v[16:17], v[42:43]
	v_fma_f64 v[36:37], v[22:23], v[16:17], v[44:45]
	;; [unrolled: 3-line block ×4, first 2 shown]
                                        ; implicit-def: $vgpr44_vgpr45
                                        ; implicit-def: $vgpr42_vgpr43
	v_fma_f64 v[12:13], -v[12:13], v[18:19], v[24:25]
	v_fma_f64 v[10:11], v[10:11], v[18:19], v[26:27]
	v_fma_f64 v[24:25], -v[22:23], v[18:19], v[34:35]
	v_fma_f64 v[26:27], v[20:21], v[18:19], v[36:37]
	;; [unrolled: 2-line block ×4, first 2 shown]
                                        ; implicit-def: $vgpr40_vgpr41
                                        ; implicit-def: $vgpr38_vgpr39
                                        ; implicit-def: $vgpr30_vgpr31
                                        ; implicit-def: $vgpr32_vgpr33
                                        ; implicit-def: $vgpr36_vgpr37
                                        ; implicit-def: $vgpr34_vgpr35
	s_cbranch_scc1 .LBB140_19
; %bb.21:                               ;   in Loop: Header=BB140_20 Depth=2
	v_dual_mov_b32 v31, v29 :: v_dual_add_nc_u32 v30, 1, v48
	v_add_nc_u32_e32 v28, 1, v28
	s_add_co_i32 s4, s4, 2
	s_mov_b32 s5, 0
	s_delay_alu instid0(VALU_DEP_2) | instskip(NEXT) | instid1(VALU_DEP_2)
	v_lshlrev_b64_e32 v[30:31], 4, v[30:31]
	v_lshlrev_b64_e32 v[32:33], 4, v[28:29]
	v_add_nc_u32_e32 v28, 8, v48
	s_delay_alu instid0(VALU_DEP_3) | instskip(SKIP_1) | instid1(VALU_DEP_4)
	v_add_co_u32 v30, vcc_lo, s8, v30
	s_wait_alu 0xfffd
	v_add_co_ci_u32_e64 v31, null, s9, v31, vcc_lo
	s_delay_alu instid0(VALU_DEP_4)
	v_add_co_u32 v34, vcc_lo, s10, v32
	v_lshlrev_b64_e32 v[36:37], 4, v[28:29]
	v_add_nc_u32_e32 v28, 15, v48
	s_wait_alu 0xfffd
	v_add_co_ci_u32_e64 v35, null, s11, v33, vcc_lo
	global_load_b128 v[30:33], v[30:31], off
	global_load_b128 v[50:53], v[34:35], off
	v_lshlrev_b64_e32 v[34:35], 4, v[28:29]
	v_add_nc_u32_e32 v28, 22, v48
	v_add_co_u32 v36, vcc_lo, s8, v36
	s_wait_alu 0xfffd
	v_add_co_ci_u32_e64 v37, null, s9, v37, vcc_lo
	s_delay_alu instid0(VALU_DEP_3) | instskip(SKIP_3) | instid1(VALU_DEP_3)
	v_lshlrev_b64_e32 v[38:39], 4, v[28:29]
	v_add_co_u32 v34, vcc_lo, s8, v34
	s_wait_alu 0xfffd
	v_add_co_ci_u32_e64 v35, null, s9, v35, vcc_lo
	v_add_co_u32 v42, vcc_lo, s8, v38
	s_wait_alu 0xfffd
	v_add_co_ci_u32_e64 v43, null, s9, v39, vcc_lo
	s_clause 0x2
	global_load_b128 v[38:41], v[36:37], off
	global_load_b128 v[54:57], v[34:35], off
	;; [unrolled: 1-line block ×3, first 2 shown]
	s_wait_loadcnt 0x3
	v_fma_f64 v[34:35], v[30:31], v[50:51], v[12:13]
	v_fma_f64 v[42:43], v[32:33], v[50:51], v[10:11]
	s_wait_loadcnt 0x2
	v_fma_f64 v[44:45], v[38:39], v[50:51], v[24:25]
	v_fma_f64 v[62:63], v[40:41], v[50:51], v[26:27]
	;; [unrolled: 3-line block ×4, first 2 shown]
	v_fma_f64 v[36:37], -v[32:33], v[52:53], v[34:35]
	v_fma_f64 v[34:35], v[30:31], v[52:53], v[42:43]
	v_fma_f64 v[42:43], -v[40:41], v[52:53], v[44:45]
	v_fma_f64 v[44:45], v[38:39], v[52:53], v[62:63]
	;; [unrolled: 2-line block ×4, first 2 shown]
	s_branch .LBB140_19
.LBB140_22:
	s_or_b32 exec_lo, exec_lo, s2
.LBB140_23:
	s_wait_alu 0xfffe
	s_or_b32 exec_lo, exec_lo, s3
.LBB140_24:
	v_mbcnt_lo_u32_b32 v44, -1, 0
	s_delay_alu instid0(VALU_DEP_1) | instskip(NEXT) | instid1(VALU_DEP_1)
	v_or_b32_e32 v14, 32, v44
	v_cmp_gt_i32_e32 vcc_lo, 32, v14
	s_wait_alu 0xfffd
	v_cndmask_b32_e32 v14, v44, v14, vcc_lo
	s_delay_alu instid0(VALU_DEP_1)
	v_lshlrev_b32_e32 v41, 2, v14
	ds_bpermute_b32 v14, v41, v12
	ds_bpermute_b32 v15, v41, v13
	;; [unrolled: 1-line block ×16, first 2 shown]
	s_wait_dscnt 0xe
	v_add_f64_e32 v[12:13], v[12:13], v[14:15]
	s_wait_dscnt 0xc
	v_add_f64_e32 v[10:11], v[10:11], v[28:29]
	;; [unrolled: 2-line block ×4, first 2 shown]
	v_xor_b32_e32 v26, 16, v44
	s_wait_dscnt 0x6
	v_add_f64_e32 v[20:21], v[20:21], v[34:35]
	s_wait_dscnt 0x4
	v_add_f64_e32 v[22:23], v[22:23], v[36:37]
	;; [unrolled: 2-line block ×3, first 2 shown]
	v_cmp_gt_i32_e32 vcc_lo, 32, v26
	s_wait_dscnt 0x0
	v_add_f64_e32 v[18:19], v[18:19], v[40:41]
	s_wait_alu 0xfffd
	v_cndmask_b32_e32 v26, v44, v26, vcc_lo
	s_delay_alu instid0(VALU_DEP_1)
	v_lshlrev_b32_e32 v41, 2, v26
	ds_bpermute_b32 v26, v41, v12
	ds_bpermute_b32 v27, v41, v13
	ds_bpermute_b32 v28, v41, v10
	ds_bpermute_b32 v29, v41, v11
	ds_bpermute_b32 v30, v41, v14
	ds_bpermute_b32 v31, v41, v15
	ds_bpermute_b32 v32, v41, v24
	ds_bpermute_b32 v33, v41, v25
	ds_bpermute_b32 v34, v41, v20
	ds_bpermute_b32 v35, v41, v21
	ds_bpermute_b32 v36, v41, v22
	ds_bpermute_b32 v37, v41, v23
	ds_bpermute_b32 v38, v41, v16
	ds_bpermute_b32 v39, v41, v17
	ds_bpermute_b32 v40, v41, v18
	ds_bpermute_b32 v41, v41, v19
	s_wait_dscnt 0xe
	v_add_f64_e32 v[12:13], v[12:13], v[26:27]
	v_xor_b32_e32 v26, 8, v44
	s_wait_dscnt 0xc
	v_add_f64_e32 v[10:11], v[10:11], v[28:29]
	s_wait_dscnt 0xa
	v_add_f64_e32 v[14:15], v[14:15], v[30:31]
	;; [unrolled: 2-line block ×3, first 2 shown]
	v_cmp_gt_i32_e32 vcc_lo, 32, v26
	s_wait_dscnt 0x6
	v_add_f64_e32 v[20:21], v[20:21], v[34:35]
	s_wait_dscnt 0x4
	v_add_f64_e32 v[22:23], v[22:23], v[36:37]
	;; [unrolled: 2-line block ×3, first 2 shown]
	s_wait_alu 0xfffd
	v_cndmask_b32_e32 v26, v44, v26, vcc_lo
	s_wait_dscnt 0x0
	v_add_f64_e32 v[18:19], v[18:19], v[40:41]
	s_delay_alu instid0(VALU_DEP_2)
	v_lshlrev_b32_e32 v41, 2, v26
	ds_bpermute_b32 v26, v41, v12
	ds_bpermute_b32 v27, v41, v13
	;; [unrolled: 1-line block ×16, first 2 shown]
	s_wait_dscnt 0xe
	v_add_f64_e32 v[12:13], v[12:13], v[26:27]
	v_xor_b32_e32 v26, 4, v44
	s_wait_dscnt 0xc
	v_add_f64_e32 v[10:11], v[10:11], v[28:29]
	s_wait_dscnt 0xa
	v_add_f64_e32 v[14:15], v[14:15], v[30:31]
	;; [unrolled: 2-line block ×3, first 2 shown]
	v_cmp_gt_i32_e32 vcc_lo, 32, v26
	s_wait_dscnt 0x6
	v_add_f64_e32 v[20:21], v[20:21], v[34:35]
	s_wait_dscnt 0x4
	v_add_f64_e32 v[22:23], v[22:23], v[36:37]
	;; [unrolled: 2-line block ×3, first 2 shown]
	s_wait_alu 0xfffd
	v_cndmask_b32_e32 v26, v44, v26, vcc_lo
	s_wait_dscnt 0x0
	v_add_f64_e32 v[18:19], v[18:19], v[40:41]
	s_delay_alu instid0(VALU_DEP_2)
	v_lshlrev_b32_e32 v41, 2, v26
	ds_bpermute_b32 v26, v41, v12
	ds_bpermute_b32 v27, v41, v13
	;; [unrolled: 1-line block ×16, first 2 shown]
	s_wait_dscnt 0xe
	v_add_f64_e32 v[12:13], v[12:13], v[26:27]
	s_wait_dscnt 0xc
	v_add_f64_e32 v[26:27], v[10:11], v[28:29]
	v_xor_b32_e32 v10, 2, v44
	s_wait_dscnt 0xa
	v_add_f64_e32 v[14:15], v[14:15], v[30:31]
	s_wait_dscnt 0x8
	v_add_f64_e32 v[28:29], v[24:25], v[32:33]
	s_wait_dscnt 0x6
	v_add_f64_e32 v[20:21], v[20:21], v[34:35]
	v_cmp_gt_i32_e32 vcc_lo, 32, v10
	s_wait_dscnt 0x4
	v_add_f64_e32 v[30:31], v[22:23], v[36:37]
	s_wait_dscnt 0x2
	v_add_f64_e32 v[16:17], v[16:17], v[38:39]
	;; [unrolled: 2-line block ×3, first 2 shown]
	s_wait_alu 0xfffd
	v_cndmask_b32_e32 v10, v44, v10, vcc_lo
	s_delay_alu instid0(VALU_DEP_1)
	v_lshlrev_b32_e32 v24, 2, v10
	ds_bpermute_b32 v10, v24, v12
	ds_bpermute_b32 v11, v24, v13
	;; [unrolled: 1-line block ×16, first 2 shown]
	s_wait_dscnt 0xe
	v_add_f64_e32 v[10:11], v[12:13], v[10:11]
	s_wait_dscnt 0xc
	v_add_f64_e32 v[24:25], v[26:27], v[22:23]
	v_xor_b32_e32 v26, 1, v44
	s_wait_dscnt 0xa
	v_add_f64_e32 v[12:13], v[14:15], v[32:33]
	s_wait_dscnt 0x8
	v_add_f64_e32 v[22:23], v[28:29], v[34:35]
	s_wait_dscnt 0x6
	v_add_f64_e32 v[14:15], v[20:21], v[36:37]
	v_cmp_gt_i32_e32 vcc_lo, 32, v26
	s_wait_dscnt 0x4
	v_add_f64_e32 v[20:21], v[30:31], v[38:39]
	s_wait_dscnt 0x2
	v_add_f64_e32 v[16:17], v[16:17], v[40:41]
	;; [unrolled: 2-line block ×3, first 2 shown]
	s_wait_alu 0xfffd
	v_cndmask_b32_e32 v26, v44, v26, vcc_lo
	v_cmp_eq_u32_e32 vcc_lo, 63, v0
	s_delay_alu instid0(VALU_DEP_2)
	v_lshlrev_b32_e32 v29, 2, v26
	ds_bpermute_b32 v40, v29, v10
	ds_bpermute_b32 v41, v29, v11
	;; [unrolled: 1-line block ×16, first 2 shown]
	s_and_b32 exec_lo, exec_lo, vcc_lo
	s_cbranch_execz .LBB140_29
; %bb.25:
	v_cmp_eq_f64_e32 vcc_lo, 0, v[5:6]
	v_cmp_eq_f64_e64 s2, 0, v[7:8]
	s_wait_dscnt 0xe
	v_add_f64_e32 v[10:11], v[10:11], v[40:41]
	s_wait_dscnt 0xc
	v_add_f64_e32 v[24:25], v[24:25], v[38:39]
	;; [unrolled: 2-line block ×8, first 2 shown]
	s_load_b64 s[0:1], s[0:1], 0x48
	s_and_b32 s2, vcc_lo, s2
	s_wait_alu 0xfffe
	s_and_saveexec_b32 s3, s2
	s_wait_alu 0xfffe
	s_xor_b32 s2, exec_lo, s3
	s_cbranch_execz .LBB140_27
; %bb.26:
	v_mul_f64_e64 v[5:6], v[24:25], -v[3:4]
	v_mul_f64_e32 v[7:8], v[1:2], v[24:25]
	v_mul_f64_e64 v[24:25], v[22:23], -v[3:4]
	v_mul_f64_e32 v[22:23], v[1:2], v[22:23]
	;; [unrolled: 2-line block ×4, first 2 shown]
	v_fma_f64 v[5:6], v[1:2], v[10:11], v[5:6]
	v_fma_f64 v[7:8], v[3:4], v[10:11], v[7:8]
	;; [unrolled: 1-line block ×8, first 2 shown]
	v_lshlrev_b32_e32 v14, 2, v9
                                        ; implicit-def: $vgpr9
                                        ; implicit-def: $vgpr24_vgpr25
                                        ; implicit-def: $vgpr22_vgpr23
                                        ; implicit-def: $vgpr16_vgpr17
	s_delay_alu instid0(VALU_DEP_1) | instskip(NEXT) | instid1(VALU_DEP_1)
	v_ashrrev_i32_e32 v15, 31, v14
	v_lshlrev_b64_e32 v[14:15], 4, v[14:15]
	s_wait_kmcnt 0x0
	s_delay_alu instid0(VALU_DEP_1) | instskip(SKIP_1) | instid1(VALU_DEP_2)
	v_add_co_u32 v14, vcc_lo, s0, v14
	s_wait_alu 0xfffd
	v_add_co_ci_u32_e64 v15, null, s1, v15, vcc_lo
	s_clause 0x3
	global_store_b128 v[14:15], v[5:8], off
	global_store_b128 v[14:15], v[10:13], off offset:16
	global_store_b128 v[14:15], v[18:21], off offset:32
	;; [unrolled: 1-line block ×3, first 2 shown]
                                        ; implicit-def: $vgpr10_vgpr11
                                        ; implicit-def: $vgpr12_vgpr13
                                        ; implicit-def: $vgpr14_vgpr15
                                        ; implicit-def: $vgpr20_vgpr21
                                        ; implicit-def: $vgpr18_vgpr19
                                        ; implicit-def: $vgpr7_vgpr8
                                        ; implicit-def: $vgpr3_vgpr4
.LBB140_27:
	s_wait_alu 0xfffe
	s_and_not1_saveexec_b32 s2, s2
	s_cbranch_execz .LBB140_29
; %bb.28:
	v_lshlrev_b32_e32 v26, 2, v9
	v_mul_f64_e64 v[44:45], v[24:25], -v[3:4]
	v_mul_f64_e32 v[24:25], v[1:2], v[24:25]
	v_mul_f64_e64 v[46:47], v[22:23], -v[3:4]
	v_mul_f64_e32 v[22:23], v[1:2], v[22:23]
	v_ashrrev_i32_e32 v27, 31, v26
	v_mul_f64_e64 v[48:49], v[20:21], -v[3:4]
	v_mul_f64_e32 v[20:21], v[1:2], v[20:21]
	v_mul_f64_e64 v[50:51], v[18:19], -v[3:4]
	v_mul_f64_e32 v[18:19], v[1:2], v[18:19]
	v_lshlrev_b64_e32 v[26:27], 4, v[26:27]
	s_wait_kmcnt 0x0
	s_delay_alu instid0(VALU_DEP_1) | instskip(SKIP_1) | instid1(VALU_DEP_2)
	v_add_co_u32 v42, vcc_lo, s0, v26
	s_wait_alu 0xfffd
	v_add_co_ci_u32_e64 v43, null, s1, v27, vcc_lo
	s_clause 0x3
	global_load_b128 v[26:29], v[42:43], off
	global_load_b128 v[30:33], v[42:43], off offset:16
	global_load_b128 v[34:37], v[42:43], off offset:32
	global_load_b128 v[38:41], v[42:43], off offset:48
	v_fma_f64 v[44:45], v[1:2], v[10:11], v[44:45]
	v_fma_f64 v[9:10], v[3:4], v[10:11], v[24:25]
	v_fma_f64 v[24:25], v[1:2], v[12:13], v[46:47]
	v_fma_f64 v[11:12], v[3:4], v[12:13], v[22:23]
	v_fma_f64 v[22:23], v[1:2], v[14:15], v[48:49]
	v_fma_f64 v[13:14], v[3:4], v[14:15], v[20:21]
	v_fma_f64 v[0:1], v[1:2], v[16:17], v[50:51]
	v_fma_f64 v[2:3], v[3:4], v[16:17], v[18:19]
	s_wait_loadcnt 0x3
	v_fma_f64 v[15:16], v[5:6], v[26:27], v[44:45]
	v_fma_f64 v[9:10], v[7:8], v[26:27], v[9:10]
	s_wait_loadcnt 0x2
	v_fma_f64 v[17:18], v[5:6], v[30:31], v[24:25]
	v_fma_f64 v[11:12], v[7:8], v[30:31], v[11:12]
	;; [unrolled: 3-line block ×4, first 2 shown]
	v_fma_f64 v[0:1], -v[7:8], v[28:29], v[15:16]
	v_fma_f64 v[2:3], v[5:6], v[28:29], v[9:10]
	v_fma_f64 v[9:10], -v[7:8], v[32:33], v[17:18]
	v_fma_f64 v[11:12], v[5:6], v[32:33], v[11:12]
	;; [unrolled: 2-line block ×4, first 2 shown]
	s_clause 0x3
	global_store_b128 v[42:43], v[0:3], off
	global_store_b128 v[42:43], v[9:12], off offset:16
	global_store_b128 v[42:43], v[13:16], off offset:32
	;; [unrolled: 1-line block ×3, first 2 shown]
.LBB140_29:
	s_endpgm
	.section	.rodata,"a",@progbits
	.p2align	6, 0x0
	.amdhsa_kernel _ZN9rocsparseL19gebsrmvn_4xn_kernelILj128ELj7ELj64E21rocsparse_complex_numIdEEEvi20rocsparse_direction_NS_24const_host_device_scalarIT2_EEPKiS8_PKS5_SA_S6_PS5_21rocsparse_index_base_b
		.amdhsa_group_segment_fixed_size 0
		.amdhsa_private_segment_fixed_size 0
		.amdhsa_kernarg_size 88
		.amdhsa_user_sgpr_count 2
		.amdhsa_user_sgpr_dispatch_ptr 0
		.amdhsa_user_sgpr_queue_ptr 0
		.amdhsa_user_sgpr_kernarg_segment_ptr 1
		.amdhsa_user_sgpr_dispatch_id 0
		.amdhsa_user_sgpr_private_segment_size 0
		.amdhsa_wavefront_size32 1
		.amdhsa_uses_dynamic_stack 0
		.amdhsa_enable_private_segment 0
		.amdhsa_system_sgpr_workgroup_id_x 1
		.amdhsa_system_sgpr_workgroup_id_y 0
		.amdhsa_system_sgpr_workgroup_id_z 0
		.amdhsa_system_sgpr_workgroup_info 0
		.amdhsa_system_vgpr_workitem_id 0
		.amdhsa_next_free_vgpr 70
		.amdhsa_next_free_sgpr 14
		.amdhsa_reserve_vcc 1
		.amdhsa_float_round_mode_32 0
		.amdhsa_float_round_mode_16_64 0
		.amdhsa_float_denorm_mode_32 3
		.amdhsa_float_denorm_mode_16_64 3
		.amdhsa_fp16_overflow 0
		.amdhsa_workgroup_processor_mode 1
		.amdhsa_memory_ordered 1
		.amdhsa_forward_progress 1
		.amdhsa_inst_pref_size 35
		.amdhsa_round_robin_scheduling 0
		.amdhsa_exception_fp_ieee_invalid_op 0
		.amdhsa_exception_fp_denorm_src 0
		.amdhsa_exception_fp_ieee_div_zero 0
		.amdhsa_exception_fp_ieee_overflow 0
		.amdhsa_exception_fp_ieee_underflow 0
		.amdhsa_exception_fp_ieee_inexact 0
		.amdhsa_exception_int_div_zero 0
	.end_amdhsa_kernel
	.section	.text._ZN9rocsparseL19gebsrmvn_4xn_kernelILj128ELj7ELj64E21rocsparse_complex_numIdEEEvi20rocsparse_direction_NS_24const_host_device_scalarIT2_EEPKiS8_PKS5_SA_S6_PS5_21rocsparse_index_base_b,"axG",@progbits,_ZN9rocsparseL19gebsrmvn_4xn_kernelILj128ELj7ELj64E21rocsparse_complex_numIdEEEvi20rocsparse_direction_NS_24const_host_device_scalarIT2_EEPKiS8_PKS5_SA_S6_PS5_21rocsparse_index_base_b,comdat
.Lfunc_end140:
	.size	_ZN9rocsparseL19gebsrmvn_4xn_kernelILj128ELj7ELj64E21rocsparse_complex_numIdEEEvi20rocsparse_direction_NS_24const_host_device_scalarIT2_EEPKiS8_PKS5_SA_S6_PS5_21rocsparse_index_base_b, .Lfunc_end140-_ZN9rocsparseL19gebsrmvn_4xn_kernelILj128ELj7ELj64E21rocsparse_complex_numIdEEEvi20rocsparse_direction_NS_24const_host_device_scalarIT2_EEPKiS8_PKS5_SA_S6_PS5_21rocsparse_index_base_b
                                        ; -- End function
	.set _ZN9rocsparseL19gebsrmvn_4xn_kernelILj128ELj7ELj64E21rocsparse_complex_numIdEEEvi20rocsparse_direction_NS_24const_host_device_scalarIT2_EEPKiS8_PKS5_SA_S6_PS5_21rocsparse_index_base_b.num_vgpr, 70
	.set _ZN9rocsparseL19gebsrmvn_4xn_kernelILj128ELj7ELj64E21rocsparse_complex_numIdEEEvi20rocsparse_direction_NS_24const_host_device_scalarIT2_EEPKiS8_PKS5_SA_S6_PS5_21rocsparse_index_base_b.num_agpr, 0
	.set _ZN9rocsparseL19gebsrmvn_4xn_kernelILj128ELj7ELj64E21rocsparse_complex_numIdEEEvi20rocsparse_direction_NS_24const_host_device_scalarIT2_EEPKiS8_PKS5_SA_S6_PS5_21rocsparse_index_base_b.numbered_sgpr, 14
	.set _ZN9rocsparseL19gebsrmvn_4xn_kernelILj128ELj7ELj64E21rocsparse_complex_numIdEEEvi20rocsparse_direction_NS_24const_host_device_scalarIT2_EEPKiS8_PKS5_SA_S6_PS5_21rocsparse_index_base_b.num_named_barrier, 0
	.set _ZN9rocsparseL19gebsrmvn_4xn_kernelILj128ELj7ELj64E21rocsparse_complex_numIdEEEvi20rocsparse_direction_NS_24const_host_device_scalarIT2_EEPKiS8_PKS5_SA_S6_PS5_21rocsparse_index_base_b.private_seg_size, 0
	.set _ZN9rocsparseL19gebsrmvn_4xn_kernelILj128ELj7ELj64E21rocsparse_complex_numIdEEEvi20rocsparse_direction_NS_24const_host_device_scalarIT2_EEPKiS8_PKS5_SA_S6_PS5_21rocsparse_index_base_b.uses_vcc, 1
	.set _ZN9rocsparseL19gebsrmvn_4xn_kernelILj128ELj7ELj64E21rocsparse_complex_numIdEEEvi20rocsparse_direction_NS_24const_host_device_scalarIT2_EEPKiS8_PKS5_SA_S6_PS5_21rocsparse_index_base_b.uses_flat_scratch, 0
	.set _ZN9rocsparseL19gebsrmvn_4xn_kernelILj128ELj7ELj64E21rocsparse_complex_numIdEEEvi20rocsparse_direction_NS_24const_host_device_scalarIT2_EEPKiS8_PKS5_SA_S6_PS5_21rocsparse_index_base_b.has_dyn_sized_stack, 0
	.set _ZN9rocsparseL19gebsrmvn_4xn_kernelILj128ELj7ELj64E21rocsparse_complex_numIdEEEvi20rocsparse_direction_NS_24const_host_device_scalarIT2_EEPKiS8_PKS5_SA_S6_PS5_21rocsparse_index_base_b.has_recursion, 0
	.set _ZN9rocsparseL19gebsrmvn_4xn_kernelILj128ELj7ELj64E21rocsparse_complex_numIdEEEvi20rocsparse_direction_NS_24const_host_device_scalarIT2_EEPKiS8_PKS5_SA_S6_PS5_21rocsparse_index_base_b.has_indirect_call, 0
	.section	.AMDGPU.csdata,"",@progbits
; Kernel info:
; codeLenInByte = 4420
; TotalNumSgprs: 16
; NumVgprs: 70
; ScratchSize: 0
; MemoryBound: 0
; FloatMode: 240
; IeeeMode: 1
; LDSByteSize: 0 bytes/workgroup (compile time only)
; SGPRBlocks: 0
; VGPRBlocks: 8
; NumSGPRsForWavesPerEU: 16
; NumVGPRsForWavesPerEU: 70
; Occupancy: 16
; WaveLimiterHint : 1
; COMPUTE_PGM_RSRC2:SCRATCH_EN: 0
; COMPUTE_PGM_RSRC2:USER_SGPR: 2
; COMPUTE_PGM_RSRC2:TRAP_HANDLER: 0
; COMPUTE_PGM_RSRC2:TGID_X_EN: 1
; COMPUTE_PGM_RSRC2:TGID_Y_EN: 0
; COMPUTE_PGM_RSRC2:TGID_Z_EN: 0
; COMPUTE_PGM_RSRC2:TIDIG_COMP_CNT: 0
	.section	.text._ZN9rocsparseL19gebsrmvn_4xn_kernelILj128ELj8ELj4E21rocsparse_complex_numIdEEEvi20rocsparse_direction_NS_24const_host_device_scalarIT2_EEPKiS8_PKS5_SA_S6_PS5_21rocsparse_index_base_b,"axG",@progbits,_ZN9rocsparseL19gebsrmvn_4xn_kernelILj128ELj8ELj4E21rocsparse_complex_numIdEEEvi20rocsparse_direction_NS_24const_host_device_scalarIT2_EEPKiS8_PKS5_SA_S6_PS5_21rocsparse_index_base_b,comdat
	.globl	_ZN9rocsparseL19gebsrmvn_4xn_kernelILj128ELj8ELj4E21rocsparse_complex_numIdEEEvi20rocsparse_direction_NS_24const_host_device_scalarIT2_EEPKiS8_PKS5_SA_S6_PS5_21rocsparse_index_base_b ; -- Begin function _ZN9rocsparseL19gebsrmvn_4xn_kernelILj128ELj8ELj4E21rocsparse_complex_numIdEEEvi20rocsparse_direction_NS_24const_host_device_scalarIT2_EEPKiS8_PKS5_SA_S6_PS5_21rocsparse_index_base_b
	.p2align	8
	.type	_ZN9rocsparseL19gebsrmvn_4xn_kernelILj128ELj8ELj4E21rocsparse_complex_numIdEEEvi20rocsparse_direction_NS_24const_host_device_scalarIT2_EEPKiS8_PKS5_SA_S6_PS5_21rocsparse_index_base_b,@function
_ZN9rocsparseL19gebsrmvn_4xn_kernelILj128ELj8ELj4E21rocsparse_complex_numIdEEEvi20rocsparse_direction_NS_24const_host_device_scalarIT2_EEPKiS8_PKS5_SA_S6_PS5_21rocsparse_index_base_b: ; @_ZN9rocsparseL19gebsrmvn_4xn_kernelILj128ELj8ELj4E21rocsparse_complex_numIdEEEvi20rocsparse_direction_NS_24const_host_device_scalarIT2_EEPKiS8_PKS5_SA_S6_PS5_21rocsparse_index_base_b
; %bb.0:
	s_clause 0x1
	s_load_b64 s[12:13], s[0:1], 0x50
	s_load_b64 s[2:3], s[0:1], 0x8
	s_add_nc_u64 s[4:5], s[0:1], 8
	s_load_b64 s[6:7], s[0:1], 0x38
	s_wait_kmcnt 0x0
	s_bitcmp1_b32 s13, 0
	s_cselect_b32 s2, s4, s2
	s_cselect_b32 s3, s5, s3
	s_delay_alu instid0(SALU_CYCLE_1)
	v_dual_mov_b32 v1, s2 :: v_dual_mov_b32 v2, s3
	s_add_nc_u64 s[2:3], s[0:1], 56
	s_wait_alu 0xfffe
	s_cselect_b32 s2, s2, s6
	s_cselect_b32 s3, s3, s7
	flat_load_b128 v[1:4], v[1:2]
	s_wait_alu 0xfffe
	v_dual_mov_b32 v5, s2 :: v_dual_mov_b32 v6, s3
	flat_load_b128 v[5:8], v[5:6]
	s_wait_loadcnt_dscnt 0x101
	v_cmp_eq_f64_e32 vcc_lo, 0, v[1:2]
	v_cmp_eq_f64_e64 s2, 0, v[3:4]
	s_and_b32 s4, vcc_lo, s2
	s_mov_b32 s2, -1
	s_and_saveexec_b32 s3, s4
	s_cbranch_execz .LBB141_2
; %bb.1:
	s_wait_loadcnt_dscnt 0x0
	v_cmp_neq_f64_e32 vcc_lo, 1.0, v[5:6]
	v_cmp_neq_f64_e64 s2, 0, v[7:8]
	s_wait_alu 0xfffe
	s_or_b32 s2, vcc_lo, s2
	s_wait_alu 0xfffe
	s_or_not1_b32 s2, s2, exec_lo
.LBB141_2:
	s_wait_alu 0xfffe
	s_or_b32 exec_lo, exec_lo, s3
	s_and_saveexec_b32 s3, s2
	s_cbranch_execz .LBB141_25
; %bb.3:
	s_load_b64 s[2:3], s[0:1], 0x0
	v_lshrrev_b32_e32 v9, 2, v0
	s_delay_alu instid0(VALU_DEP_1) | instskip(SKIP_1) | instid1(VALU_DEP_1)
	v_lshl_or_b32 v9, ttmp9, 5, v9
	s_wait_kmcnt 0x0
	v_cmp_gt_i32_e32 vcc_lo, s2, v9
	s_and_b32 exec_lo, exec_lo, vcc_lo
	s_cbranch_execz .LBB141_25
; %bb.4:
	s_load_b256 s[4:11], s[0:1], 0x18
	v_ashrrev_i32_e32 v10, 31, v9
	v_and_b32_e32 v0, 3, v0
	s_cmp_lg_u32 s3, 0
	s_delay_alu instid0(VALU_DEP_2) | instskip(SKIP_1) | instid1(VALU_DEP_1)
	v_lshlrev_b64_e32 v[10:11], 2, v[9:10]
	s_wait_kmcnt 0x0
	v_add_co_u32 v10, vcc_lo, s4, v10
	s_delay_alu instid0(VALU_DEP_1) | instskip(SKIP_4) | instid1(VALU_DEP_2)
	v_add_co_ci_u32_e64 v11, null, s5, v11, vcc_lo
	global_load_b64 v[10:11], v[10:11], off
	s_wait_loadcnt 0x0
	v_subrev_nc_u32_e32 v10, s12, v10
	v_subrev_nc_u32_e32 v35, s12, v11
	v_add_nc_u32_e32 v10, v10, v0
	s_delay_alu instid0(VALU_DEP_1)
	v_cmp_lt_i32_e64 s2, v10, v35
	s_cbranch_scc0 .LBB141_12
; %bb.5:
	v_mov_b32_e32 v12, 0
	v_mov_b32_e32 v14, 0
	;; [unrolled: 1-line block ×3, first 2 shown]
	v_dual_mov_b32 v24, 0 :: v_dual_mov_b32 v13, 0
	v_dual_mov_b32 v18, 0 :: v_dual_mov_b32 v15, 0
	;; [unrolled: 1-line block ×5, first 2 shown]
	v_mov_b32_e32 v17, 0
	v_mov_b32_e32 v23, 0
	;; [unrolled: 1-line block ×3, first 2 shown]
	s_and_saveexec_b32 s3, s2
	s_cbranch_execz .LBB141_11
; %bb.6:
	v_lshlrev_b32_e32 v28, 5, v10
	v_mov_b32_e32 v18, 0
	v_mov_b32_e32 v16, 0
	;; [unrolled: 1-line block ×3, first 2 shown]
	v_dual_mov_b32 v12, 0 :: v_dual_mov_b32 v31, 0
	v_dual_mov_b32 v19, 0 :: v_dual_mov_b32 v14, 0
	;; [unrolled: 1-line block ×5, first 2 shown]
	v_mov_b32_e32 v15, 0
	v_or_b32_e32 v11, 4, v28
	v_mov_b32_e32 v21, 0
	v_mov_b32_e32 v25, 0
	v_dual_mov_b32 v27, 0 :: v_dual_mov_b32 v32, v10
	s_add_nc_u64 s[4:5], s[10:11], 16
	s_mov_b32 s13, 0
.LBB141_7:                              ; =>This Loop Header: Depth=1
                                        ;     Child Loop BB141_8 Depth 2
	s_delay_alu instid0(VALU_DEP_1) | instskip(SKIP_1) | instid1(VALU_DEP_1)
	v_ashrrev_i32_e32 v33, 31, v32
	s_mov_b64 s[14:15], 0
	v_lshlrev_b64_e32 v[29:30], 2, v[32:33]
	s_delay_alu instid0(VALU_DEP_1) | instskip(SKIP_1) | instid1(VALU_DEP_2)
	v_add_co_u32 v29, vcc_lo, s6, v29
	s_wait_alu 0xfffd
	v_add_co_ci_u32_e64 v30, null, s7, v30, vcc_lo
	global_load_b32 v29, v[29:30], off
	s_wait_loadcnt 0x0
	v_subrev_nc_u32_e32 v30, s12, v29
	s_delay_alu instid0(VALU_DEP_1) | instskip(NEXT) | instid1(VALU_DEP_1)
	v_dual_mov_b32 v29, v31 :: v_dual_lshlrev_b32 v30, 3, v30
	v_lshlrev_b64_e32 v[33:34], 4, v[28:29]
	s_delay_alu instid0(VALU_DEP_2) | instskip(SKIP_1) | instid1(VALU_DEP_3)
	v_lshlrev_b64_e32 v[37:38], 4, v[30:31]
	v_mov_b32_e32 v30, v11
	v_add_co_u32 v29, vcc_lo, s8, v33
	s_wait_alu 0xfffd
	s_delay_alu instid0(VALU_DEP_4)
	v_add_co_ci_u32_e64 v36, null, s9, v34, vcc_lo
	s_wait_alu 0xfffe
	v_add_co_u32 v33, vcc_lo, s4, v37
	s_wait_alu 0xfffd
	v_add_co_ci_u32_e64 v34, null, s5, v38, vcc_lo
.LBB141_8:                              ;   Parent Loop BB141_7 Depth=1
                                        ; =>  This Inner Loop Header: Depth=2
	v_add_co_u32 v57, vcc_lo, v29, s14
	s_wait_alu 0xfffd
	v_add_co_ci_u32_e64 v58, null, s15, v36, vcc_lo
	v_lshlrev_b64_e32 v[61:62], 4, v[30:31]
	s_clause 0x1
	global_load_b128 v[37:40], v[33:34], off
	global_load_b128 v[41:44], v[33:34], off offset:-16
	s_clause 0x3
	global_load_b128 v[45:48], v[57:58], off
	global_load_b128 v[49:52], v[57:58], off offset:16
	global_load_b128 v[53:56], v[57:58], off offset:32
	;; [unrolled: 1-line block ×3, first 2 shown]
	v_add_nc_u32_e32 v30, 8, v30
	s_add_nc_u64 s[14:15], s[14:15], 0x80
	s_wait_alu 0xfffe
	s_cmp_eq_u32 s14, 0x200
	v_add_co_u32 v73, vcc_lo, s8, v61
	s_wait_alu 0xfffd
	v_add_co_ci_u32_e64 v74, null, s9, v62, vcc_lo
	s_clause 0x3
	global_load_b128 v[61:64], v[73:74], off
	global_load_b128 v[65:68], v[73:74], off offset:16
	global_load_b128 v[69:72], v[73:74], off offset:32
	;; [unrolled: 1-line block ×3, first 2 shown]
	v_add_co_u32 v33, vcc_lo, v33, 32
	s_wait_alu 0xfffd
	v_add_co_ci_u32_e64 v34, null, 0, v34, vcc_lo
	s_wait_loadcnt 0x7
	v_fma_f64 v[18:19], v[45:46], v[41:42], v[18:19]
	v_fma_f64 v[12:13], v[47:48], v[41:42], v[12:13]
	s_wait_loadcnt 0x6
	v_fma_f64 v[24:25], v[49:50], v[41:42], v[24:25]
	v_fma_f64 v[26:27], v[51:52], v[41:42], v[26:27]
	;; [unrolled: 3-line block ×4, first 2 shown]
	v_fma_f64 v[18:19], -v[47:48], v[43:44], v[18:19]
	v_fma_f64 v[12:13], v[45:46], v[43:44], v[12:13]
	v_fma_f64 v[24:25], -v[51:52], v[43:44], v[24:25]
	v_fma_f64 v[26:27], v[49:50], v[43:44], v[26:27]
	;; [unrolled: 2-line block ×4, first 2 shown]
	s_wait_loadcnt 0x3
	v_fma_f64 v[18:19], v[61:62], v[37:38], v[18:19]
	v_fma_f64 v[12:13], v[63:64], v[37:38], v[12:13]
	s_wait_loadcnt 0x2
	v_fma_f64 v[24:25], v[65:66], v[37:38], v[24:25]
	v_fma_f64 v[26:27], v[67:68], v[37:38], v[26:27]
	;; [unrolled: 3-line block ×4, first 2 shown]
	v_fma_f64 v[18:19], -v[63:64], v[39:40], v[18:19]
	v_fma_f64 v[12:13], v[61:62], v[39:40], v[12:13]
	v_fma_f64 v[24:25], -v[67:68], v[39:40], v[24:25]
	v_fma_f64 v[26:27], v[65:66], v[39:40], v[26:27]
	;; [unrolled: 2-line block ×4, first 2 shown]
	s_cbranch_scc0 .LBB141_8
; %bb.9:                                ;   in Loop: Header=BB141_7 Depth=1
	v_add_nc_u32_e32 v32, 4, v32
	v_add_nc_u32_e32 v11, 0x80, v11
	v_add_nc_u32_e32 v28, 0x80, v28
	s_delay_alu instid0(VALU_DEP_3)
	v_cmp_ge_i32_e32 vcc_lo, v32, v35
	s_or_b32 s13, vcc_lo, s13
	s_wait_alu 0xfffe
	s_and_not1_b32 exec_lo, exec_lo, s13
	s_cbranch_execnz .LBB141_7
; %bb.10:
	s_or_b32 exec_lo, exec_lo, s13
.LBB141_11:
	s_wait_alu 0xfffe
	s_or_b32 exec_lo, exec_lo, s3
	s_cbranch_execz .LBB141_13
	s_branch .LBB141_20
.LBB141_12:
                                        ; implicit-def: $vgpr12_vgpr13
                                        ; implicit-def: $vgpr18_vgpr19
                                        ; implicit-def: $vgpr14_vgpr15
                                        ; implicit-def: $vgpr16_vgpr17
                                        ; implicit-def: $vgpr20_vgpr21
                                        ; implicit-def: $vgpr22_vgpr23
                                        ; implicit-def: $vgpr24_vgpr25
                                        ; implicit-def: $vgpr26_vgpr27
.LBB141_13:
	v_mov_b32_e32 v12, 0
	v_mov_b32_e32 v14, 0
	;; [unrolled: 1-line block ×3, first 2 shown]
	v_dual_mov_b32 v24, 0 :: v_dual_mov_b32 v13, 0
	v_dual_mov_b32 v18, 0 :: v_dual_mov_b32 v15, 0
	v_dual_mov_b32 v16, 0 :: v_dual_mov_b32 v21, 0
	v_dual_mov_b32 v22, 0 :: v_dual_mov_b32 v25, 0
	v_dual_mov_b32 v26, 0 :: v_dual_mov_b32 v19, 0
	v_mov_b32_e32 v17, 0
	v_mov_b32_e32 v23, 0
	v_mov_b32_e32 v27, 0
	s_and_saveexec_b32 s4, s2
	s_cbranch_execz .LBB141_19
; %bb.14:
	v_mov_b32_e32 v12, 0
	v_mov_b32_e32 v18, 0
	;; [unrolled: 1-line block ×7, first 2 shown]
	v_dual_mov_b32 v26, 0 :: v_dual_mov_b32 v29, 0
	v_dual_mov_b32 v13, 0 :: v_dual_lshlrev_b32 v28, 5, v10
	v_mov_b32_e32 v19, 0
	v_mov_b32_e32 v15, 0
	;; [unrolled: 1-line block ×7, first 2 shown]
	s_mov_b32 s5, 0
.LBB141_15:                             ; =>This Loop Header: Depth=1
                                        ;     Child Loop BB141_16 Depth 2
	v_ashrrev_i32_e32 v11, 31, v10
	v_lshlrev_b64_e32 v[32:33], 4, v[28:29]
	s_mov_b64 s[2:3], 0
	s_delay_alu instid0(VALU_DEP_2) | instskip(NEXT) | instid1(VALU_DEP_1)
	v_lshlrev_b64_e32 v[30:31], 2, v[10:11]
	v_add_co_u32 v30, vcc_lo, s6, v30
	s_wait_alu 0xfffd
	s_delay_alu instid0(VALU_DEP_2) | instskip(SKIP_3) | instid1(VALU_DEP_1)
	v_add_co_ci_u32_e64 v31, null, s7, v31, vcc_lo
	global_load_b32 v11, v[30:31], off
	s_wait_loadcnt 0x0
	v_subrev_nc_u32_e32 v11, s12, v11
	v_dual_mov_b32 v31, v29 :: v_dual_lshlrev_b32 v30, 3, v11
	v_add_co_u32 v11, vcc_lo, s8, v32
	s_delay_alu instid0(VALU_DEP_2) | instskip(SKIP_2) | instid1(VALU_DEP_2)
	v_lshlrev_b64_e32 v[36:37], 4, v[30:31]
	s_wait_alu 0xfffd
	v_add_co_ci_u32_e64 v30, null, s9, v33, vcc_lo
	v_add_co_u32 v31, vcc_lo, s10, v36
	s_wait_alu 0xfffd
	s_delay_alu instid0(VALU_DEP_3)
	v_add_co_ci_u32_e64 v32, null, s11, v37, vcc_lo
.LBB141_16:                             ;   Parent Loop BB141_15 Depth=1
                                        ; =>  This Inner Loop Header: Depth=2
	s_wait_alu 0xfffe
	v_add_co_u32 v33, vcc_lo, v11, s2
	s_wait_alu 0xfffd
	v_add_co_ci_u32_e64 v34, null, s3, v30, vcc_lo
	v_add_co_u32 v60, vcc_lo, v31, s2
	s_wait_alu 0xfffd
	v_add_co_ci_u32_e64 v61, null, s3, v32, vcc_lo
	global_load_b128 v[36:39], v[33:34], off
	global_load_b128 v[40:43], v[60:61], off
	s_clause 0x3
	global_load_b128 v[44:47], v[33:34], off offset:128
	global_load_b128 v[48:51], v[33:34], off offset:256
	;; [unrolled: 1-line block ×5, first 2 shown]
	s_clause 0x2
	global_load_b128 v[64:67], v[33:34], off offset:144
	global_load_b128 v[68:71], v[33:34], off offset:272
	;; [unrolled: 1-line block ×3, first 2 shown]
	s_add_nc_u64 s[2:3], s[2:3], 32
	s_wait_alu 0xfffe
	s_cmp_eq_u32 s2, 0x80
	s_wait_loadcnt 0x8
	v_fma_f64 v[18:19], v[36:37], v[40:41], v[18:19]
	v_fma_f64 v[12:13], v[38:39], v[40:41], v[12:13]
	s_wait_loadcnt 0x7
	v_fma_f64 v[24:25], v[44:45], v[40:41], v[24:25]
	v_fma_f64 v[26:27], v[46:47], v[40:41], v[26:27]
	;; [unrolled: 3-line block ×4, first 2 shown]
	v_fma_f64 v[18:19], -v[38:39], v[42:43], v[18:19]
	v_fma_f64 v[12:13], v[36:37], v[42:43], v[12:13]
	v_fma_f64 v[24:25], -v[46:47], v[42:43], v[24:25]
	v_fma_f64 v[26:27], v[44:45], v[42:43], v[26:27]
	;; [unrolled: 2-line block ×4, first 2 shown]
	s_wait_loadcnt 0x3
	v_fma_f64 v[18:19], v[56:57], v[60:61], v[18:19]
	v_fma_f64 v[12:13], v[58:59], v[60:61], v[12:13]
	s_wait_loadcnt 0x2
	v_fma_f64 v[24:25], v[64:65], v[60:61], v[24:25]
	v_fma_f64 v[26:27], v[66:67], v[60:61], v[26:27]
	;; [unrolled: 3-line block ×4, first 2 shown]
	v_fma_f64 v[18:19], -v[58:59], v[62:63], v[18:19]
	v_fma_f64 v[12:13], v[56:57], v[62:63], v[12:13]
	v_fma_f64 v[24:25], -v[66:67], v[62:63], v[24:25]
	v_fma_f64 v[26:27], v[64:65], v[62:63], v[26:27]
	;; [unrolled: 2-line block ×4, first 2 shown]
	s_cbranch_scc0 .LBB141_16
; %bb.17:                               ;   in Loop: Header=BB141_15 Depth=1
	v_add_nc_u32_e32 v10, 4, v10
	v_add_nc_u32_e32 v28, 0x80, v28
	s_delay_alu instid0(VALU_DEP_2)
	v_cmp_ge_i32_e32 vcc_lo, v10, v35
	s_or_b32 s5, vcc_lo, s5
	s_wait_alu 0xfffe
	s_and_not1_b32 exec_lo, exec_lo, s5
	s_cbranch_execnz .LBB141_15
; %bb.18:
	s_or_b32 exec_lo, exec_lo, s5
.LBB141_19:
	s_wait_alu 0xfffe
	s_or_b32 exec_lo, exec_lo, s4
.LBB141_20:
	v_mbcnt_lo_u32_b32 v44, -1, 0
	s_delay_alu instid0(VALU_DEP_1) | instskip(NEXT) | instid1(VALU_DEP_1)
	v_xor_b32_e32 v10, 2, v44
	v_cmp_gt_i32_e32 vcc_lo, 32, v10
	s_wait_alu 0xfffd
	v_cndmask_b32_e32 v10, v44, v10, vcc_lo
	s_delay_alu instid0(VALU_DEP_1)
	v_lshlrev_b32_e32 v32, 2, v10
	ds_bpermute_b32 v10, v32, v18
	ds_bpermute_b32 v11, v32, v19
	;; [unrolled: 1-line block ×16, first 2 shown]
	s_wait_dscnt 0xe
	v_add_f64_e32 v[10:11], v[18:19], v[10:11]
	s_wait_dscnt 0xc
	v_add_f64_e32 v[32:33], v[12:13], v[28:29]
	;; [unrolled: 2-line block ×7, first 2 shown]
	v_xor_b32_e32 v14, 1, v44
	s_wait_dscnt 0x0
	v_add_f64_e32 v[26:27], v[16:17], v[42:43]
	s_delay_alu instid0(VALU_DEP_2) | instskip(SKIP_3) | instid1(VALU_DEP_2)
	v_cmp_gt_i32_e32 vcc_lo, 32, v14
	s_wait_alu 0xfffd
	v_cndmask_b32_e32 v14, v44, v14, vcc_lo
	v_cmp_eq_u32_e32 vcc_lo, 3, v0
	v_lshlrev_b32_e32 v35, 2, v14
	ds_bpermute_b32 v40, v35, v10
	ds_bpermute_b32 v41, v35, v11
	;; [unrolled: 1-line block ×16, first 2 shown]
	s_and_b32 exec_lo, exec_lo, vcc_lo
	s_cbranch_execz .LBB141_25
; %bb.21:
	v_cmp_eq_f64_e32 vcc_lo, 0, v[5:6]
	v_cmp_eq_f64_e64 s2, 0, v[7:8]
	s_wait_dscnt 0xe
	v_add_f64_e32 v[10:11], v[10:11], v[40:41]
	s_wait_dscnt 0xc
	v_add_f64_e32 v[24:25], v[32:33], v[24:25]
	;; [unrolled: 2-line block ×8, first 2 shown]
	s_load_b64 s[0:1], s[0:1], 0x48
	s_and_b32 s2, vcc_lo, s2
	s_wait_alu 0xfffe
	s_and_saveexec_b32 s3, s2
	s_wait_alu 0xfffe
	s_xor_b32 s2, exec_lo, s3
	s_cbranch_execz .LBB141_23
; %bb.22:
	v_mul_f64_e64 v[5:6], v[24:25], -v[3:4]
	v_mul_f64_e32 v[7:8], v[1:2], v[24:25]
	v_mul_f64_e64 v[24:25], v[22:23], -v[3:4]
	v_mul_f64_e32 v[22:23], v[1:2], v[22:23]
	;; [unrolled: 2-line block ×4, first 2 shown]
	v_fma_f64 v[5:6], v[1:2], v[10:11], v[5:6]
	v_fma_f64 v[7:8], v[3:4], v[10:11], v[7:8]
	;; [unrolled: 1-line block ×8, first 2 shown]
	v_lshlrev_b32_e32 v14, 2, v9
                                        ; implicit-def: $vgpr9
                                        ; implicit-def: $vgpr24_vgpr25
                                        ; implicit-def: $vgpr22_vgpr23
                                        ; implicit-def: $vgpr16_vgpr17
	s_delay_alu instid0(VALU_DEP_1) | instskip(NEXT) | instid1(VALU_DEP_1)
	v_ashrrev_i32_e32 v15, 31, v14
	v_lshlrev_b64_e32 v[14:15], 4, v[14:15]
	s_wait_kmcnt 0x0
	s_delay_alu instid0(VALU_DEP_1) | instskip(SKIP_1) | instid1(VALU_DEP_2)
	v_add_co_u32 v14, vcc_lo, s0, v14
	s_wait_alu 0xfffd
	v_add_co_ci_u32_e64 v15, null, s1, v15, vcc_lo
	s_clause 0x3
	global_store_b128 v[14:15], v[5:8], off
	global_store_b128 v[14:15], v[10:13], off offset:16
	global_store_b128 v[14:15], v[18:21], off offset:32
	;; [unrolled: 1-line block ×3, first 2 shown]
                                        ; implicit-def: $vgpr10_vgpr11
                                        ; implicit-def: $vgpr12_vgpr13
                                        ; implicit-def: $vgpr14_vgpr15
                                        ; implicit-def: $vgpr20_vgpr21
                                        ; implicit-def: $vgpr18_vgpr19
                                        ; implicit-def: $vgpr7_vgpr8
                                        ; implicit-def: $vgpr3_vgpr4
.LBB141_23:
	s_wait_alu 0xfffe
	s_and_not1_saveexec_b32 s2, s2
	s_cbranch_execz .LBB141_25
; %bb.24:
	v_lshlrev_b32_e32 v26, 2, v9
	v_mul_f64_e64 v[44:45], v[24:25], -v[3:4]
	v_mul_f64_e32 v[24:25], v[1:2], v[24:25]
	v_mul_f64_e64 v[46:47], v[22:23], -v[3:4]
	v_mul_f64_e32 v[22:23], v[1:2], v[22:23]
	v_ashrrev_i32_e32 v27, 31, v26
	v_mul_f64_e64 v[48:49], v[20:21], -v[3:4]
	v_mul_f64_e32 v[20:21], v[1:2], v[20:21]
	v_mul_f64_e64 v[50:51], v[18:19], -v[3:4]
	v_mul_f64_e32 v[18:19], v[1:2], v[18:19]
	v_lshlrev_b64_e32 v[26:27], 4, v[26:27]
	s_wait_kmcnt 0x0
	s_delay_alu instid0(VALU_DEP_1) | instskip(SKIP_1) | instid1(VALU_DEP_2)
	v_add_co_u32 v42, vcc_lo, s0, v26
	s_wait_alu 0xfffd
	v_add_co_ci_u32_e64 v43, null, s1, v27, vcc_lo
	s_clause 0x3
	global_load_b128 v[26:29], v[42:43], off
	global_load_b128 v[30:33], v[42:43], off offset:16
	global_load_b128 v[34:37], v[42:43], off offset:32
	global_load_b128 v[38:41], v[42:43], off offset:48
	v_fma_f64 v[44:45], v[1:2], v[10:11], v[44:45]
	v_fma_f64 v[9:10], v[3:4], v[10:11], v[24:25]
	v_fma_f64 v[24:25], v[1:2], v[12:13], v[46:47]
	v_fma_f64 v[11:12], v[3:4], v[12:13], v[22:23]
	v_fma_f64 v[22:23], v[1:2], v[14:15], v[48:49]
	v_fma_f64 v[13:14], v[3:4], v[14:15], v[20:21]
	v_fma_f64 v[0:1], v[1:2], v[16:17], v[50:51]
	v_fma_f64 v[2:3], v[3:4], v[16:17], v[18:19]
	s_wait_loadcnt 0x3
	v_fma_f64 v[15:16], v[5:6], v[26:27], v[44:45]
	v_fma_f64 v[9:10], v[7:8], v[26:27], v[9:10]
	s_wait_loadcnt 0x2
	v_fma_f64 v[17:18], v[5:6], v[30:31], v[24:25]
	v_fma_f64 v[11:12], v[7:8], v[30:31], v[11:12]
	;; [unrolled: 3-line block ×4, first 2 shown]
	v_fma_f64 v[0:1], -v[7:8], v[28:29], v[15:16]
	v_fma_f64 v[2:3], v[5:6], v[28:29], v[9:10]
	v_fma_f64 v[9:10], -v[7:8], v[32:33], v[17:18]
	v_fma_f64 v[11:12], v[5:6], v[32:33], v[11:12]
	;; [unrolled: 2-line block ×4, first 2 shown]
	s_clause 0x3
	global_store_b128 v[42:43], v[0:3], off
	global_store_b128 v[42:43], v[9:12], off offset:16
	global_store_b128 v[42:43], v[13:16], off offset:32
	;; [unrolled: 1-line block ×3, first 2 shown]
.LBB141_25:
	s_endpgm
	.section	.rodata,"a",@progbits
	.p2align	6, 0x0
	.amdhsa_kernel _ZN9rocsparseL19gebsrmvn_4xn_kernelILj128ELj8ELj4E21rocsparse_complex_numIdEEEvi20rocsparse_direction_NS_24const_host_device_scalarIT2_EEPKiS8_PKS5_SA_S6_PS5_21rocsparse_index_base_b
		.amdhsa_group_segment_fixed_size 0
		.amdhsa_private_segment_fixed_size 0
		.amdhsa_kernarg_size 88
		.amdhsa_user_sgpr_count 2
		.amdhsa_user_sgpr_dispatch_ptr 0
		.amdhsa_user_sgpr_queue_ptr 0
		.amdhsa_user_sgpr_kernarg_segment_ptr 1
		.amdhsa_user_sgpr_dispatch_id 0
		.amdhsa_user_sgpr_private_segment_size 0
		.amdhsa_wavefront_size32 1
		.amdhsa_uses_dynamic_stack 0
		.amdhsa_enable_private_segment 0
		.amdhsa_system_sgpr_workgroup_id_x 1
		.amdhsa_system_sgpr_workgroup_id_y 0
		.amdhsa_system_sgpr_workgroup_id_z 0
		.amdhsa_system_sgpr_workgroup_info 0
		.amdhsa_system_vgpr_workitem_id 0
		.amdhsa_next_free_vgpr 77
		.amdhsa_next_free_sgpr 16
		.amdhsa_reserve_vcc 1
		.amdhsa_float_round_mode_32 0
		.amdhsa_float_round_mode_16_64 0
		.amdhsa_float_denorm_mode_32 3
		.amdhsa_float_denorm_mode_16_64 3
		.amdhsa_fp16_overflow 0
		.amdhsa_workgroup_processor_mode 1
		.amdhsa_memory_ordered 1
		.amdhsa_forward_progress 1
		.amdhsa_inst_pref_size 25
		.amdhsa_round_robin_scheduling 0
		.amdhsa_exception_fp_ieee_invalid_op 0
		.amdhsa_exception_fp_denorm_src 0
		.amdhsa_exception_fp_ieee_div_zero 0
		.amdhsa_exception_fp_ieee_overflow 0
		.amdhsa_exception_fp_ieee_underflow 0
		.amdhsa_exception_fp_ieee_inexact 0
		.amdhsa_exception_int_div_zero 0
	.end_amdhsa_kernel
	.section	.text._ZN9rocsparseL19gebsrmvn_4xn_kernelILj128ELj8ELj4E21rocsparse_complex_numIdEEEvi20rocsparse_direction_NS_24const_host_device_scalarIT2_EEPKiS8_PKS5_SA_S6_PS5_21rocsparse_index_base_b,"axG",@progbits,_ZN9rocsparseL19gebsrmvn_4xn_kernelILj128ELj8ELj4E21rocsparse_complex_numIdEEEvi20rocsparse_direction_NS_24const_host_device_scalarIT2_EEPKiS8_PKS5_SA_S6_PS5_21rocsparse_index_base_b,comdat
.Lfunc_end141:
	.size	_ZN9rocsparseL19gebsrmvn_4xn_kernelILj128ELj8ELj4E21rocsparse_complex_numIdEEEvi20rocsparse_direction_NS_24const_host_device_scalarIT2_EEPKiS8_PKS5_SA_S6_PS5_21rocsparse_index_base_b, .Lfunc_end141-_ZN9rocsparseL19gebsrmvn_4xn_kernelILj128ELj8ELj4E21rocsparse_complex_numIdEEEvi20rocsparse_direction_NS_24const_host_device_scalarIT2_EEPKiS8_PKS5_SA_S6_PS5_21rocsparse_index_base_b
                                        ; -- End function
	.set _ZN9rocsparseL19gebsrmvn_4xn_kernelILj128ELj8ELj4E21rocsparse_complex_numIdEEEvi20rocsparse_direction_NS_24const_host_device_scalarIT2_EEPKiS8_PKS5_SA_S6_PS5_21rocsparse_index_base_b.num_vgpr, 77
	.set _ZN9rocsparseL19gebsrmvn_4xn_kernelILj128ELj8ELj4E21rocsparse_complex_numIdEEEvi20rocsparse_direction_NS_24const_host_device_scalarIT2_EEPKiS8_PKS5_SA_S6_PS5_21rocsparse_index_base_b.num_agpr, 0
	.set _ZN9rocsparseL19gebsrmvn_4xn_kernelILj128ELj8ELj4E21rocsparse_complex_numIdEEEvi20rocsparse_direction_NS_24const_host_device_scalarIT2_EEPKiS8_PKS5_SA_S6_PS5_21rocsparse_index_base_b.numbered_sgpr, 16
	.set _ZN9rocsparseL19gebsrmvn_4xn_kernelILj128ELj8ELj4E21rocsparse_complex_numIdEEEvi20rocsparse_direction_NS_24const_host_device_scalarIT2_EEPKiS8_PKS5_SA_S6_PS5_21rocsparse_index_base_b.num_named_barrier, 0
	.set _ZN9rocsparseL19gebsrmvn_4xn_kernelILj128ELj8ELj4E21rocsparse_complex_numIdEEEvi20rocsparse_direction_NS_24const_host_device_scalarIT2_EEPKiS8_PKS5_SA_S6_PS5_21rocsparse_index_base_b.private_seg_size, 0
	.set _ZN9rocsparseL19gebsrmvn_4xn_kernelILj128ELj8ELj4E21rocsparse_complex_numIdEEEvi20rocsparse_direction_NS_24const_host_device_scalarIT2_EEPKiS8_PKS5_SA_S6_PS5_21rocsparse_index_base_b.uses_vcc, 1
	.set _ZN9rocsparseL19gebsrmvn_4xn_kernelILj128ELj8ELj4E21rocsparse_complex_numIdEEEvi20rocsparse_direction_NS_24const_host_device_scalarIT2_EEPKiS8_PKS5_SA_S6_PS5_21rocsparse_index_base_b.uses_flat_scratch, 0
	.set _ZN9rocsparseL19gebsrmvn_4xn_kernelILj128ELj8ELj4E21rocsparse_complex_numIdEEEvi20rocsparse_direction_NS_24const_host_device_scalarIT2_EEPKiS8_PKS5_SA_S6_PS5_21rocsparse_index_base_b.has_dyn_sized_stack, 0
	.set _ZN9rocsparseL19gebsrmvn_4xn_kernelILj128ELj8ELj4E21rocsparse_complex_numIdEEEvi20rocsparse_direction_NS_24const_host_device_scalarIT2_EEPKiS8_PKS5_SA_S6_PS5_21rocsparse_index_base_b.has_recursion, 0
	.set _ZN9rocsparseL19gebsrmvn_4xn_kernelILj128ELj8ELj4E21rocsparse_complex_numIdEEEvi20rocsparse_direction_NS_24const_host_device_scalarIT2_EEPKiS8_PKS5_SA_S6_PS5_21rocsparse_index_base_b.has_indirect_call, 0
	.section	.AMDGPU.csdata,"",@progbits
; Kernel info:
; codeLenInByte = 3124
; TotalNumSgprs: 18
; NumVgprs: 77
; ScratchSize: 0
; MemoryBound: 0
; FloatMode: 240
; IeeeMode: 1
; LDSByteSize: 0 bytes/workgroup (compile time only)
; SGPRBlocks: 0
; VGPRBlocks: 9
; NumSGPRsForWavesPerEU: 18
; NumVGPRsForWavesPerEU: 77
; Occupancy: 16
; WaveLimiterHint : 1
; COMPUTE_PGM_RSRC2:SCRATCH_EN: 0
; COMPUTE_PGM_RSRC2:USER_SGPR: 2
; COMPUTE_PGM_RSRC2:TRAP_HANDLER: 0
; COMPUTE_PGM_RSRC2:TGID_X_EN: 1
; COMPUTE_PGM_RSRC2:TGID_Y_EN: 0
; COMPUTE_PGM_RSRC2:TGID_Z_EN: 0
; COMPUTE_PGM_RSRC2:TIDIG_COMP_CNT: 0
	.section	.text._ZN9rocsparseL19gebsrmvn_4xn_kernelILj128ELj8ELj8E21rocsparse_complex_numIdEEEvi20rocsparse_direction_NS_24const_host_device_scalarIT2_EEPKiS8_PKS5_SA_S6_PS5_21rocsparse_index_base_b,"axG",@progbits,_ZN9rocsparseL19gebsrmvn_4xn_kernelILj128ELj8ELj8E21rocsparse_complex_numIdEEEvi20rocsparse_direction_NS_24const_host_device_scalarIT2_EEPKiS8_PKS5_SA_S6_PS5_21rocsparse_index_base_b,comdat
	.globl	_ZN9rocsparseL19gebsrmvn_4xn_kernelILj128ELj8ELj8E21rocsparse_complex_numIdEEEvi20rocsparse_direction_NS_24const_host_device_scalarIT2_EEPKiS8_PKS5_SA_S6_PS5_21rocsparse_index_base_b ; -- Begin function _ZN9rocsparseL19gebsrmvn_4xn_kernelILj128ELj8ELj8E21rocsparse_complex_numIdEEEvi20rocsparse_direction_NS_24const_host_device_scalarIT2_EEPKiS8_PKS5_SA_S6_PS5_21rocsparse_index_base_b
	.p2align	8
	.type	_ZN9rocsparseL19gebsrmvn_4xn_kernelILj128ELj8ELj8E21rocsparse_complex_numIdEEEvi20rocsparse_direction_NS_24const_host_device_scalarIT2_EEPKiS8_PKS5_SA_S6_PS5_21rocsparse_index_base_b,@function
_ZN9rocsparseL19gebsrmvn_4xn_kernelILj128ELj8ELj8E21rocsparse_complex_numIdEEEvi20rocsparse_direction_NS_24const_host_device_scalarIT2_EEPKiS8_PKS5_SA_S6_PS5_21rocsparse_index_base_b: ; @_ZN9rocsparseL19gebsrmvn_4xn_kernelILj128ELj8ELj8E21rocsparse_complex_numIdEEEvi20rocsparse_direction_NS_24const_host_device_scalarIT2_EEPKiS8_PKS5_SA_S6_PS5_21rocsparse_index_base_b
; %bb.0:
	s_clause 0x1
	s_load_b64 s[12:13], s[0:1], 0x50
	s_load_b64 s[2:3], s[0:1], 0x8
	s_add_nc_u64 s[4:5], s[0:1], 8
	s_load_b64 s[6:7], s[0:1], 0x38
	s_wait_kmcnt 0x0
	s_bitcmp1_b32 s13, 0
	s_cselect_b32 s2, s4, s2
	s_cselect_b32 s3, s5, s3
	s_delay_alu instid0(SALU_CYCLE_1)
	v_dual_mov_b32 v1, s2 :: v_dual_mov_b32 v2, s3
	s_add_nc_u64 s[2:3], s[0:1], 56
	s_wait_alu 0xfffe
	s_cselect_b32 s2, s2, s6
	s_cselect_b32 s3, s3, s7
	flat_load_b128 v[1:4], v[1:2]
	s_wait_alu 0xfffe
	v_dual_mov_b32 v5, s2 :: v_dual_mov_b32 v6, s3
	flat_load_b128 v[5:8], v[5:6]
	s_wait_loadcnt_dscnt 0x101
	v_cmp_eq_f64_e32 vcc_lo, 0, v[1:2]
	v_cmp_eq_f64_e64 s2, 0, v[3:4]
	s_and_b32 s4, vcc_lo, s2
	s_mov_b32 s2, -1
	s_and_saveexec_b32 s3, s4
	s_cbranch_execz .LBB142_2
; %bb.1:
	s_wait_loadcnt_dscnt 0x0
	v_cmp_neq_f64_e32 vcc_lo, 1.0, v[5:6]
	v_cmp_neq_f64_e64 s2, 0, v[7:8]
	s_wait_alu 0xfffe
	s_or_b32 s2, vcc_lo, s2
	s_wait_alu 0xfffe
	s_or_not1_b32 s2, s2, exec_lo
.LBB142_2:
	s_wait_alu 0xfffe
	s_or_b32 exec_lo, exec_lo, s3
	s_and_saveexec_b32 s3, s2
	s_cbranch_execz .LBB142_25
; %bb.3:
	s_load_b64 s[2:3], s[0:1], 0x0
	v_lshrrev_b32_e32 v9, 3, v0
	s_delay_alu instid0(VALU_DEP_1) | instskip(SKIP_1) | instid1(VALU_DEP_1)
	v_lshl_or_b32 v9, ttmp9, 4, v9
	s_wait_kmcnt 0x0
	v_cmp_gt_i32_e32 vcc_lo, s2, v9
	s_and_b32 exec_lo, exec_lo, vcc_lo
	s_cbranch_execz .LBB142_25
; %bb.4:
	s_load_b256 s[4:11], s[0:1], 0x18
	v_ashrrev_i32_e32 v10, 31, v9
	v_and_b32_e32 v0, 7, v0
	s_cmp_lg_u32 s3, 0
	s_delay_alu instid0(VALU_DEP_2) | instskip(SKIP_1) | instid1(VALU_DEP_1)
	v_lshlrev_b64_e32 v[10:11], 2, v[9:10]
	s_wait_kmcnt 0x0
	v_add_co_u32 v10, vcc_lo, s4, v10
	s_delay_alu instid0(VALU_DEP_1) | instskip(SKIP_4) | instid1(VALU_DEP_2)
	v_add_co_ci_u32_e64 v11, null, s5, v11, vcc_lo
	global_load_b64 v[10:11], v[10:11], off
	s_wait_loadcnt 0x0
	v_subrev_nc_u32_e32 v10, s12, v10
	v_subrev_nc_u32_e32 v35, s12, v11
	v_add_nc_u32_e32 v22, v10, v0
	s_delay_alu instid0(VALU_DEP_1)
	v_cmp_lt_i32_e64 s2, v22, v35
	s_cbranch_scc0 .LBB142_12
; %bb.5:
	v_mov_b32_e32 v10, 0
	v_mov_b32_e32 v12, 0
	;; [unrolled: 1-line block ×3, first 2 shown]
	v_dual_mov_b32 v24, 0 :: v_dual_mov_b32 v11, 0
	v_dual_mov_b32 v16, 0 :: v_dual_mov_b32 v13, 0
	;; [unrolled: 1-line block ×5, first 2 shown]
	v_mov_b32_e32 v15, 0
	v_mov_b32_e32 v21, 0
	;; [unrolled: 1-line block ×3, first 2 shown]
	s_and_saveexec_b32 s3, s2
	s_cbranch_execz .LBB142_11
; %bb.6:
	v_lshlrev_b32_e32 v28, 5, v22
	v_mov_b32_e32 v16, 0
	v_mov_b32_e32 v14, 0
	;; [unrolled: 1-line block ×3, first 2 shown]
	v_dual_mov_b32 v10, 0 :: v_dual_mov_b32 v31, 0
	v_dual_mov_b32 v17, 0 :: v_dual_mov_b32 v12, 0
	;; [unrolled: 1-line block ×5, first 2 shown]
	v_mov_b32_e32 v13, 0
	v_or_b32_e32 v23, 4, v28
	v_mov_b32_e32 v19, 0
	v_mov_b32_e32 v25, 0
	v_dual_mov_b32 v27, 0 :: v_dual_mov_b32 v32, v22
	s_add_nc_u64 s[4:5], s[10:11], 16
	s_mov_b32 s13, 0
.LBB142_7:                              ; =>This Loop Header: Depth=1
                                        ;     Child Loop BB142_8 Depth 2
	s_delay_alu instid0(VALU_DEP_1) | instskip(SKIP_1) | instid1(VALU_DEP_1)
	v_ashrrev_i32_e32 v33, 31, v32
	s_mov_b64 s[14:15], 0
	v_lshlrev_b64_e32 v[29:30], 2, v[32:33]
	s_delay_alu instid0(VALU_DEP_1) | instskip(SKIP_1) | instid1(VALU_DEP_2)
	v_add_co_u32 v29, vcc_lo, s6, v29
	s_wait_alu 0xfffd
	v_add_co_ci_u32_e64 v30, null, s7, v30, vcc_lo
	global_load_b32 v29, v[29:30], off
	s_wait_loadcnt 0x0
	v_subrev_nc_u32_e32 v30, s12, v29
	s_delay_alu instid0(VALU_DEP_1) | instskip(NEXT) | instid1(VALU_DEP_1)
	v_dual_mov_b32 v29, v31 :: v_dual_lshlrev_b32 v30, 3, v30
	v_lshlrev_b64_e32 v[33:34], 4, v[28:29]
	s_delay_alu instid0(VALU_DEP_2) | instskip(SKIP_1) | instid1(VALU_DEP_3)
	v_lshlrev_b64_e32 v[37:38], 4, v[30:31]
	v_mov_b32_e32 v30, v23
	v_add_co_u32 v29, vcc_lo, s8, v33
	s_wait_alu 0xfffd
	s_delay_alu instid0(VALU_DEP_4)
	v_add_co_ci_u32_e64 v36, null, s9, v34, vcc_lo
	s_wait_alu 0xfffe
	v_add_co_u32 v33, vcc_lo, s4, v37
	s_wait_alu 0xfffd
	v_add_co_ci_u32_e64 v34, null, s5, v38, vcc_lo
.LBB142_8:                              ;   Parent Loop BB142_7 Depth=1
                                        ; =>  This Inner Loop Header: Depth=2
	v_add_co_u32 v57, vcc_lo, v29, s14
	s_wait_alu 0xfffd
	v_add_co_ci_u32_e64 v58, null, s15, v36, vcc_lo
	v_lshlrev_b64_e32 v[61:62], 4, v[30:31]
	s_clause 0x1
	global_load_b128 v[37:40], v[33:34], off
	global_load_b128 v[41:44], v[33:34], off offset:-16
	s_clause 0x3
	global_load_b128 v[45:48], v[57:58], off
	global_load_b128 v[49:52], v[57:58], off offset:16
	global_load_b128 v[53:56], v[57:58], off offset:32
	;; [unrolled: 1-line block ×3, first 2 shown]
	v_add_nc_u32_e32 v30, 8, v30
	s_add_nc_u64 s[14:15], s[14:15], 0x80
	s_wait_alu 0xfffe
	s_cmp_eq_u32 s14, 0x200
	v_add_co_u32 v73, vcc_lo, s8, v61
	s_wait_alu 0xfffd
	v_add_co_ci_u32_e64 v74, null, s9, v62, vcc_lo
	s_clause 0x3
	global_load_b128 v[61:64], v[73:74], off
	global_load_b128 v[65:68], v[73:74], off offset:16
	global_load_b128 v[69:72], v[73:74], off offset:32
	;; [unrolled: 1-line block ×3, first 2 shown]
	v_add_co_u32 v33, vcc_lo, v33, 32
	s_wait_alu 0xfffd
	v_add_co_ci_u32_e64 v34, null, 0, v34, vcc_lo
	s_wait_loadcnt 0x7
	v_fma_f64 v[16:17], v[45:46], v[41:42], v[16:17]
	v_fma_f64 v[10:11], v[47:48], v[41:42], v[10:11]
	s_wait_loadcnt 0x6
	v_fma_f64 v[24:25], v[49:50], v[41:42], v[24:25]
	v_fma_f64 v[26:27], v[51:52], v[41:42], v[26:27]
	;; [unrolled: 3-line block ×4, first 2 shown]
	v_fma_f64 v[16:17], -v[47:48], v[43:44], v[16:17]
	v_fma_f64 v[10:11], v[45:46], v[43:44], v[10:11]
	v_fma_f64 v[24:25], -v[51:52], v[43:44], v[24:25]
	v_fma_f64 v[26:27], v[49:50], v[43:44], v[26:27]
	;; [unrolled: 2-line block ×4, first 2 shown]
	s_wait_loadcnt 0x3
	v_fma_f64 v[16:17], v[61:62], v[37:38], v[16:17]
	v_fma_f64 v[10:11], v[63:64], v[37:38], v[10:11]
	s_wait_loadcnt 0x2
	v_fma_f64 v[24:25], v[65:66], v[37:38], v[24:25]
	v_fma_f64 v[26:27], v[67:68], v[37:38], v[26:27]
	;; [unrolled: 3-line block ×4, first 2 shown]
	v_fma_f64 v[16:17], -v[63:64], v[39:40], v[16:17]
	v_fma_f64 v[10:11], v[61:62], v[39:40], v[10:11]
	v_fma_f64 v[24:25], -v[67:68], v[39:40], v[24:25]
	v_fma_f64 v[26:27], v[65:66], v[39:40], v[26:27]
	;; [unrolled: 2-line block ×4, first 2 shown]
	s_cbranch_scc0 .LBB142_8
; %bb.9:                                ;   in Loop: Header=BB142_7 Depth=1
	v_add_nc_u32_e32 v32, 8, v32
	v_add_nc_u32_e32 v23, 0x100, v23
	;; [unrolled: 1-line block ×3, first 2 shown]
	s_delay_alu instid0(VALU_DEP_3)
	v_cmp_ge_i32_e32 vcc_lo, v32, v35
	s_or_b32 s13, vcc_lo, s13
	s_wait_alu 0xfffe
	s_and_not1_b32 exec_lo, exec_lo, s13
	s_cbranch_execnz .LBB142_7
; %bb.10:
	s_or_b32 exec_lo, exec_lo, s13
.LBB142_11:
	s_wait_alu 0xfffe
	s_or_b32 exec_lo, exec_lo, s3
	s_cbranch_execz .LBB142_13
	s_branch .LBB142_20
.LBB142_12:
                                        ; implicit-def: $vgpr10_vgpr11
                                        ; implicit-def: $vgpr16_vgpr17
                                        ; implicit-def: $vgpr12_vgpr13
                                        ; implicit-def: $vgpr14_vgpr15
                                        ; implicit-def: $vgpr18_vgpr19
                                        ; implicit-def: $vgpr20_vgpr21
                                        ; implicit-def: $vgpr24_vgpr25
                                        ; implicit-def: $vgpr26_vgpr27
.LBB142_13:
	v_mov_b32_e32 v10, 0
	v_mov_b32_e32 v12, 0
	;; [unrolled: 1-line block ×3, first 2 shown]
	v_dual_mov_b32 v24, 0 :: v_dual_mov_b32 v11, 0
	v_dual_mov_b32 v16, 0 :: v_dual_mov_b32 v13, 0
	v_dual_mov_b32 v14, 0 :: v_dual_mov_b32 v19, 0
	v_dual_mov_b32 v20, 0 :: v_dual_mov_b32 v25, 0
	v_dual_mov_b32 v26, 0 :: v_dual_mov_b32 v17, 0
	v_mov_b32_e32 v15, 0
	v_mov_b32_e32 v21, 0
	;; [unrolled: 1-line block ×3, first 2 shown]
	s_and_saveexec_b32 s4, s2
	s_cbranch_execz .LBB142_19
; %bb.14:
	v_mov_b32_e32 v10, 0
	v_mov_b32_e32 v16, 0
	;; [unrolled: 1-line block ×7, first 2 shown]
	v_dual_mov_b32 v26, 0 :: v_dual_mov_b32 v29, 0
	v_dual_mov_b32 v11, 0 :: v_dual_lshlrev_b32 v28, 5, v22
	v_mov_b32_e32 v17, 0
	v_mov_b32_e32 v13, 0
	;; [unrolled: 1-line block ×7, first 2 shown]
	s_mov_b32 s5, 0
.LBB142_15:                             ; =>This Loop Header: Depth=1
                                        ;     Child Loop BB142_16 Depth 2
	v_ashrrev_i32_e32 v23, 31, v22
	v_lshlrev_b64_e32 v[32:33], 4, v[28:29]
	s_mov_b64 s[2:3], 0
	s_delay_alu instid0(VALU_DEP_2) | instskip(NEXT) | instid1(VALU_DEP_1)
	v_lshlrev_b64_e32 v[30:31], 2, v[22:23]
	v_add_co_u32 v30, vcc_lo, s6, v30
	s_wait_alu 0xfffd
	s_delay_alu instid0(VALU_DEP_2) | instskip(SKIP_3) | instid1(VALU_DEP_1)
	v_add_co_ci_u32_e64 v31, null, s7, v31, vcc_lo
	global_load_b32 v23, v[30:31], off
	s_wait_loadcnt 0x0
	v_subrev_nc_u32_e32 v23, s12, v23
	v_dual_mov_b32 v31, v29 :: v_dual_lshlrev_b32 v30, 3, v23
	v_add_co_u32 v23, vcc_lo, s8, v32
	s_delay_alu instid0(VALU_DEP_2) | instskip(SKIP_2) | instid1(VALU_DEP_2)
	v_lshlrev_b64_e32 v[36:37], 4, v[30:31]
	s_wait_alu 0xfffd
	v_add_co_ci_u32_e64 v30, null, s9, v33, vcc_lo
	v_add_co_u32 v31, vcc_lo, s10, v36
	s_wait_alu 0xfffd
	s_delay_alu instid0(VALU_DEP_3)
	v_add_co_ci_u32_e64 v32, null, s11, v37, vcc_lo
.LBB142_16:                             ;   Parent Loop BB142_15 Depth=1
                                        ; =>  This Inner Loop Header: Depth=2
	s_wait_alu 0xfffe
	v_add_co_u32 v33, vcc_lo, v23, s2
	s_wait_alu 0xfffd
	v_add_co_ci_u32_e64 v34, null, s3, v30, vcc_lo
	v_add_co_u32 v60, vcc_lo, v31, s2
	s_wait_alu 0xfffd
	v_add_co_ci_u32_e64 v61, null, s3, v32, vcc_lo
	global_load_b128 v[36:39], v[33:34], off
	global_load_b128 v[40:43], v[60:61], off
	s_clause 0x3
	global_load_b128 v[44:47], v[33:34], off offset:128
	global_load_b128 v[48:51], v[33:34], off offset:256
	;; [unrolled: 1-line block ×5, first 2 shown]
	s_clause 0x2
	global_load_b128 v[64:67], v[33:34], off offset:144
	global_load_b128 v[68:71], v[33:34], off offset:272
	;; [unrolled: 1-line block ×3, first 2 shown]
	s_add_nc_u64 s[2:3], s[2:3], 32
	s_wait_alu 0xfffe
	s_cmp_eq_u32 s2, 0x80
	s_wait_loadcnt 0x8
	v_fma_f64 v[16:17], v[36:37], v[40:41], v[16:17]
	v_fma_f64 v[10:11], v[38:39], v[40:41], v[10:11]
	s_wait_loadcnt 0x7
	v_fma_f64 v[24:25], v[44:45], v[40:41], v[24:25]
	v_fma_f64 v[26:27], v[46:47], v[40:41], v[26:27]
	;; [unrolled: 3-line block ×4, first 2 shown]
	v_fma_f64 v[16:17], -v[38:39], v[42:43], v[16:17]
	v_fma_f64 v[10:11], v[36:37], v[42:43], v[10:11]
	v_fma_f64 v[24:25], -v[46:47], v[42:43], v[24:25]
	v_fma_f64 v[26:27], v[44:45], v[42:43], v[26:27]
	;; [unrolled: 2-line block ×4, first 2 shown]
	s_wait_loadcnt 0x3
	v_fma_f64 v[16:17], v[56:57], v[60:61], v[16:17]
	v_fma_f64 v[10:11], v[58:59], v[60:61], v[10:11]
	s_wait_loadcnt 0x2
	v_fma_f64 v[24:25], v[64:65], v[60:61], v[24:25]
	v_fma_f64 v[26:27], v[66:67], v[60:61], v[26:27]
	;; [unrolled: 3-line block ×4, first 2 shown]
	v_fma_f64 v[16:17], -v[58:59], v[62:63], v[16:17]
	v_fma_f64 v[10:11], v[56:57], v[62:63], v[10:11]
	v_fma_f64 v[24:25], -v[66:67], v[62:63], v[24:25]
	v_fma_f64 v[26:27], v[64:65], v[62:63], v[26:27]
	;; [unrolled: 2-line block ×4, first 2 shown]
	s_cbranch_scc0 .LBB142_16
; %bb.17:                               ;   in Loop: Header=BB142_15 Depth=1
	v_add_nc_u32_e32 v22, 8, v22
	v_add_nc_u32_e32 v28, 0x100, v28
	s_delay_alu instid0(VALU_DEP_2)
	v_cmp_ge_i32_e32 vcc_lo, v22, v35
	s_or_b32 s5, vcc_lo, s5
	s_wait_alu 0xfffe
	s_and_not1_b32 exec_lo, exec_lo, s5
	s_cbranch_execnz .LBB142_15
; %bb.18:
	s_or_b32 exec_lo, exec_lo, s5
.LBB142_19:
	s_wait_alu 0xfffe
	s_or_b32 exec_lo, exec_lo, s4
.LBB142_20:
	v_mbcnt_lo_u32_b32 v44, -1, 0
	s_delay_alu instid0(VALU_DEP_1) | instskip(NEXT) | instid1(VALU_DEP_1)
	v_xor_b32_e32 v22, 4, v44
	v_cmp_gt_i32_e32 vcc_lo, 32, v22
	s_wait_alu 0xfffd
	v_cndmask_b32_e32 v22, v44, v22, vcc_lo
	s_delay_alu instid0(VALU_DEP_1)
	v_lshlrev_b32_e32 v41, 2, v22
	ds_bpermute_b32 v22, v41, v16
	ds_bpermute_b32 v23, v41, v17
	;; [unrolled: 1-line block ×16, first 2 shown]
	s_wait_dscnt 0xe
	v_add_f64_e32 v[16:17], v[16:17], v[22:23]
	s_wait_dscnt 0xc
	v_add_f64_e32 v[22:23], v[10:11], v[28:29]
	v_xor_b32_e32 v10, 2, v44
	s_wait_dscnt 0xa
	v_add_f64_e32 v[28:29], v[24:25], v[30:31]
	s_wait_dscnt 0x8
	v_add_f64_e32 v[26:27], v[26:27], v[32:33]
	;; [unrolled: 2-line block ×3, first 2 shown]
	v_cmp_gt_i32_e32 vcc_lo, 32, v10
	s_wait_dscnt 0x4
	v_add_f64_e32 v[20:21], v[20:21], v[36:37]
	s_wait_dscnt 0x2
	v_add_f64_e32 v[30:31], v[12:13], v[38:39]
	;; [unrolled: 2-line block ×3, first 2 shown]
	s_wait_alu 0xfffd
	v_cndmask_b32_e32 v10, v44, v10, vcc_lo
	s_delay_alu instid0(VALU_DEP_1)
	v_lshlrev_b32_e32 v24, 2, v10
	ds_bpermute_b32 v10, v24, v16
	ds_bpermute_b32 v11, v24, v17
	;; [unrolled: 1-line block ×16, first 2 shown]
	s_wait_dscnt 0xe
	v_add_f64_e32 v[10:11], v[16:17], v[10:11]
	s_wait_dscnt 0xc
	v_add_f64_e32 v[24:25], v[22:23], v[12:13]
	;; [unrolled: 2-line block ×4, first 2 shown]
	v_xor_b32_e32 v26, 1, v44
	s_wait_dscnt 0x6
	v_add_f64_e32 v[14:15], v[18:19], v[36:37]
	s_wait_dscnt 0x4
	v_add_f64_e32 v[20:21], v[20:21], v[38:39]
	;; [unrolled: 2-line block ×3, first 2 shown]
	v_cmp_gt_i32_e32 vcc_lo, 32, v26
	s_wait_dscnt 0x0
	v_add_f64_e32 v[18:19], v[32:33], v[42:43]
	s_wait_alu 0xfffd
	v_cndmask_b32_e32 v26, v44, v26, vcc_lo
	v_cmp_eq_u32_e32 vcc_lo, 7, v0
	s_delay_alu instid0(VALU_DEP_2)
	v_lshlrev_b32_e32 v29, 2, v26
	ds_bpermute_b32 v40, v29, v10
	ds_bpermute_b32 v41, v29, v11
	;; [unrolled: 1-line block ×16, first 2 shown]
	s_and_b32 exec_lo, exec_lo, vcc_lo
	s_cbranch_execz .LBB142_25
; %bb.21:
	v_cmp_eq_f64_e32 vcc_lo, 0, v[5:6]
	v_cmp_eq_f64_e64 s2, 0, v[7:8]
	s_wait_dscnt 0xe
	v_add_f64_e32 v[10:11], v[10:11], v[40:41]
	s_wait_dscnt 0xc
	v_add_f64_e32 v[24:25], v[24:25], v[38:39]
	;; [unrolled: 2-line block ×8, first 2 shown]
	s_load_b64 s[0:1], s[0:1], 0x48
	s_and_b32 s2, vcc_lo, s2
	s_wait_alu 0xfffe
	s_and_saveexec_b32 s3, s2
	s_wait_alu 0xfffe
	s_xor_b32 s2, exec_lo, s3
	s_cbranch_execz .LBB142_23
; %bb.22:
	v_mul_f64_e64 v[5:6], v[24:25], -v[3:4]
	v_mul_f64_e32 v[7:8], v[1:2], v[24:25]
	v_mul_f64_e64 v[24:25], v[22:23], -v[3:4]
	v_mul_f64_e32 v[22:23], v[1:2], v[22:23]
	;; [unrolled: 2-line block ×4, first 2 shown]
	v_fma_f64 v[5:6], v[1:2], v[10:11], v[5:6]
	v_fma_f64 v[7:8], v[3:4], v[10:11], v[7:8]
	;; [unrolled: 1-line block ×8, first 2 shown]
	v_lshlrev_b32_e32 v14, 2, v9
                                        ; implicit-def: $vgpr9
                                        ; implicit-def: $vgpr24_vgpr25
                                        ; implicit-def: $vgpr22_vgpr23
                                        ; implicit-def: $vgpr16_vgpr17
	s_delay_alu instid0(VALU_DEP_1) | instskip(NEXT) | instid1(VALU_DEP_1)
	v_ashrrev_i32_e32 v15, 31, v14
	v_lshlrev_b64_e32 v[14:15], 4, v[14:15]
	s_wait_kmcnt 0x0
	s_delay_alu instid0(VALU_DEP_1) | instskip(SKIP_1) | instid1(VALU_DEP_2)
	v_add_co_u32 v14, vcc_lo, s0, v14
	s_wait_alu 0xfffd
	v_add_co_ci_u32_e64 v15, null, s1, v15, vcc_lo
	s_clause 0x3
	global_store_b128 v[14:15], v[5:8], off
	global_store_b128 v[14:15], v[10:13], off offset:16
	global_store_b128 v[14:15], v[18:21], off offset:32
	;; [unrolled: 1-line block ×3, first 2 shown]
                                        ; implicit-def: $vgpr10_vgpr11
                                        ; implicit-def: $vgpr12_vgpr13
                                        ; implicit-def: $vgpr14_vgpr15
                                        ; implicit-def: $vgpr20_vgpr21
                                        ; implicit-def: $vgpr18_vgpr19
                                        ; implicit-def: $vgpr7_vgpr8
                                        ; implicit-def: $vgpr3_vgpr4
.LBB142_23:
	s_wait_alu 0xfffe
	s_and_not1_saveexec_b32 s2, s2
	s_cbranch_execz .LBB142_25
; %bb.24:
	v_lshlrev_b32_e32 v26, 2, v9
	v_mul_f64_e64 v[44:45], v[24:25], -v[3:4]
	v_mul_f64_e32 v[24:25], v[1:2], v[24:25]
	v_mul_f64_e64 v[46:47], v[22:23], -v[3:4]
	v_mul_f64_e32 v[22:23], v[1:2], v[22:23]
	v_ashrrev_i32_e32 v27, 31, v26
	v_mul_f64_e64 v[48:49], v[20:21], -v[3:4]
	v_mul_f64_e32 v[20:21], v[1:2], v[20:21]
	v_mul_f64_e64 v[50:51], v[18:19], -v[3:4]
	v_mul_f64_e32 v[18:19], v[1:2], v[18:19]
	v_lshlrev_b64_e32 v[26:27], 4, v[26:27]
	s_wait_kmcnt 0x0
	s_delay_alu instid0(VALU_DEP_1) | instskip(SKIP_1) | instid1(VALU_DEP_2)
	v_add_co_u32 v42, vcc_lo, s0, v26
	s_wait_alu 0xfffd
	v_add_co_ci_u32_e64 v43, null, s1, v27, vcc_lo
	s_clause 0x3
	global_load_b128 v[26:29], v[42:43], off
	global_load_b128 v[30:33], v[42:43], off offset:16
	global_load_b128 v[34:37], v[42:43], off offset:32
	;; [unrolled: 1-line block ×3, first 2 shown]
	v_fma_f64 v[44:45], v[1:2], v[10:11], v[44:45]
	v_fma_f64 v[9:10], v[3:4], v[10:11], v[24:25]
	;; [unrolled: 1-line block ×8, first 2 shown]
	s_wait_loadcnt 0x3
	v_fma_f64 v[15:16], v[5:6], v[26:27], v[44:45]
	v_fma_f64 v[9:10], v[7:8], v[26:27], v[9:10]
	s_wait_loadcnt 0x2
	v_fma_f64 v[17:18], v[5:6], v[30:31], v[24:25]
	v_fma_f64 v[11:12], v[7:8], v[30:31], v[11:12]
	;; [unrolled: 3-line block ×4, first 2 shown]
	v_fma_f64 v[0:1], -v[7:8], v[28:29], v[15:16]
	v_fma_f64 v[2:3], v[5:6], v[28:29], v[9:10]
	v_fma_f64 v[9:10], -v[7:8], v[32:33], v[17:18]
	v_fma_f64 v[11:12], v[5:6], v[32:33], v[11:12]
	;; [unrolled: 2-line block ×4, first 2 shown]
	s_clause 0x3
	global_store_b128 v[42:43], v[0:3], off
	global_store_b128 v[42:43], v[9:12], off offset:16
	global_store_b128 v[42:43], v[13:16], off offset:32
	;; [unrolled: 1-line block ×3, first 2 shown]
.LBB142_25:
	s_endpgm
	.section	.rodata,"a",@progbits
	.p2align	6, 0x0
	.amdhsa_kernel _ZN9rocsparseL19gebsrmvn_4xn_kernelILj128ELj8ELj8E21rocsparse_complex_numIdEEEvi20rocsparse_direction_NS_24const_host_device_scalarIT2_EEPKiS8_PKS5_SA_S6_PS5_21rocsparse_index_base_b
		.amdhsa_group_segment_fixed_size 0
		.amdhsa_private_segment_fixed_size 0
		.amdhsa_kernarg_size 88
		.amdhsa_user_sgpr_count 2
		.amdhsa_user_sgpr_dispatch_ptr 0
		.amdhsa_user_sgpr_queue_ptr 0
		.amdhsa_user_sgpr_kernarg_segment_ptr 1
		.amdhsa_user_sgpr_dispatch_id 0
		.amdhsa_user_sgpr_private_segment_size 0
		.amdhsa_wavefront_size32 1
		.amdhsa_uses_dynamic_stack 0
		.amdhsa_enable_private_segment 0
		.amdhsa_system_sgpr_workgroup_id_x 1
		.amdhsa_system_sgpr_workgroup_id_y 0
		.amdhsa_system_sgpr_workgroup_id_z 0
		.amdhsa_system_sgpr_workgroup_info 0
		.amdhsa_system_vgpr_workitem_id 0
		.amdhsa_next_free_vgpr 77
		.amdhsa_next_free_sgpr 16
		.amdhsa_reserve_vcc 1
		.amdhsa_float_round_mode_32 0
		.amdhsa_float_round_mode_16_64 0
		.amdhsa_float_denorm_mode_32 3
		.amdhsa_float_denorm_mode_16_64 3
		.amdhsa_fp16_overflow 0
		.amdhsa_workgroup_processor_mode 1
		.amdhsa_memory_ordered 1
		.amdhsa_forward_progress 1
		.amdhsa_inst_pref_size 27
		.amdhsa_round_robin_scheduling 0
		.amdhsa_exception_fp_ieee_invalid_op 0
		.amdhsa_exception_fp_denorm_src 0
		.amdhsa_exception_fp_ieee_div_zero 0
		.amdhsa_exception_fp_ieee_overflow 0
		.amdhsa_exception_fp_ieee_underflow 0
		.amdhsa_exception_fp_ieee_inexact 0
		.amdhsa_exception_int_div_zero 0
	.end_amdhsa_kernel
	.section	.text._ZN9rocsparseL19gebsrmvn_4xn_kernelILj128ELj8ELj8E21rocsparse_complex_numIdEEEvi20rocsparse_direction_NS_24const_host_device_scalarIT2_EEPKiS8_PKS5_SA_S6_PS5_21rocsparse_index_base_b,"axG",@progbits,_ZN9rocsparseL19gebsrmvn_4xn_kernelILj128ELj8ELj8E21rocsparse_complex_numIdEEEvi20rocsparse_direction_NS_24const_host_device_scalarIT2_EEPKiS8_PKS5_SA_S6_PS5_21rocsparse_index_base_b,comdat
.Lfunc_end142:
	.size	_ZN9rocsparseL19gebsrmvn_4xn_kernelILj128ELj8ELj8E21rocsparse_complex_numIdEEEvi20rocsparse_direction_NS_24const_host_device_scalarIT2_EEPKiS8_PKS5_SA_S6_PS5_21rocsparse_index_base_b, .Lfunc_end142-_ZN9rocsparseL19gebsrmvn_4xn_kernelILj128ELj8ELj8E21rocsparse_complex_numIdEEEvi20rocsparse_direction_NS_24const_host_device_scalarIT2_EEPKiS8_PKS5_SA_S6_PS5_21rocsparse_index_base_b
                                        ; -- End function
	.set _ZN9rocsparseL19gebsrmvn_4xn_kernelILj128ELj8ELj8E21rocsparse_complex_numIdEEEvi20rocsparse_direction_NS_24const_host_device_scalarIT2_EEPKiS8_PKS5_SA_S6_PS5_21rocsparse_index_base_b.num_vgpr, 77
	.set _ZN9rocsparseL19gebsrmvn_4xn_kernelILj128ELj8ELj8E21rocsparse_complex_numIdEEEvi20rocsparse_direction_NS_24const_host_device_scalarIT2_EEPKiS8_PKS5_SA_S6_PS5_21rocsparse_index_base_b.num_agpr, 0
	.set _ZN9rocsparseL19gebsrmvn_4xn_kernelILj128ELj8ELj8E21rocsparse_complex_numIdEEEvi20rocsparse_direction_NS_24const_host_device_scalarIT2_EEPKiS8_PKS5_SA_S6_PS5_21rocsparse_index_base_b.numbered_sgpr, 16
	.set _ZN9rocsparseL19gebsrmvn_4xn_kernelILj128ELj8ELj8E21rocsparse_complex_numIdEEEvi20rocsparse_direction_NS_24const_host_device_scalarIT2_EEPKiS8_PKS5_SA_S6_PS5_21rocsparse_index_base_b.num_named_barrier, 0
	.set _ZN9rocsparseL19gebsrmvn_4xn_kernelILj128ELj8ELj8E21rocsparse_complex_numIdEEEvi20rocsparse_direction_NS_24const_host_device_scalarIT2_EEPKiS8_PKS5_SA_S6_PS5_21rocsparse_index_base_b.private_seg_size, 0
	.set _ZN9rocsparseL19gebsrmvn_4xn_kernelILj128ELj8ELj8E21rocsparse_complex_numIdEEEvi20rocsparse_direction_NS_24const_host_device_scalarIT2_EEPKiS8_PKS5_SA_S6_PS5_21rocsparse_index_base_b.uses_vcc, 1
	.set _ZN9rocsparseL19gebsrmvn_4xn_kernelILj128ELj8ELj8E21rocsparse_complex_numIdEEEvi20rocsparse_direction_NS_24const_host_device_scalarIT2_EEPKiS8_PKS5_SA_S6_PS5_21rocsparse_index_base_b.uses_flat_scratch, 0
	.set _ZN9rocsparseL19gebsrmvn_4xn_kernelILj128ELj8ELj8E21rocsparse_complex_numIdEEEvi20rocsparse_direction_NS_24const_host_device_scalarIT2_EEPKiS8_PKS5_SA_S6_PS5_21rocsparse_index_base_b.has_dyn_sized_stack, 0
	.set _ZN9rocsparseL19gebsrmvn_4xn_kernelILj128ELj8ELj8E21rocsparse_complex_numIdEEEvi20rocsparse_direction_NS_24const_host_device_scalarIT2_EEPKiS8_PKS5_SA_S6_PS5_21rocsparse_index_base_b.has_recursion, 0
	.set _ZN9rocsparseL19gebsrmvn_4xn_kernelILj128ELj8ELj8E21rocsparse_complex_numIdEEEvi20rocsparse_direction_NS_24const_host_device_scalarIT2_EEPKiS8_PKS5_SA_S6_PS5_21rocsparse_index_base_b.has_indirect_call, 0
	.section	.AMDGPU.csdata,"",@progbits
; Kernel info:
; codeLenInByte = 3340
; TotalNumSgprs: 18
; NumVgprs: 77
; ScratchSize: 0
; MemoryBound: 0
; FloatMode: 240
; IeeeMode: 1
; LDSByteSize: 0 bytes/workgroup (compile time only)
; SGPRBlocks: 0
; VGPRBlocks: 9
; NumSGPRsForWavesPerEU: 18
; NumVGPRsForWavesPerEU: 77
; Occupancy: 16
; WaveLimiterHint : 1
; COMPUTE_PGM_RSRC2:SCRATCH_EN: 0
; COMPUTE_PGM_RSRC2:USER_SGPR: 2
; COMPUTE_PGM_RSRC2:TRAP_HANDLER: 0
; COMPUTE_PGM_RSRC2:TGID_X_EN: 1
; COMPUTE_PGM_RSRC2:TGID_Y_EN: 0
; COMPUTE_PGM_RSRC2:TGID_Z_EN: 0
; COMPUTE_PGM_RSRC2:TIDIG_COMP_CNT: 0
	.section	.text._ZN9rocsparseL19gebsrmvn_4xn_kernelILj128ELj8ELj16E21rocsparse_complex_numIdEEEvi20rocsparse_direction_NS_24const_host_device_scalarIT2_EEPKiS8_PKS5_SA_S6_PS5_21rocsparse_index_base_b,"axG",@progbits,_ZN9rocsparseL19gebsrmvn_4xn_kernelILj128ELj8ELj16E21rocsparse_complex_numIdEEEvi20rocsparse_direction_NS_24const_host_device_scalarIT2_EEPKiS8_PKS5_SA_S6_PS5_21rocsparse_index_base_b,comdat
	.globl	_ZN9rocsparseL19gebsrmvn_4xn_kernelILj128ELj8ELj16E21rocsparse_complex_numIdEEEvi20rocsparse_direction_NS_24const_host_device_scalarIT2_EEPKiS8_PKS5_SA_S6_PS5_21rocsparse_index_base_b ; -- Begin function _ZN9rocsparseL19gebsrmvn_4xn_kernelILj128ELj8ELj16E21rocsparse_complex_numIdEEEvi20rocsparse_direction_NS_24const_host_device_scalarIT2_EEPKiS8_PKS5_SA_S6_PS5_21rocsparse_index_base_b
	.p2align	8
	.type	_ZN9rocsparseL19gebsrmvn_4xn_kernelILj128ELj8ELj16E21rocsparse_complex_numIdEEEvi20rocsparse_direction_NS_24const_host_device_scalarIT2_EEPKiS8_PKS5_SA_S6_PS5_21rocsparse_index_base_b,@function
_ZN9rocsparseL19gebsrmvn_4xn_kernelILj128ELj8ELj16E21rocsparse_complex_numIdEEEvi20rocsparse_direction_NS_24const_host_device_scalarIT2_EEPKiS8_PKS5_SA_S6_PS5_21rocsparse_index_base_b: ; @_ZN9rocsparseL19gebsrmvn_4xn_kernelILj128ELj8ELj16E21rocsparse_complex_numIdEEEvi20rocsparse_direction_NS_24const_host_device_scalarIT2_EEPKiS8_PKS5_SA_S6_PS5_21rocsparse_index_base_b
; %bb.0:
	s_clause 0x1
	s_load_b64 s[12:13], s[0:1], 0x50
	s_load_b64 s[2:3], s[0:1], 0x8
	s_add_nc_u64 s[4:5], s[0:1], 8
	s_load_b64 s[6:7], s[0:1], 0x38
	s_wait_kmcnt 0x0
	s_bitcmp1_b32 s13, 0
	s_cselect_b32 s2, s4, s2
	s_cselect_b32 s3, s5, s3
	s_delay_alu instid0(SALU_CYCLE_1)
	v_dual_mov_b32 v1, s2 :: v_dual_mov_b32 v2, s3
	s_add_nc_u64 s[2:3], s[0:1], 56
	s_wait_alu 0xfffe
	s_cselect_b32 s2, s2, s6
	s_cselect_b32 s3, s3, s7
	flat_load_b128 v[1:4], v[1:2]
	s_wait_alu 0xfffe
	v_dual_mov_b32 v5, s2 :: v_dual_mov_b32 v6, s3
	flat_load_b128 v[5:8], v[5:6]
	s_wait_loadcnt_dscnt 0x101
	v_cmp_eq_f64_e32 vcc_lo, 0, v[1:2]
	v_cmp_eq_f64_e64 s2, 0, v[3:4]
	s_and_b32 s4, vcc_lo, s2
	s_mov_b32 s2, -1
	s_and_saveexec_b32 s3, s4
	s_cbranch_execz .LBB143_2
; %bb.1:
	s_wait_loadcnt_dscnt 0x0
	v_cmp_neq_f64_e32 vcc_lo, 1.0, v[5:6]
	v_cmp_neq_f64_e64 s2, 0, v[7:8]
	s_wait_alu 0xfffe
	s_or_b32 s2, vcc_lo, s2
	s_wait_alu 0xfffe
	s_or_not1_b32 s2, s2, exec_lo
.LBB143_2:
	s_wait_alu 0xfffe
	s_or_b32 exec_lo, exec_lo, s3
	s_and_saveexec_b32 s3, s2
	s_cbranch_execz .LBB143_25
; %bb.3:
	s_load_b64 s[2:3], s[0:1], 0x0
	v_lshrrev_b32_e32 v9, 4, v0
	s_delay_alu instid0(VALU_DEP_1) | instskip(SKIP_1) | instid1(VALU_DEP_1)
	v_lshl_or_b32 v9, ttmp9, 3, v9
	s_wait_kmcnt 0x0
	v_cmp_gt_i32_e32 vcc_lo, s2, v9
	s_and_b32 exec_lo, exec_lo, vcc_lo
	s_cbranch_execz .LBB143_25
; %bb.4:
	s_load_b256 s[4:11], s[0:1], 0x18
	v_ashrrev_i32_e32 v10, 31, v9
	v_and_b32_e32 v0, 15, v0
	s_cmp_lg_u32 s3, 0
	s_delay_alu instid0(VALU_DEP_2) | instskip(SKIP_1) | instid1(VALU_DEP_1)
	v_lshlrev_b64_e32 v[10:11], 2, v[9:10]
	s_wait_kmcnt 0x0
	v_add_co_u32 v10, vcc_lo, s4, v10
	s_delay_alu instid0(VALU_DEP_1) | instskip(SKIP_4) | instid1(VALU_DEP_2)
	v_add_co_ci_u32_e64 v11, null, s5, v11, vcc_lo
	global_load_b64 v[10:11], v[10:11], off
	s_wait_loadcnt 0x0
	v_subrev_nc_u32_e32 v10, s12, v10
	v_subrev_nc_u32_e32 v34, s12, v11
	v_add_nc_u32_e32 v26, v10, v0
	s_delay_alu instid0(VALU_DEP_1)
	v_cmp_lt_i32_e64 s2, v26, v34
	s_cbranch_scc0 .LBB143_12
; %bb.5:
	v_mov_b32_e32 v10, 0
	v_mov_b32_e32 v12, 0
	;; [unrolled: 1-line block ×3, first 2 shown]
	v_dual_mov_b32 v22, 0 :: v_dual_mov_b32 v11, 0
	v_dual_mov_b32 v16, 0 :: v_dual_mov_b32 v13, 0
	;; [unrolled: 1-line block ×5, first 2 shown]
	v_mov_b32_e32 v15, 0
	v_mov_b32_e32 v21, 0
	;; [unrolled: 1-line block ×3, first 2 shown]
	s_and_saveexec_b32 s3, s2
	s_cbranch_execz .LBB143_11
; %bb.6:
	v_dual_mov_b32 v10, 0 :: v_dual_lshlrev_b32 v27, 5, v26
	v_mov_b32_e32 v16, 0
	v_mov_b32_e32 v14, 0
	v_dual_mov_b32 v20, 0 :: v_dual_mov_b32 v17, 0
	v_dual_mov_b32 v12, 0 :: v_dual_mov_b32 v15, 0
	;; [unrolled: 1-line block ×3, first 2 shown]
	v_mov_b32_e32 v22, 0
	v_dual_mov_b32 v24, 0 :: v_dual_mov_b32 v31, v26
	v_dual_mov_b32 v11, 0 :: v_dual_mov_b32 v30, 0
	v_mov_b32_e32 v13, 0
	v_or_b32_e32 v35, 4, v27
	v_mov_b32_e32 v19, 0
	v_mov_b32_e32 v23, 0
	;; [unrolled: 1-line block ×3, first 2 shown]
	s_add_nc_u64 s[4:5], s[10:11], 16
	s_mov_b32 s13, 0
.LBB143_7:                              ; =>This Loop Header: Depth=1
                                        ;     Child Loop BB143_8 Depth 2
	v_ashrrev_i32_e32 v32, 31, v31
	s_mov_b64 s[14:15], 0
	s_delay_alu instid0(VALU_DEP_1) | instskip(NEXT) | instid1(VALU_DEP_1)
	v_lshlrev_b64_e32 v[28:29], 2, v[31:32]
	v_add_co_u32 v28, vcc_lo, s6, v28
	s_wait_alu 0xfffd
	s_delay_alu instid0(VALU_DEP_2) | instskip(SKIP_3) | instid1(VALU_DEP_1)
	v_add_co_ci_u32_e64 v29, null, s7, v29, vcc_lo
	global_load_b32 v28, v[28:29], off
	s_wait_loadcnt 0x0
	v_subrev_nc_u32_e32 v29, s12, v28
	v_dual_mov_b32 v28, v30 :: v_dual_lshlrev_b32 v29, 3, v29
	s_delay_alu instid0(VALU_DEP_1) | instskip(NEXT) | instid1(VALU_DEP_2)
	v_lshlrev_b64_e32 v[32:33], 4, v[27:28]
	v_lshlrev_b64_e32 v[37:38], 4, v[29:30]
	v_mov_b32_e32 v29, v35
	s_delay_alu instid0(VALU_DEP_3) | instskip(SKIP_1) | instid1(VALU_DEP_4)
	v_add_co_u32 v28, vcc_lo, s8, v32
	s_wait_alu 0xfffd
	v_add_co_ci_u32_e64 v36, null, s9, v33, vcc_lo
	s_wait_alu 0xfffe
	v_add_co_u32 v32, vcc_lo, s4, v37
	s_wait_alu 0xfffd
	v_add_co_ci_u32_e64 v33, null, s5, v38, vcc_lo
.LBB143_8:                              ;   Parent Loop BB143_7 Depth=1
                                        ; =>  This Inner Loop Header: Depth=2
	v_add_co_u32 v57, vcc_lo, v28, s14
	s_wait_alu 0xfffd
	v_add_co_ci_u32_e64 v58, null, s15, v36, vcc_lo
	v_lshlrev_b64_e32 v[61:62], 4, v[29:30]
	s_clause 0x1
	global_load_b128 v[37:40], v[32:33], off
	global_load_b128 v[41:44], v[32:33], off offset:-16
	s_clause 0x3
	global_load_b128 v[45:48], v[57:58], off
	global_load_b128 v[49:52], v[57:58], off offset:16
	global_load_b128 v[53:56], v[57:58], off offset:32
	;; [unrolled: 1-line block ×3, first 2 shown]
	v_add_nc_u32_e32 v29, 8, v29
	s_add_nc_u64 s[14:15], s[14:15], 0x80
	s_wait_alu 0xfffe
	s_cmp_eq_u32 s14, 0x200
	v_add_co_u32 v73, vcc_lo, s8, v61
	s_wait_alu 0xfffd
	v_add_co_ci_u32_e64 v74, null, s9, v62, vcc_lo
	s_clause 0x3
	global_load_b128 v[61:64], v[73:74], off
	global_load_b128 v[65:68], v[73:74], off offset:16
	global_load_b128 v[69:72], v[73:74], off offset:32
	;; [unrolled: 1-line block ×3, first 2 shown]
	v_add_co_u32 v32, vcc_lo, v32, 32
	s_wait_alu 0xfffd
	v_add_co_ci_u32_e64 v33, null, 0, v33, vcc_lo
	s_wait_loadcnt 0x7
	v_fma_f64 v[16:17], v[45:46], v[41:42], v[16:17]
	v_fma_f64 v[10:11], v[47:48], v[41:42], v[10:11]
	s_wait_loadcnt 0x6
	v_fma_f64 v[22:23], v[49:50], v[41:42], v[22:23]
	v_fma_f64 v[24:25], v[51:52], v[41:42], v[24:25]
	;; [unrolled: 3-line block ×4, first 2 shown]
	v_fma_f64 v[16:17], -v[47:48], v[43:44], v[16:17]
	v_fma_f64 v[10:11], v[45:46], v[43:44], v[10:11]
	v_fma_f64 v[22:23], -v[51:52], v[43:44], v[22:23]
	v_fma_f64 v[24:25], v[49:50], v[43:44], v[24:25]
	;; [unrolled: 2-line block ×4, first 2 shown]
	s_wait_loadcnt 0x3
	v_fma_f64 v[16:17], v[61:62], v[37:38], v[16:17]
	v_fma_f64 v[10:11], v[63:64], v[37:38], v[10:11]
	s_wait_loadcnt 0x2
	v_fma_f64 v[22:23], v[65:66], v[37:38], v[22:23]
	v_fma_f64 v[24:25], v[67:68], v[37:38], v[24:25]
	;; [unrolled: 3-line block ×4, first 2 shown]
	v_fma_f64 v[16:17], -v[63:64], v[39:40], v[16:17]
	v_fma_f64 v[10:11], v[61:62], v[39:40], v[10:11]
	v_fma_f64 v[22:23], -v[67:68], v[39:40], v[22:23]
	v_fma_f64 v[24:25], v[65:66], v[39:40], v[24:25]
	;; [unrolled: 2-line block ×4, first 2 shown]
	s_cbranch_scc0 .LBB143_8
; %bb.9:                                ;   in Loop: Header=BB143_7 Depth=1
	v_add_nc_u32_e32 v31, 16, v31
	v_add_nc_u32_e32 v35, 0x200, v35
	;; [unrolled: 1-line block ×3, first 2 shown]
	s_delay_alu instid0(VALU_DEP_3)
	v_cmp_ge_i32_e32 vcc_lo, v31, v34
	s_or_b32 s13, vcc_lo, s13
	s_wait_alu 0xfffe
	s_and_not1_b32 exec_lo, exec_lo, s13
	s_cbranch_execnz .LBB143_7
; %bb.10:
	s_or_b32 exec_lo, exec_lo, s13
.LBB143_11:
	s_wait_alu 0xfffe
	s_or_b32 exec_lo, exec_lo, s3
	s_cbranch_execz .LBB143_13
	s_branch .LBB143_20
.LBB143_12:
                                        ; implicit-def: $vgpr10_vgpr11
                                        ; implicit-def: $vgpr16_vgpr17
                                        ; implicit-def: $vgpr12_vgpr13
                                        ; implicit-def: $vgpr14_vgpr15
                                        ; implicit-def: $vgpr18_vgpr19
                                        ; implicit-def: $vgpr20_vgpr21
                                        ; implicit-def: $vgpr22_vgpr23
                                        ; implicit-def: $vgpr24_vgpr25
.LBB143_13:
	v_mov_b32_e32 v10, 0
	v_mov_b32_e32 v12, 0
	;; [unrolled: 1-line block ×3, first 2 shown]
	v_dual_mov_b32 v22, 0 :: v_dual_mov_b32 v11, 0
	v_dual_mov_b32 v16, 0 :: v_dual_mov_b32 v13, 0
	;; [unrolled: 1-line block ×5, first 2 shown]
	v_mov_b32_e32 v15, 0
	v_mov_b32_e32 v21, 0
	;; [unrolled: 1-line block ×3, first 2 shown]
	s_and_saveexec_b32 s4, s2
	s_cbranch_execz .LBB143_19
; %bb.14:
	v_mov_b32_e32 v10, 0
	v_mov_b32_e32 v16, 0
	;; [unrolled: 1-line block ×7, first 2 shown]
	v_dual_mov_b32 v24, 0 :: v_dual_mov_b32 v29, 0
	v_dual_mov_b32 v11, 0 :: v_dual_lshlrev_b32 v28, 5, v26
	v_mov_b32_e32 v17, 0
	v_mov_b32_e32 v13, 0
	;; [unrolled: 1-line block ×7, first 2 shown]
	s_mov_b32 s5, 0
.LBB143_15:                             ; =>This Loop Header: Depth=1
                                        ;     Child Loop BB143_16 Depth 2
	v_ashrrev_i32_e32 v27, 31, v26
	v_lshlrev_b64_e32 v[32:33], 4, v[28:29]
	s_mov_b64 s[2:3], 0
	s_delay_alu instid0(VALU_DEP_2) | instskip(NEXT) | instid1(VALU_DEP_1)
	v_lshlrev_b64_e32 v[30:31], 2, v[26:27]
	v_add_co_u32 v30, vcc_lo, s6, v30
	s_wait_alu 0xfffd
	s_delay_alu instid0(VALU_DEP_2) | instskip(SKIP_3) | instid1(VALU_DEP_1)
	v_add_co_ci_u32_e64 v31, null, s7, v31, vcc_lo
	global_load_b32 v27, v[30:31], off
	s_wait_loadcnt 0x0
	v_subrev_nc_u32_e32 v27, s12, v27
	v_dual_mov_b32 v31, v29 :: v_dual_lshlrev_b32 v30, 3, v27
	v_add_co_u32 v27, vcc_lo, s8, v32
	s_delay_alu instid0(VALU_DEP_2) | instskip(SKIP_2) | instid1(VALU_DEP_2)
	v_lshlrev_b64_e32 v[35:36], 4, v[30:31]
	s_wait_alu 0xfffd
	v_add_co_ci_u32_e64 v30, null, s9, v33, vcc_lo
	v_add_co_u32 v31, vcc_lo, s10, v35
	s_wait_alu 0xfffd
	s_delay_alu instid0(VALU_DEP_3)
	v_add_co_ci_u32_e64 v32, null, s11, v36, vcc_lo
.LBB143_16:                             ;   Parent Loop BB143_15 Depth=1
                                        ; =>  This Inner Loop Header: Depth=2
	s_wait_alu 0xfffe
	v_add_co_u32 v71, vcc_lo, v27, s2
	s_wait_alu 0xfffd
	v_add_co_ci_u32_e64 v72, null, s3, v30, vcc_lo
	v_add_co_u32 v59, vcc_lo, v31, s2
	s_wait_alu 0xfffd
	v_add_co_ci_u32_e64 v60, null, s3, v32, vcc_lo
	global_load_b128 v[35:38], v[71:72], off
	global_load_b128 v[39:42], v[59:60], off
	s_clause 0x3
	global_load_b128 v[43:46], v[71:72], off offset:128
	global_load_b128 v[47:50], v[71:72], off offset:256
	;; [unrolled: 1-line block ×5, first 2 shown]
	s_clause 0x2
	global_load_b128 v[63:66], v[71:72], off offset:144
	global_load_b128 v[67:70], v[71:72], off offset:272
	;; [unrolled: 1-line block ×3, first 2 shown]
	s_add_nc_u64 s[2:3], s[2:3], 32
	s_wait_alu 0xfffe
	s_cmp_eq_u32 s2, 0x80
	s_wait_loadcnt 0x8
	v_fma_f64 v[16:17], v[35:36], v[39:40], v[16:17]
	v_fma_f64 v[10:11], v[37:38], v[39:40], v[10:11]
	s_wait_loadcnt 0x7
	v_fma_f64 v[22:23], v[43:44], v[39:40], v[22:23]
	v_fma_f64 v[24:25], v[45:46], v[39:40], v[24:25]
	;; [unrolled: 3-line block ×4, first 2 shown]
	v_fma_f64 v[16:17], -v[37:38], v[41:42], v[16:17]
	v_fma_f64 v[10:11], v[35:36], v[41:42], v[10:11]
	v_fma_f64 v[22:23], -v[45:46], v[41:42], v[22:23]
	v_fma_f64 v[24:25], v[43:44], v[41:42], v[24:25]
	;; [unrolled: 2-line block ×4, first 2 shown]
	s_wait_loadcnt 0x3
	v_fma_f64 v[16:17], v[55:56], v[59:60], v[16:17]
	v_fma_f64 v[10:11], v[57:58], v[59:60], v[10:11]
	s_wait_loadcnt 0x2
	v_fma_f64 v[22:23], v[63:64], v[59:60], v[22:23]
	v_fma_f64 v[24:25], v[65:66], v[59:60], v[24:25]
	;; [unrolled: 3-line block ×4, first 2 shown]
	v_fma_f64 v[16:17], -v[57:58], v[61:62], v[16:17]
	v_fma_f64 v[10:11], v[55:56], v[61:62], v[10:11]
	v_fma_f64 v[22:23], -v[65:66], v[61:62], v[22:23]
	v_fma_f64 v[24:25], v[63:64], v[61:62], v[24:25]
	;; [unrolled: 2-line block ×4, first 2 shown]
	s_cbranch_scc0 .LBB143_16
; %bb.17:                               ;   in Loop: Header=BB143_15 Depth=1
	v_add_nc_u32_e32 v26, 16, v26
	v_add_nc_u32_e32 v28, 0x200, v28
	s_delay_alu instid0(VALU_DEP_2)
	v_cmp_ge_i32_e32 vcc_lo, v26, v34
	s_or_b32 s5, vcc_lo, s5
	s_wait_alu 0xfffe
	s_and_not1_b32 exec_lo, exec_lo, s5
	s_cbranch_execnz .LBB143_15
; %bb.18:
	s_or_b32 exec_lo, exec_lo, s5
.LBB143_19:
	s_wait_alu 0xfffe
	s_or_b32 exec_lo, exec_lo, s4
.LBB143_20:
	v_mbcnt_lo_u32_b32 v44, -1, 0
	s_delay_alu instid0(VALU_DEP_1) | instskip(NEXT) | instid1(VALU_DEP_1)
	v_xor_b32_e32 v26, 8, v44
	v_cmp_gt_i32_e32 vcc_lo, 32, v26
	s_wait_alu 0xfffd
	v_cndmask_b32_e32 v26, v44, v26, vcc_lo
	s_delay_alu instid0(VALU_DEP_1)
	v_lshlrev_b32_e32 v41, 2, v26
	ds_bpermute_b32 v26, v41, v16
	ds_bpermute_b32 v27, v41, v17
	;; [unrolled: 1-line block ×16, first 2 shown]
	s_wait_dscnt 0xe
	v_add_f64_e32 v[16:17], v[16:17], v[26:27]
	v_xor_b32_e32 v26, 4, v44
	s_wait_dscnt 0xc
	v_add_f64_e32 v[10:11], v[10:11], v[28:29]
	s_wait_dscnt 0xa
	v_add_f64_e32 v[22:23], v[22:23], v[30:31]
	;; [unrolled: 2-line block ×3, first 2 shown]
	v_cmp_gt_i32_e32 vcc_lo, 32, v26
	s_wait_dscnt 0x6
	v_add_f64_e32 v[18:19], v[18:19], v[34:35]
	s_wait_dscnt 0x4
	v_add_f64_e32 v[20:21], v[20:21], v[36:37]
	;; [unrolled: 2-line block ×3, first 2 shown]
	s_wait_alu 0xfffd
	v_cndmask_b32_e32 v26, v44, v26, vcc_lo
	s_wait_dscnt 0x0
	v_add_f64_e32 v[14:15], v[14:15], v[40:41]
	s_delay_alu instid0(VALU_DEP_2)
	v_lshlrev_b32_e32 v41, 2, v26
	ds_bpermute_b32 v26, v41, v16
	ds_bpermute_b32 v27, v41, v17
	;; [unrolled: 1-line block ×16, first 2 shown]
	s_wait_dscnt 0xe
	v_add_f64_e32 v[16:17], v[16:17], v[26:27]
	s_wait_dscnt 0xc
	v_add_f64_e32 v[26:27], v[10:11], v[28:29]
	v_xor_b32_e32 v10, 2, v44
	s_wait_dscnt 0xa
	v_add_f64_e32 v[22:23], v[22:23], v[30:31]
	s_wait_dscnt 0x8
	v_add_f64_e32 v[28:29], v[24:25], v[32:33]
	;; [unrolled: 2-line block ×3, first 2 shown]
	v_cmp_gt_i32_e32 vcc_lo, 32, v10
	s_wait_dscnt 0x4
	v_add_f64_e32 v[20:21], v[20:21], v[36:37]
	s_wait_dscnt 0x2
	v_add_f64_e32 v[30:31], v[12:13], v[38:39]
	;; [unrolled: 2-line block ×3, first 2 shown]
	s_wait_alu 0xfffd
	v_cndmask_b32_e32 v10, v44, v10, vcc_lo
	s_delay_alu instid0(VALU_DEP_1)
	v_lshlrev_b32_e32 v24, 2, v10
	ds_bpermute_b32 v10, v24, v16
	ds_bpermute_b32 v11, v24, v17
	;; [unrolled: 1-line block ×16, first 2 shown]
	s_wait_dscnt 0xe
	v_add_f64_e32 v[10:11], v[16:17], v[10:11]
	s_wait_dscnt 0xc
	v_add_f64_e32 v[24:25], v[26:27], v[12:13]
	v_xor_b32_e32 v26, 1, v44
	s_wait_dscnt 0xa
	v_add_f64_e32 v[12:13], v[22:23], v[14:15]
	s_wait_dscnt 0x8
	v_add_f64_e32 v[22:23], v[28:29], v[34:35]
	;; [unrolled: 2-line block ×3, first 2 shown]
	v_cmp_gt_i32_e32 vcc_lo, 32, v26
	s_wait_dscnt 0x4
	v_add_f64_e32 v[20:21], v[20:21], v[38:39]
	s_wait_dscnt 0x2
	v_add_f64_e32 v[16:17], v[30:31], v[40:41]
	s_wait_dscnt 0x0
	v_add_f64_e32 v[18:19], v[32:33], v[42:43]
	s_wait_alu 0xfffd
	v_cndmask_b32_e32 v26, v44, v26, vcc_lo
	v_cmp_eq_u32_e32 vcc_lo, 15, v0
	s_delay_alu instid0(VALU_DEP_2)
	v_lshlrev_b32_e32 v29, 2, v26
	ds_bpermute_b32 v40, v29, v10
	ds_bpermute_b32 v41, v29, v11
	;; [unrolled: 1-line block ×16, first 2 shown]
	s_and_b32 exec_lo, exec_lo, vcc_lo
	s_cbranch_execz .LBB143_25
; %bb.21:
	v_cmp_eq_f64_e32 vcc_lo, 0, v[5:6]
	v_cmp_eq_f64_e64 s2, 0, v[7:8]
	s_wait_dscnt 0xe
	v_add_f64_e32 v[10:11], v[10:11], v[40:41]
	s_wait_dscnt 0xc
	v_add_f64_e32 v[24:25], v[24:25], v[38:39]
	;; [unrolled: 2-line block ×8, first 2 shown]
	s_load_b64 s[0:1], s[0:1], 0x48
	s_and_b32 s2, vcc_lo, s2
	s_wait_alu 0xfffe
	s_and_saveexec_b32 s3, s2
	s_wait_alu 0xfffe
	s_xor_b32 s2, exec_lo, s3
	s_cbranch_execz .LBB143_23
; %bb.22:
	v_mul_f64_e64 v[5:6], v[24:25], -v[3:4]
	v_mul_f64_e32 v[7:8], v[1:2], v[24:25]
	v_mul_f64_e64 v[24:25], v[22:23], -v[3:4]
	v_mul_f64_e32 v[22:23], v[1:2], v[22:23]
	;; [unrolled: 2-line block ×4, first 2 shown]
	v_fma_f64 v[5:6], v[1:2], v[10:11], v[5:6]
	v_fma_f64 v[7:8], v[3:4], v[10:11], v[7:8]
	;; [unrolled: 1-line block ×8, first 2 shown]
	v_lshlrev_b32_e32 v14, 2, v9
                                        ; implicit-def: $vgpr9
                                        ; implicit-def: $vgpr24_vgpr25
                                        ; implicit-def: $vgpr22_vgpr23
                                        ; implicit-def: $vgpr16_vgpr17
	s_delay_alu instid0(VALU_DEP_1) | instskip(NEXT) | instid1(VALU_DEP_1)
	v_ashrrev_i32_e32 v15, 31, v14
	v_lshlrev_b64_e32 v[14:15], 4, v[14:15]
	s_wait_kmcnt 0x0
	s_delay_alu instid0(VALU_DEP_1) | instskip(SKIP_1) | instid1(VALU_DEP_2)
	v_add_co_u32 v14, vcc_lo, s0, v14
	s_wait_alu 0xfffd
	v_add_co_ci_u32_e64 v15, null, s1, v15, vcc_lo
	s_clause 0x3
	global_store_b128 v[14:15], v[5:8], off
	global_store_b128 v[14:15], v[10:13], off offset:16
	global_store_b128 v[14:15], v[18:21], off offset:32
	;; [unrolled: 1-line block ×3, first 2 shown]
                                        ; implicit-def: $vgpr10_vgpr11
                                        ; implicit-def: $vgpr12_vgpr13
                                        ; implicit-def: $vgpr14_vgpr15
                                        ; implicit-def: $vgpr20_vgpr21
                                        ; implicit-def: $vgpr18_vgpr19
                                        ; implicit-def: $vgpr7_vgpr8
                                        ; implicit-def: $vgpr3_vgpr4
.LBB143_23:
	s_wait_alu 0xfffe
	s_and_not1_saveexec_b32 s2, s2
	s_cbranch_execz .LBB143_25
; %bb.24:
	v_lshlrev_b32_e32 v26, 2, v9
	v_mul_f64_e64 v[44:45], v[24:25], -v[3:4]
	v_mul_f64_e32 v[24:25], v[1:2], v[24:25]
	v_mul_f64_e64 v[46:47], v[22:23], -v[3:4]
	v_mul_f64_e32 v[22:23], v[1:2], v[22:23]
	v_ashrrev_i32_e32 v27, 31, v26
	v_mul_f64_e64 v[48:49], v[20:21], -v[3:4]
	v_mul_f64_e32 v[20:21], v[1:2], v[20:21]
	v_mul_f64_e64 v[50:51], v[18:19], -v[3:4]
	v_mul_f64_e32 v[18:19], v[1:2], v[18:19]
	v_lshlrev_b64_e32 v[26:27], 4, v[26:27]
	s_wait_kmcnt 0x0
	s_delay_alu instid0(VALU_DEP_1) | instskip(SKIP_1) | instid1(VALU_DEP_2)
	v_add_co_u32 v42, vcc_lo, s0, v26
	s_wait_alu 0xfffd
	v_add_co_ci_u32_e64 v43, null, s1, v27, vcc_lo
	s_clause 0x3
	global_load_b128 v[26:29], v[42:43], off
	global_load_b128 v[30:33], v[42:43], off offset:16
	global_load_b128 v[34:37], v[42:43], off offset:32
	;; [unrolled: 1-line block ×3, first 2 shown]
	v_fma_f64 v[44:45], v[1:2], v[10:11], v[44:45]
	v_fma_f64 v[9:10], v[3:4], v[10:11], v[24:25]
	;; [unrolled: 1-line block ×8, first 2 shown]
	s_wait_loadcnt 0x3
	v_fma_f64 v[15:16], v[5:6], v[26:27], v[44:45]
	v_fma_f64 v[9:10], v[7:8], v[26:27], v[9:10]
	s_wait_loadcnt 0x2
	v_fma_f64 v[17:18], v[5:6], v[30:31], v[24:25]
	v_fma_f64 v[11:12], v[7:8], v[30:31], v[11:12]
	;; [unrolled: 3-line block ×4, first 2 shown]
	v_fma_f64 v[0:1], -v[7:8], v[28:29], v[15:16]
	v_fma_f64 v[2:3], v[5:6], v[28:29], v[9:10]
	v_fma_f64 v[9:10], -v[7:8], v[32:33], v[17:18]
	v_fma_f64 v[11:12], v[5:6], v[32:33], v[11:12]
	;; [unrolled: 2-line block ×4, first 2 shown]
	s_clause 0x3
	global_store_b128 v[42:43], v[0:3], off
	global_store_b128 v[42:43], v[9:12], off offset:16
	global_store_b128 v[42:43], v[13:16], off offset:32
	;; [unrolled: 1-line block ×3, first 2 shown]
.LBB143_25:
	s_endpgm
	.section	.rodata,"a",@progbits
	.p2align	6, 0x0
	.amdhsa_kernel _ZN9rocsparseL19gebsrmvn_4xn_kernelILj128ELj8ELj16E21rocsparse_complex_numIdEEEvi20rocsparse_direction_NS_24const_host_device_scalarIT2_EEPKiS8_PKS5_SA_S6_PS5_21rocsparse_index_base_b
		.amdhsa_group_segment_fixed_size 0
		.amdhsa_private_segment_fixed_size 0
		.amdhsa_kernarg_size 88
		.amdhsa_user_sgpr_count 2
		.amdhsa_user_sgpr_dispatch_ptr 0
		.amdhsa_user_sgpr_queue_ptr 0
		.amdhsa_user_sgpr_kernarg_segment_ptr 1
		.amdhsa_user_sgpr_dispatch_id 0
		.amdhsa_user_sgpr_private_segment_size 0
		.amdhsa_wavefront_size32 1
		.amdhsa_uses_dynamic_stack 0
		.amdhsa_enable_private_segment 0
		.amdhsa_system_sgpr_workgroup_id_x 1
		.amdhsa_system_sgpr_workgroup_id_y 0
		.amdhsa_system_sgpr_workgroup_id_z 0
		.amdhsa_system_sgpr_workgroup_info 0
		.amdhsa_system_vgpr_workitem_id 0
		.amdhsa_next_free_vgpr 77
		.amdhsa_next_free_sgpr 16
		.amdhsa_reserve_vcc 1
		.amdhsa_float_round_mode_32 0
		.amdhsa_float_round_mode_16_64 0
		.amdhsa_float_denorm_mode_32 3
		.amdhsa_float_denorm_mode_16_64 3
		.amdhsa_fp16_overflow 0
		.amdhsa_workgroup_processor_mode 1
		.amdhsa_memory_ordered 1
		.amdhsa_forward_progress 1
		.amdhsa_inst_pref_size 28
		.amdhsa_round_robin_scheduling 0
		.amdhsa_exception_fp_ieee_invalid_op 0
		.amdhsa_exception_fp_denorm_src 0
		.amdhsa_exception_fp_ieee_div_zero 0
		.amdhsa_exception_fp_ieee_overflow 0
		.amdhsa_exception_fp_ieee_underflow 0
		.amdhsa_exception_fp_ieee_inexact 0
		.amdhsa_exception_int_div_zero 0
	.end_amdhsa_kernel
	.section	.text._ZN9rocsparseL19gebsrmvn_4xn_kernelILj128ELj8ELj16E21rocsparse_complex_numIdEEEvi20rocsparse_direction_NS_24const_host_device_scalarIT2_EEPKiS8_PKS5_SA_S6_PS5_21rocsparse_index_base_b,"axG",@progbits,_ZN9rocsparseL19gebsrmvn_4xn_kernelILj128ELj8ELj16E21rocsparse_complex_numIdEEEvi20rocsparse_direction_NS_24const_host_device_scalarIT2_EEPKiS8_PKS5_SA_S6_PS5_21rocsparse_index_base_b,comdat
.Lfunc_end143:
	.size	_ZN9rocsparseL19gebsrmvn_4xn_kernelILj128ELj8ELj16E21rocsparse_complex_numIdEEEvi20rocsparse_direction_NS_24const_host_device_scalarIT2_EEPKiS8_PKS5_SA_S6_PS5_21rocsparse_index_base_b, .Lfunc_end143-_ZN9rocsparseL19gebsrmvn_4xn_kernelILj128ELj8ELj16E21rocsparse_complex_numIdEEEvi20rocsparse_direction_NS_24const_host_device_scalarIT2_EEPKiS8_PKS5_SA_S6_PS5_21rocsparse_index_base_b
                                        ; -- End function
	.set _ZN9rocsparseL19gebsrmvn_4xn_kernelILj128ELj8ELj16E21rocsparse_complex_numIdEEEvi20rocsparse_direction_NS_24const_host_device_scalarIT2_EEPKiS8_PKS5_SA_S6_PS5_21rocsparse_index_base_b.num_vgpr, 77
	.set _ZN9rocsparseL19gebsrmvn_4xn_kernelILj128ELj8ELj16E21rocsparse_complex_numIdEEEvi20rocsparse_direction_NS_24const_host_device_scalarIT2_EEPKiS8_PKS5_SA_S6_PS5_21rocsparse_index_base_b.num_agpr, 0
	.set _ZN9rocsparseL19gebsrmvn_4xn_kernelILj128ELj8ELj16E21rocsparse_complex_numIdEEEvi20rocsparse_direction_NS_24const_host_device_scalarIT2_EEPKiS8_PKS5_SA_S6_PS5_21rocsparse_index_base_b.numbered_sgpr, 16
	.set _ZN9rocsparseL19gebsrmvn_4xn_kernelILj128ELj8ELj16E21rocsparse_complex_numIdEEEvi20rocsparse_direction_NS_24const_host_device_scalarIT2_EEPKiS8_PKS5_SA_S6_PS5_21rocsparse_index_base_b.num_named_barrier, 0
	.set _ZN9rocsparseL19gebsrmvn_4xn_kernelILj128ELj8ELj16E21rocsparse_complex_numIdEEEvi20rocsparse_direction_NS_24const_host_device_scalarIT2_EEPKiS8_PKS5_SA_S6_PS5_21rocsparse_index_base_b.private_seg_size, 0
	.set _ZN9rocsparseL19gebsrmvn_4xn_kernelILj128ELj8ELj16E21rocsparse_complex_numIdEEEvi20rocsparse_direction_NS_24const_host_device_scalarIT2_EEPKiS8_PKS5_SA_S6_PS5_21rocsparse_index_base_b.uses_vcc, 1
	.set _ZN9rocsparseL19gebsrmvn_4xn_kernelILj128ELj8ELj16E21rocsparse_complex_numIdEEEvi20rocsparse_direction_NS_24const_host_device_scalarIT2_EEPKiS8_PKS5_SA_S6_PS5_21rocsparse_index_base_b.uses_flat_scratch, 0
	.set _ZN9rocsparseL19gebsrmvn_4xn_kernelILj128ELj8ELj16E21rocsparse_complex_numIdEEEvi20rocsparse_direction_NS_24const_host_device_scalarIT2_EEPKiS8_PKS5_SA_S6_PS5_21rocsparse_index_base_b.has_dyn_sized_stack, 0
	.set _ZN9rocsparseL19gebsrmvn_4xn_kernelILj128ELj8ELj16E21rocsparse_complex_numIdEEEvi20rocsparse_direction_NS_24const_host_device_scalarIT2_EEPKiS8_PKS5_SA_S6_PS5_21rocsparse_index_base_b.has_recursion, 0
	.set _ZN9rocsparseL19gebsrmvn_4xn_kernelILj128ELj8ELj16E21rocsparse_complex_numIdEEEvi20rocsparse_direction_NS_24const_host_device_scalarIT2_EEPKiS8_PKS5_SA_S6_PS5_21rocsparse_index_base_b.has_indirect_call, 0
	.section	.AMDGPU.csdata,"",@progbits
; Kernel info:
; codeLenInByte = 3552
; TotalNumSgprs: 18
; NumVgprs: 77
; ScratchSize: 0
; MemoryBound: 0
; FloatMode: 240
; IeeeMode: 1
; LDSByteSize: 0 bytes/workgroup (compile time only)
; SGPRBlocks: 0
; VGPRBlocks: 9
; NumSGPRsForWavesPerEU: 18
; NumVGPRsForWavesPerEU: 77
; Occupancy: 16
; WaveLimiterHint : 1
; COMPUTE_PGM_RSRC2:SCRATCH_EN: 0
; COMPUTE_PGM_RSRC2:USER_SGPR: 2
; COMPUTE_PGM_RSRC2:TRAP_HANDLER: 0
; COMPUTE_PGM_RSRC2:TGID_X_EN: 1
; COMPUTE_PGM_RSRC2:TGID_Y_EN: 0
; COMPUTE_PGM_RSRC2:TGID_Z_EN: 0
; COMPUTE_PGM_RSRC2:TIDIG_COMP_CNT: 0
	.section	.text._ZN9rocsparseL19gebsrmvn_4xn_kernelILj128ELj8ELj32E21rocsparse_complex_numIdEEEvi20rocsparse_direction_NS_24const_host_device_scalarIT2_EEPKiS8_PKS5_SA_S6_PS5_21rocsparse_index_base_b,"axG",@progbits,_ZN9rocsparseL19gebsrmvn_4xn_kernelILj128ELj8ELj32E21rocsparse_complex_numIdEEEvi20rocsparse_direction_NS_24const_host_device_scalarIT2_EEPKiS8_PKS5_SA_S6_PS5_21rocsparse_index_base_b,comdat
	.globl	_ZN9rocsparseL19gebsrmvn_4xn_kernelILj128ELj8ELj32E21rocsparse_complex_numIdEEEvi20rocsparse_direction_NS_24const_host_device_scalarIT2_EEPKiS8_PKS5_SA_S6_PS5_21rocsparse_index_base_b ; -- Begin function _ZN9rocsparseL19gebsrmvn_4xn_kernelILj128ELj8ELj32E21rocsparse_complex_numIdEEEvi20rocsparse_direction_NS_24const_host_device_scalarIT2_EEPKiS8_PKS5_SA_S6_PS5_21rocsparse_index_base_b
	.p2align	8
	.type	_ZN9rocsparseL19gebsrmvn_4xn_kernelILj128ELj8ELj32E21rocsparse_complex_numIdEEEvi20rocsparse_direction_NS_24const_host_device_scalarIT2_EEPKiS8_PKS5_SA_S6_PS5_21rocsparse_index_base_b,@function
_ZN9rocsparseL19gebsrmvn_4xn_kernelILj128ELj8ELj32E21rocsparse_complex_numIdEEEvi20rocsparse_direction_NS_24const_host_device_scalarIT2_EEPKiS8_PKS5_SA_S6_PS5_21rocsparse_index_base_b: ; @_ZN9rocsparseL19gebsrmvn_4xn_kernelILj128ELj8ELj32E21rocsparse_complex_numIdEEEvi20rocsparse_direction_NS_24const_host_device_scalarIT2_EEPKiS8_PKS5_SA_S6_PS5_21rocsparse_index_base_b
; %bb.0:
	s_clause 0x1
	s_load_b64 s[12:13], s[0:1], 0x50
	s_load_b64 s[2:3], s[0:1], 0x8
	s_add_nc_u64 s[4:5], s[0:1], 8
	s_load_b64 s[6:7], s[0:1], 0x38
	s_wait_kmcnt 0x0
	s_bitcmp1_b32 s13, 0
	s_cselect_b32 s2, s4, s2
	s_cselect_b32 s3, s5, s3
	s_delay_alu instid0(SALU_CYCLE_1)
	v_dual_mov_b32 v1, s2 :: v_dual_mov_b32 v2, s3
	s_add_nc_u64 s[2:3], s[0:1], 56
	s_wait_alu 0xfffe
	s_cselect_b32 s2, s2, s6
	s_cselect_b32 s3, s3, s7
	flat_load_b128 v[1:4], v[1:2]
	s_wait_alu 0xfffe
	v_dual_mov_b32 v5, s2 :: v_dual_mov_b32 v6, s3
	flat_load_b128 v[5:8], v[5:6]
	s_wait_loadcnt_dscnt 0x101
	v_cmp_eq_f64_e32 vcc_lo, 0, v[1:2]
	v_cmp_eq_f64_e64 s2, 0, v[3:4]
	s_and_b32 s4, vcc_lo, s2
	s_mov_b32 s2, -1
	s_and_saveexec_b32 s3, s4
	s_cbranch_execz .LBB144_2
; %bb.1:
	s_wait_loadcnt_dscnt 0x0
	v_cmp_neq_f64_e32 vcc_lo, 1.0, v[5:6]
	v_cmp_neq_f64_e64 s2, 0, v[7:8]
	s_wait_alu 0xfffe
	s_or_b32 s2, vcc_lo, s2
	s_wait_alu 0xfffe
	s_or_not1_b32 s2, s2, exec_lo
.LBB144_2:
	s_wait_alu 0xfffe
	s_or_b32 exec_lo, exec_lo, s3
	s_and_saveexec_b32 s3, s2
	s_cbranch_execz .LBB144_25
; %bb.3:
	s_load_b64 s[2:3], s[0:1], 0x0
	v_lshrrev_b32_e32 v9, 5, v0
	s_delay_alu instid0(VALU_DEP_1) | instskip(SKIP_1) | instid1(VALU_DEP_1)
	v_lshl_or_b32 v9, ttmp9, 2, v9
	s_wait_kmcnt 0x0
	v_cmp_gt_i32_e32 vcc_lo, s2, v9
	s_and_b32 exec_lo, exec_lo, vcc_lo
	s_cbranch_execz .LBB144_25
; %bb.4:
	s_load_b256 s[4:11], s[0:1], 0x18
	v_ashrrev_i32_e32 v10, 31, v9
	v_and_b32_e32 v0, 31, v0
	s_cmp_lg_u32 s3, 0
	s_delay_alu instid0(VALU_DEP_2) | instskip(SKIP_1) | instid1(VALU_DEP_1)
	v_lshlrev_b64_e32 v[10:11], 2, v[9:10]
	s_wait_kmcnt 0x0
	v_add_co_u32 v10, vcc_lo, s4, v10
	s_delay_alu instid0(VALU_DEP_1) | instskip(SKIP_4) | instid1(VALU_DEP_2)
	v_add_co_ci_u32_e64 v11, null, s5, v11, vcc_lo
	global_load_b64 v[10:11], v[10:11], off
	s_wait_loadcnt 0x0
	v_subrev_nc_u32_e32 v10, s12, v10
	v_subrev_nc_u32_e32 v34, s12, v11
	v_add_nc_u32_e32 v26, v10, v0
	s_delay_alu instid0(VALU_DEP_1)
	v_cmp_lt_i32_e64 s2, v26, v34
	s_cbranch_scc0 .LBB144_12
; %bb.5:
	v_mov_b32_e32 v10, 0
	v_mov_b32_e32 v12, 0
	;; [unrolled: 1-line block ×3, first 2 shown]
	v_dual_mov_b32 v22, 0 :: v_dual_mov_b32 v11, 0
	v_dual_mov_b32 v16, 0 :: v_dual_mov_b32 v13, 0
	;; [unrolled: 1-line block ×5, first 2 shown]
	v_mov_b32_e32 v15, 0
	v_mov_b32_e32 v21, 0
	v_mov_b32_e32 v25, 0
	s_and_saveexec_b32 s3, s2
	s_cbranch_execz .LBB144_11
; %bb.6:
	v_dual_mov_b32 v10, 0 :: v_dual_lshlrev_b32 v27, 5, v26
	v_mov_b32_e32 v16, 0
	v_mov_b32_e32 v14, 0
	v_dual_mov_b32 v20, 0 :: v_dual_mov_b32 v17, 0
	v_dual_mov_b32 v12, 0 :: v_dual_mov_b32 v15, 0
	;; [unrolled: 1-line block ×3, first 2 shown]
	v_mov_b32_e32 v22, 0
	v_dual_mov_b32 v24, 0 :: v_dual_mov_b32 v31, v26
	v_dual_mov_b32 v11, 0 :: v_dual_mov_b32 v30, 0
	v_mov_b32_e32 v13, 0
	v_or_b32_e32 v35, 4, v27
	v_mov_b32_e32 v19, 0
	v_mov_b32_e32 v23, 0
	;; [unrolled: 1-line block ×3, first 2 shown]
	s_add_nc_u64 s[4:5], s[10:11], 16
	s_mov_b32 s13, 0
.LBB144_7:                              ; =>This Loop Header: Depth=1
                                        ;     Child Loop BB144_8 Depth 2
	v_ashrrev_i32_e32 v32, 31, v31
	s_mov_b64 s[14:15], 0
	s_delay_alu instid0(VALU_DEP_1) | instskip(NEXT) | instid1(VALU_DEP_1)
	v_lshlrev_b64_e32 v[28:29], 2, v[31:32]
	v_add_co_u32 v28, vcc_lo, s6, v28
	s_wait_alu 0xfffd
	s_delay_alu instid0(VALU_DEP_2) | instskip(SKIP_3) | instid1(VALU_DEP_1)
	v_add_co_ci_u32_e64 v29, null, s7, v29, vcc_lo
	global_load_b32 v28, v[28:29], off
	s_wait_loadcnt 0x0
	v_subrev_nc_u32_e32 v29, s12, v28
	v_dual_mov_b32 v28, v30 :: v_dual_lshlrev_b32 v29, 3, v29
	s_delay_alu instid0(VALU_DEP_1) | instskip(NEXT) | instid1(VALU_DEP_2)
	v_lshlrev_b64_e32 v[32:33], 4, v[27:28]
	v_lshlrev_b64_e32 v[37:38], 4, v[29:30]
	v_mov_b32_e32 v29, v35
	s_delay_alu instid0(VALU_DEP_3) | instskip(SKIP_1) | instid1(VALU_DEP_4)
	v_add_co_u32 v28, vcc_lo, s8, v32
	s_wait_alu 0xfffd
	v_add_co_ci_u32_e64 v36, null, s9, v33, vcc_lo
	s_wait_alu 0xfffe
	v_add_co_u32 v32, vcc_lo, s4, v37
	s_wait_alu 0xfffd
	v_add_co_ci_u32_e64 v33, null, s5, v38, vcc_lo
.LBB144_8:                              ;   Parent Loop BB144_7 Depth=1
                                        ; =>  This Inner Loop Header: Depth=2
	v_add_co_u32 v57, vcc_lo, v28, s14
	s_wait_alu 0xfffd
	v_add_co_ci_u32_e64 v58, null, s15, v36, vcc_lo
	v_lshlrev_b64_e32 v[61:62], 4, v[29:30]
	s_clause 0x1
	global_load_b128 v[37:40], v[32:33], off
	global_load_b128 v[41:44], v[32:33], off offset:-16
	s_clause 0x3
	global_load_b128 v[45:48], v[57:58], off
	global_load_b128 v[49:52], v[57:58], off offset:16
	global_load_b128 v[53:56], v[57:58], off offset:32
	;; [unrolled: 1-line block ×3, first 2 shown]
	v_add_nc_u32_e32 v29, 8, v29
	s_add_nc_u64 s[14:15], s[14:15], 0x80
	s_wait_alu 0xfffe
	s_cmp_eq_u32 s14, 0x200
	v_add_co_u32 v73, vcc_lo, s8, v61
	s_wait_alu 0xfffd
	v_add_co_ci_u32_e64 v74, null, s9, v62, vcc_lo
	s_clause 0x3
	global_load_b128 v[61:64], v[73:74], off
	global_load_b128 v[65:68], v[73:74], off offset:16
	global_load_b128 v[69:72], v[73:74], off offset:32
	;; [unrolled: 1-line block ×3, first 2 shown]
	v_add_co_u32 v32, vcc_lo, v32, 32
	s_wait_alu 0xfffd
	v_add_co_ci_u32_e64 v33, null, 0, v33, vcc_lo
	s_wait_loadcnt 0x7
	v_fma_f64 v[16:17], v[45:46], v[41:42], v[16:17]
	v_fma_f64 v[10:11], v[47:48], v[41:42], v[10:11]
	s_wait_loadcnt 0x6
	v_fma_f64 v[22:23], v[49:50], v[41:42], v[22:23]
	v_fma_f64 v[24:25], v[51:52], v[41:42], v[24:25]
	;; [unrolled: 3-line block ×4, first 2 shown]
	v_fma_f64 v[16:17], -v[47:48], v[43:44], v[16:17]
	v_fma_f64 v[10:11], v[45:46], v[43:44], v[10:11]
	v_fma_f64 v[22:23], -v[51:52], v[43:44], v[22:23]
	v_fma_f64 v[24:25], v[49:50], v[43:44], v[24:25]
	;; [unrolled: 2-line block ×4, first 2 shown]
	s_wait_loadcnt 0x3
	v_fma_f64 v[16:17], v[61:62], v[37:38], v[16:17]
	v_fma_f64 v[10:11], v[63:64], v[37:38], v[10:11]
	s_wait_loadcnt 0x2
	v_fma_f64 v[22:23], v[65:66], v[37:38], v[22:23]
	v_fma_f64 v[24:25], v[67:68], v[37:38], v[24:25]
	;; [unrolled: 3-line block ×4, first 2 shown]
	v_fma_f64 v[16:17], -v[63:64], v[39:40], v[16:17]
	v_fma_f64 v[10:11], v[61:62], v[39:40], v[10:11]
	v_fma_f64 v[22:23], -v[67:68], v[39:40], v[22:23]
	v_fma_f64 v[24:25], v[65:66], v[39:40], v[24:25]
	;; [unrolled: 2-line block ×4, first 2 shown]
	s_cbranch_scc0 .LBB144_8
; %bb.9:                                ;   in Loop: Header=BB144_7 Depth=1
	v_add_nc_u32_e32 v31, 32, v31
	v_add_nc_u32_e32 v35, 0x400, v35
	;; [unrolled: 1-line block ×3, first 2 shown]
	s_delay_alu instid0(VALU_DEP_3)
	v_cmp_ge_i32_e32 vcc_lo, v31, v34
	s_or_b32 s13, vcc_lo, s13
	s_wait_alu 0xfffe
	s_and_not1_b32 exec_lo, exec_lo, s13
	s_cbranch_execnz .LBB144_7
; %bb.10:
	s_or_b32 exec_lo, exec_lo, s13
.LBB144_11:
	s_wait_alu 0xfffe
	s_or_b32 exec_lo, exec_lo, s3
	s_cbranch_execz .LBB144_13
	s_branch .LBB144_20
.LBB144_12:
                                        ; implicit-def: $vgpr10_vgpr11
                                        ; implicit-def: $vgpr16_vgpr17
                                        ; implicit-def: $vgpr12_vgpr13
                                        ; implicit-def: $vgpr14_vgpr15
                                        ; implicit-def: $vgpr18_vgpr19
                                        ; implicit-def: $vgpr20_vgpr21
                                        ; implicit-def: $vgpr22_vgpr23
                                        ; implicit-def: $vgpr24_vgpr25
.LBB144_13:
	v_mov_b32_e32 v10, 0
	v_mov_b32_e32 v12, 0
	;; [unrolled: 1-line block ×3, first 2 shown]
	v_dual_mov_b32 v22, 0 :: v_dual_mov_b32 v11, 0
	v_dual_mov_b32 v16, 0 :: v_dual_mov_b32 v13, 0
	;; [unrolled: 1-line block ×5, first 2 shown]
	v_mov_b32_e32 v15, 0
	v_mov_b32_e32 v21, 0
	;; [unrolled: 1-line block ×3, first 2 shown]
	s_and_saveexec_b32 s4, s2
	s_cbranch_execz .LBB144_19
; %bb.14:
	v_mov_b32_e32 v10, 0
	v_mov_b32_e32 v16, 0
	;; [unrolled: 1-line block ×7, first 2 shown]
	v_dual_mov_b32 v24, 0 :: v_dual_mov_b32 v29, 0
	v_dual_mov_b32 v11, 0 :: v_dual_lshlrev_b32 v28, 5, v26
	v_mov_b32_e32 v17, 0
	v_mov_b32_e32 v13, 0
	v_mov_b32_e32 v15, 0
	v_mov_b32_e32 v19, 0
	v_mov_b32_e32 v21, 0
	v_mov_b32_e32 v23, 0
	v_mov_b32_e32 v25, 0
	s_mov_b32 s5, 0
.LBB144_15:                             ; =>This Loop Header: Depth=1
                                        ;     Child Loop BB144_16 Depth 2
	v_ashrrev_i32_e32 v27, 31, v26
	v_lshlrev_b64_e32 v[32:33], 4, v[28:29]
	s_mov_b64 s[2:3], 0
	s_delay_alu instid0(VALU_DEP_2) | instskip(NEXT) | instid1(VALU_DEP_1)
	v_lshlrev_b64_e32 v[30:31], 2, v[26:27]
	v_add_co_u32 v30, vcc_lo, s6, v30
	s_wait_alu 0xfffd
	s_delay_alu instid0(VALU_DEP_2) | instskip(SKIP_3) | instid1(VALU_DEP_1)
	v_add_co_ci_u32_e64 v31, null, s7, v31, vcc_lo
	global_load_b32 v27, v[30:31], off
	s_wait_loadcnt 0x0
	v_subrev_nc_u32_e32 v27, s12, v27
	v_dual_mov_b32 v31, v29 :: v_dual_lshlrev_b32 v30, 3, v27
	v_add_co_u32 v27, vcc_lo, s8, v32
	s_delay_alu instid0(VALU_DEP_2) | instskip(SKIP_2) | instid1(VALU_DEP_2)
	v_lshlrev_b64_e32 v[35:36], 4, v[30:31]
	s_wait_alu 0xfffd
	v_add_co_ci_u32_e64 v30, null, s9, v33, vcc_lo
	v_add_co_u32 v31, vcc_lo, s10, v35
	s_wait_alu 0xfffd
	s_delay_alu instid0(VALU_DEP_3)
	v_add_co_ci_u32_e64 v32, null, s11, v36, vcc_lo
.LBB144_16:                             ;   Parent Loop BB144_15 Depth=1
                                        ; =>  This Inner Loop Header: Depth=2
	s_wait_alu 0xfffe
	v_add_co_u32 v71, vcc_lo, v27, s2
	s_wait_alu 0xfffd
	v_add_co_ci_u32_e64 v72, null, s3, v30, vcc_lo
	v_add_co_u32 v59, vcc_lo, v31, s2
	s_wait_alu 0xfffd
	v_add_co_ci_u32_e64 v60, null, s3, v32, vcc_lo
	global_load_b128 v[35:38], v[71:72], off
	global_load_b128 v[39:42], v[59:60], off
	s_clause 0x3
	global_load_b128 v[43:46], v[71:72], off offset:128
	global_load_b128 v[47:50], v[71:72], off offset:256
	global_load_b128 v[51:54], v[71:72], off offset:384
	global_load_b128 v[55:58], v[71:72], off offset:16
	global_load_b128 v[59:62], v[59:60], off offset:16
	s_clause 0x2
	global_load_b128 v[63:66], v[71:72], off offset:144
	global_load_b128 v[67:70], v[71:72], off offset:272
	;; [unrolled: 1-line block ×3, first 2 shown]
	s_add_nc_u64 s[2:3], s[2:3], 32
	s_wait_alu 0xfffe
	s_cmp_eq_u32 s2, 0x80
	s_wait_loadcnt 0x8
	v_fma_f64 v[16:17], v[35:36], v[39:40], v[16:17]
	v_fma_f64 v[10:11], v[37:38], v[39:40], v[10:11]
	s_wait_loadcnt 0x7
	v_fma_f64 v[22:23], v[43:44], v[39:40], v[22:23]
	v_fma_f64 v[24:25], v[45:46], v[39:40], v[24:25]
	;; [unrolled: 3-line block ×4, first 2 shown]
	v_fma_f64 v[16:17], -v[37:38], v[41:42], v[16:17]
	v_fma_f64 v[10:11], v[35:36], v[41:42], v[10:11]
	v_fma_f64 v[22:23], -v[45:46], v[41:42], v[22:23]
	v_fma_f64 v[24:25], v[43:44], v[41:42], v[24:25]
	;; [unrolled: 2-line block ×4, first 2 shown]
	s_wait_loadcnt 0x3
	v_fma_f64 v[16:17], v[55:56], v[59:60], v[16:17]
	v_fma_f64 v[10:11], v[57:58], v[59:60], v[10:11]
	s_wait_loadcnt 0x2
	v_fma_f64 v[22:23], v[63:64], v[59:60], v[22:23]
	v_fma_f64 v[24:25], v[65:66], v[59:60], v[24:25]
	;; [unrolled: 3-line block ×4, first 2 shown]
	v_fma_f64 v[16:17], -v[57:58], v[61:62], v[16:17]
	v_fma_f64 v[10:11], v[55:56], v[61:62], v[10:11]
	v_fma_f64 v[22:23], -v[65:66], v[61:62], v[22:23]
	v_fma_f64 v[24:25], v[63:64], v[61:62], v[24:25]
	;; [unrolled: 2-line block ×4, first 2 shown]
	s_cbranch_scc0 .LBB144_16
; %bb.17:                               ;   in Loop: Header=BB144_15 Depth=1
	v_add_nc_u32_e32 v26, 32, v26
	v_add_nc_u32_e32 v28, 0x400, v28
	s_delay_alu instid0(VALU_DEP_2)
	v_cmp_ge_i32_e32 vcc_lo, v26, v34
	s_or_b32 s5, vcc_lo, s5
	s_wait_alu 0xfffe
	s_and_not1_b32 exec_lo, exec_lo, s5
	s_cbranch_execnz .LBB144_15
; %bb.18:
	s_or_b32 exec_lo, exec_lo, s5
.LBB144_19:
	s_wait_alu 0xfffe
	s_or_b32 exec_lo, exec_lo, s4
.LBB144_20:
	v_mbcnt_lo_u32_b32 v44, -1, 0
	s_delay_alu instid0(VALU_DEP_1) | instskip(NEXT) | instid1(VALU_DEP_1)
	v_xor_b32_e32 v26, 16, v44
	v_cmp_gt_i32_e32 vcc_lo, 32, v26
	s_wait_alu 0xfffd
	v_cndmask_b32_e32 v26, v44, v26, vcc_lo
	s_delay_alu instid0(VALU_DEP_1)
	v_lshlrev_b32_e32 v41, 2, v26
	ds_bpermute_b32 v26, v41, v16
	ds_bpermute_b32 v27, v41, v17
	;; [unrolled: 1-line block ×16, first 2 shown]
	s_wait_dscnt 0xe
	v_add_f64_e32 v[16:17], v[16:17], v[26:27]
	v_xor_b32_e32 v26, 8, v44
	s_wait_dscnt 0xc
	v_add_f64_e32 v[10:11], v[10:11], v[28:29]
	s_wait_dscnt 0xa
	v_add_f64_e32 v[22:23], v[22:23], v[30:31]
	;; [unrolled: 2-line block ×3, first 2 shown]
	v_cmp_gt_i32_e32 vcc_lo, 32, v26
	s_wait_dscnt 0x6
	v_add_f64_e32 v[18:19], v[18:19], v[34:35]
	s_wait_dscnt 0x4
	v_add_f64_e32 v[20:21], v[20:21], v[36:37]
	;; [unrolled: 2-line block ×3, first 2 shown]
	s_wait_alu 0xfffd
	v_cndmask_b32_e32 v26, v44, v26, vcc_lo
	s_wait_dscnt 0x0
	v_add_f64_e32 v[14:15], v[14:15], v[40:41]
	s_delay_alu instid0(VALU_DEP_2)
	v_lshlrev_b32_e32 v41, 2, v26
	ds_bpermute_b32 v26, v41, v16
	ds_bpermute_b32 v27, v41, v17
	;; [unrolled: 1-line block ×16, first 2 shown]
	s_wait_dscnt 0xe
	v_add_f64_e32 v[16:17], v[16:17], v[26:27]
	v_xor_b32_e32 v26, 4, v44
	s_wait_dscnt 0xc
	v_add_f64_e32 v[10:11], v[10:11], v[28:29]
	s_wait_dscnt 0xa
	v_add_f64_e32 v[22:23], v[22:23], v[30:31]
	;; [unrolled: 2-line block ×3, first 2 shown]
	v_cmp_gt_i32_e32 vcc_lo, 32, v26
	s_wait_dscnt 0x6
	v_add_f64_e32 v[18:19], v[18:19], v[34:35]
	s_wait_dscnt 0x4
	v_add_f64_e32 v[20:21], v[20:21], v[36:37]
	;; [unrolled: 2-line block ×3, first 2 shown]
	s_wait_alu 0xfffd
	v_cndmask_b32_e32 v26, v44, v26, vcc_lo
	s_wait_dscnt 0x0
	v_add_f64_e32 v[14:15], v[14:15], v[40:41]
	s_delay_alu instid0(VALU_DEP_2)
	v_lshlrev_b32_e32 v41, 2, v26
	ds_bpermute_b32 v26, v41, v16
	ds_bpermute_b32 v27, v41, v17
	;; [unrolled: 1-line block ×16, first 2 shown]
	s_wait_dscnt 0xe
	v_add_f64_e32 v[16:17], v[16:17], v[26:27]
	s_wait_dscnt 0xc
	v_add_f64_e32 v[26:27], v[10:11], v[28:29]
	v_xor_b32_e32 v10, 2, v44
	s_wait_dscnt 0xa
	v_add_f64_e32 v[22:23], v[22:23], v[30:31]
	s_wait_dscnt 0x8
	v_add_f64_e32 v[28:29], v[24:25], v[32:33]
	s_wait_dscnt 0x6
	v_add_f64_e32 v[18:19], v[18:19], v[34:35]
	v_cmp_gt_i32_e32 vcc_lo, 32, v10
	s_wait_dscnt 0x4
	v_add_f64_e32 v[20:21], v[20:21], v[36:37]
	s_wait_dscnt 0x2
	v_add_f64_e32 v[30:31], v[12:13], v[38:39]
	;; [unrolled: 2-line block ×3, first 2 shown]
	s_wait_alu 0xfffd
	v_cndmask_b32_e32 v10, v44, v10, vcc_lo
	s_delay_alu instid0(VALU_DEP_1)
	v_lshlrev_b32_e32 v24, 2, v10
	ds_bpermute_b32 v10, v24, v16
	ds_bpermute_b32 v11, v24, v17
	;; [unrolled: 1-line block ×16, first 2 shown]
	s_wait_dscnt 0xe
	v_add_f64_e32 v[10:11], v[16:17], v[10:11]
	s_wait_dscnt 0xc
	v_add_f64_e32 v[24:25], v[26:27], v[12:13]
	v_xor_b32_e32 v26, 1, v44
	s_wait_dscnt 0xa
	v_add_f64_e32 v[12:13], v[22:23], v[14:15]
	s_wait_dscnt 0x8
	v_add_f64_e32 v[22:23], v[28:29], v[34:35]
	;; [unrolled: 2-line block ×3, first 2 shown]
	v_cmp_gt_i32_e32 vcc_lo, 32, v26
	s_wait_dscnt 0x4
	v_add_f64_e32 v[20:21], v[20:21], v[38:39]
	s_wait_dscnt 0x2
	v_add_f64_e32 v[16:17], v[30:31], v[40:41]
	;; [unrolled: 2-line block ×3, first 2 shown]
	s_wait_alu 0xfffd
	v_cndmask_b32_e32 v26, v44, v26, vcc_lo
	v_cmp_eq_u32_e32 vcc_lo, 31, v0
	s_delay_alu instid0(VALU_DEP_2)
	v_lshlrev_b32_e32 v29, 2, v26
	ds_bpermute_b32 v40, v29, v10
	ds_bpermute_b32 v41, v29, v11
	;; [unrolled: 1-line block ×16, first 2 shown]
	s_and_b32 exec_lo, exec_lo, vcc_lo
	s_cbranch_execz .LBB144_25
; %bb.21:
	v_cmp_eq_f64_e32 vcc_lo, 0, v[5:6]
	v_cmp_eq_f64_e64 s2, 0, v[7:8]
	s_wait_dscnt 0xe
	v_add_f64_e32 v[10:11], v[10:11], v[40:41]
	s_wait_dscnt 0xc
	v_add_f64_e32 v[24:25], v[24:25], v[38:39]
	;; [unrolled: 2-line block ×8, first 2 shown]
	s_load_b64 s[0:1], s[0:1], 0x48
	s_and_b32 s2, vcc_lo, s2
	s_wait_alu 0xfffe
	s_and_saveexec_b32 s3, s2
	s_wait_alu 0xfffe
	s_xor_b32 s2, exec_lo, s3
	s_cbranch_execz .LBB144_23
; %bb.22:
	v_mul_f64_e64 v[5:6], v[24:25], -v[3:4]
	v_mul_f64_e32 v[7:8], v[1:2], v[24:25]
	v_mul_f64_e64 v[24:25], v[22:23], -v[3:4]
	v_mul_f64_e32 v[22:23], v[1:2], v[22:23]
	;; [unrolled: 2-line block ×4, first 2 shown]
	v_fma_f64 v[5:6], v[1:2], v[10:11], v[5:6]
	v_fma_f64 v[7:8], v[3:4], v[10:11], v[7:8]
	;; [unrolled: 1-line block ×8, first 2 shown]
	v_lshlrev_b32_e32 v14, 2, v9
                                        ; implicit-def: $vgpr9
                                        ; implicit-def: $vgpr24_vgpr25
                                        ; implicit-def: $vgpr22_vgpr23
                                        ; implicit-def: $vgpr16_vgpr17
	s_delay_alu instid0(VALU_DEP_1) | instskip(NEXT) | instid1(VALU_DEP_1)
	v_ashrrev_i32_e32 v15, 31, v14
	v_lshlrev_b64_e32 v[14:15], 4, v[14:15]
	s_wait_kmcnt 0x0
	s_delay_alu instid0(VALU_DEP_1) | instskip(SKIP_1) | instid1(VALU_DEP_2)
	v_add_co_u32 v14, vcc_lo, s0, v14
	s_wait_alu 0xfffd
	v_add_co_ci_u32_e64 v15, null, s1, v15, vcc_lo
	s_clause 0x3
	global_store_b128 v[14:15], v[5:8], off
	global_store_b128 v[14:15], v[10:13], off offset:16
	global_store_b128 v[14:15], v[18:21], off offset:32
	;; [unrolled: 1-line block ×3, first 2 shown]
                                        ; implicit-def: $vgpr10_vgpr11
                                        ; implicit-def: $vgpr12_vgpr13
                                        ; implicit-def: $vgpr14_vgpr15
                                        ; implicit-def: $vgpr20_vgpr21
                                        ; implicit-def: $vgpr18_vgpr19
                                        ; implicit-def: $vgpr7_vgpr8
                                        ; implicit-def: $vgpr3_vgpr4
.LBB144_23:
	s_wait_alu 0xfffe
	s_and_not1_saveexec_b32 s2, s2
	s_cbranch_execz .LBB144_25
; %bb.24:
	v_lshlrev_b32_e32 v26, 2, v9
	v_mul_f64_e64 v[44:45], v[24:25], -v[3:4]
	v_mul_f64_e32 v[24:25], v[1:2], v[24:25]
	v_mul_f64_e64 v[46:47], v[22:23], -v[3:4]
	v_mul_f64_e32 v[22:23], v[1:2], v[22:23]
	v_ashrrev_i32_e32 v27, 31, v26
	v_mul_f64_e64 v[48:49], v[20:21], -v[3:4]
	v_mul_f64_e32 v[20:21], v[1:2], v[20:21]
	v_mul_f64_e64 v[50:51], v[18:19], -v[3:4]
	v_mul_f64_e32 v[18:19], v[1:2], v[18:19]
	v_lshlrev_b64_e32 v[26:27], 4, v[26:27]
	s_wait_kmcnt 0x0
	s_delay_alu instid0(VALU_DEP_1) | instskip(SKIP_1) | instid1(VALU_DEP_2)
	v_add_co_u32 v42, vcc_lo, s0, v26
	s_wait_alu 0xfffd
	v_add_co_ci_u32_e64 v43, null, s1, v27, vcc_lo
	s_clause 0x3
	global_load_b128 v[26:29], v[42:43], off
	global_load_b128 v[30:33], v[42:43], off offset:16
	global_load_b128 v[34:37], v[42:43], off offset:32
	;; [unrolled: 1-line block ×3, first 2 shown]
	v_fma_f64 v[44:45], v[1:2], v[10:11], v[44:45]
	v_fma_f64 v[9:10], v[3:4], v[10:11], v[24:25]
	;; [unrolled: 1-line block ×8, first 2 shown]
	s_wait_loadcnt 0x3
	v_fma_f64 v[15:16], v[5:6], v[26:27], v[44:45]
	v_fma_f64 v[9:10], v[7:8], v[26:27], v[9:10]
	s_wait_loadcnt 0x2
	v_fma_f64 v[17:18], v[5:6], v[30:31], v[24:25]
	v_fma_f64 v[11:12], v[7:8], v[30:31], v[11:12]
	;; [unrolled: 3-line block ×4, first 2 shown]
	v_fma_f64 v[0:1], -v[7:8], v[28:29], v[15:16]
	v_fma_f64 v[2:3], v[5:6], v[28:29], v[9:10]
	v_fma_f64 v[9:10], -v[7:8], v[32:33], v[17:18]
	v_fma_f64 v[11:12], v[5:6], v[32:33], v[11:12]
	;; [unrolled: 2-line block ×4, first 2 shown]
	s_clause 0x3
	global_store_b128 v[42:43], v[0:3], off
	global_store_b128 v[42:43], v[9:12], off offset:16
	global_store_b128 v[42:43], v[13:16], off offset:32
	;; [unrolled: 1-line block ×3, first 2 shown]
.LBB144_25:
	s_endpgm
	.section	.rodata,"a",@progbits
	.p2align	6, 0x0
	.amdhsa_kernel _ZN9rocsparseL19gebsrmvn_4xn_kernelILj128ELj8ELj32E21rocsparse_complex_numIdEEEvi20rocsparse_direction_NS_24const_host_device_scalarIT2_EEPKiS8_PKS5_SA_S6_PS5_21rocsparse_index_base_b
		.amdhsa_group_segment_fixed_size 0
		.amdhsa_private_segment_fixed_size 0
		.amdhsa_kernarg_size 88
		.amdhsa_user_sgpr_count 2
		.amdhsa_user_sgpr_dispatch_ptr 0
		.amdhsa_user_sgpr_queue_ptr 0
		.amdhsa_user_sgpr_kernarg_segment_ptr 1
		.amdhsa_user_sgpr_dispatch_id 0
		.amdhsa_user_sgpr_private_segment_size 0
		.amdhsa_wavefront_size32 1
		.amdhsa_uses_dynamic_stack 0
		.amdhsa_enable_private_segment 0
		.amdhsa_system_sgpr_workgroup_id_x 1
		.amdhsa_system_sgpr_workgroup_id_y 0
		.amdhsa_system_sgpr_workgroup_id_z 0
		.amdhsa_system_sgpr_workgroup_info 0
		.amdhsa_system_vgpr_workitem_id 0
		.amdhsa_next_free_vgpr 77
		.amdhsa_next_free_sgpr 16
		.amdhsa_reserve_vcc 1
		.amdhsa_float_round_mode_32 0
		.amdhsa_float_round_mode_16_64 0
		.amdhsa_float_denorm_mode_32 3
		.amdhsa_float_denorm_mode_16_64 3
		.amdhsa_fp16_overflow 0
		.amdhsa_workgroup_processor_mode 1
		.amdhsa_memory_ordered 1
		.amdhsa_forward_progress 1
		.amdhsa_inst_pref_size 30
		.amdhsa_round_robin_scheduling 0
		.amdhsa_exception_fp_ieee_invalid_op 0
		.amdhsa_exception_fp_denorm_src 0
		.amdhsa_exception_fp_ieee_div_zero 0
		.amdhsa_exception_fp_ieee_overflow 0
		.amdhsa_exception_fp_ieee_underflow 0
		.amdhsa_exception_fp_ieee_inexact 0
		.amdhsa_exception_int_div_zero 0
	.end_amdhsa_kernel
	.section	.text._ZN9rocsparseL19gebsrmvn_4xn_kernelILj128ELj8ELj32E21rocsparse_complex_numIdEEEvi20rocsparse_direction_NS_24const_host_device_scalarIT2_EEPKiS8_PKS5_SA_S6_PS5_21rocsparse_index_base_b,"axG",@progbits,_ZN9rocsparseL19gebsrmvn_4xn_kernelILj128ELj8ELj32E21rocsparse_complex_numIdEEEvi20rocsparse_direction_NS_24const_host_device_scalarIT2_EEPKiS8_PKS5_SA_S6_PS5_21rocsparse_index_base_b,comdat
.Lfunc_end144:
	.size	_ZN9rocsparseL19gebsrmvn_4xn_kernelILj128ELj8ELj32E21rocsparse_complex_numIdEEEvi20rocsparse_direction_NS_24const_host_device_scalarIT2_EEPKiS8_PKS5_SA_S6_PS5_21rocsparse_index_base_b, .Lfunc_end144-_ZN9rocsparseL19gebsrmvn_4xn_kernelILj128ELj8ELj32E21rocsparse_complex_numIdEEEvi20rocsparse_direction_NS_24const_host_device_scalarIT2_EEPKiS8_PKS5_SA_S6_PS5_21rocsparse_index_base_b
                                        ; -- End function
	.set _ZN9rocsparseL19gebsrmvn_4xn_kernelILj128ELj8ELj32E21rocsparse_complex_numIdEEEvi20rocsparse_direction_NS_24const_host_device_scalarIT2_EEPKiS8_PKS5_SA_S6_PS5_21rocsparse_index_base_b.num_vgpr, 77
	.set _ZN9rocsparseL19gebsrmvn_4xn_kernelILj128ELj8ELj32E21rocsparse_complex_numIdEEEvi20rocsparse_direction_NS_24const_host_device_scalarIT2_EEPKiS8_PKS5_SA_S6_PS5_21rocsparse_index_base_b.num_agpr, 0
	.set _ZN9rocsparseL19gebsrmvn_4xn_kernelILj128ELj8ELj32E21rocsparse_complex_numIdEEEvi20rocsparse_direction_NS_24const_host_device_scalarIT2_EEPKiS8_PKS5_SA_S6_PS5_21rocsparse_index_base_b.numbered_sgpr, 16
	.set _ZN9rocsparseL19gebsrmvn_4xn_kernelILj128ELj8ELj32E21rocsparse_complex_numIdEEEvi20rocsparse_direction_NS_24const_host_device_scalarIT2_EEPKiS8_PKS5_SA_S6_PS5_21rocsparse_index_base_b.num_named_barrier, 0
	.set _ZN9rocsparseL19gebsrmvn_4xn_kernelILj128ELj8ELj32E21rocsparse_complex_numIdEEEvi20rocsparse_direction_NS_24const_host_device_scalarIT2_EEPKiS8_PKS5_SA_S6_PS5_21rocsparse_index_base_b.private_seg_size, 0
	.set _ZN9rocsparseL19gebsrmvn_4xn_kernelILj128ELj8ELj32E21rocsparse_complex_numIdEEEvi20rocsparse_direction_NS_24const_host_device_scalarIT2_EEPKiS8_PKS5_SA_S6_PS5_21rocsparse_index_base_b.uses_vcc, 1
	.set _ZN9rocsparseL19gebsrmvn_4xn_kernelILj128ELj8ELj32E21rocsparse_complex_numIdEEEvi20rocsparse_direction_NS_24const_host_device_scalarIT2_EEPKiS8_PKS5_SA_S6_PS5_21rocsparse_index_base_b.uses_flat_scratch, 0
	.set _ZN9rocsparseL19gebsrmvn_4xn_kernelILj128ELj8ELj32E21rocsparse_complex_numIdEEEvi20rocsparse_direction_NS_24const_host_device_scalarIT2_EEPKiS8_PKS5_SA_S6_PS5_21rocsparse_index_base_b.has_dyn_sized_stack, 0
	.set _ZN9rocsparseL19gebsrmvn_4xn_kernelILj128ELj8ELj32E21rocsparse_complex_numIdEEEvi20rocsparse_direction_NS_24const_host_device_scalarIT2_EEPKiS8_PKS5_SA_S6_PS5_21rocsparse_index_base_b.has_recursion, 0
	.set _ZN9rocsparseL19gebsrmvn_4xn_kernelILj128ELj8ELj32E21rocsparse_complex_numIdEEEvi20rocsparse_direction_NS_24const_host_device_scalarIT2_EEPKiS8_PKS5_SA_S6_PS5_21rocsparse_index_base_b.has_indirect_call, 0
	.section	.AMDGPU.csdata,"",@progbits
; Kernel info:
; codeLenInByte = 3768
; TotalNumSgprs: 18
; NumVgprs: 77
; ScratchSize: 0
; MemoryBound: 0
; FloatMode: 240
; IeeeMode: 1
; LDSByteSize: 0 bytes/workgroup (compile time only)
; SGPRBlocks: 0
; VGPRBlocks: 9
; NumSGPRsForWavesPerEU: 18
; NumVGPRsForWavesPerEU: 77
; Occupancy: 16
; WaveLimiterHint : 1
; COMPUTE_PGM_RSRC2:SCRATCH_EN: 0
; COMPUTE_PGM_RSRC2:USER_SGPR: 2
; COMPUTE_PGM_RSRC2:TRAP_HANDLER: 0
; COMPUTE_PGM_RSRC2:TGID_X_EN: 1
; COMPUTE_PGM_RSRC2:TGID_Y_EN: 0
; COMPUTE_PGM_RSRC2:TGID_Z_EN: 0
; COMPUTE_PGM_RSRC2:TIDIG_COMP_CNT: 0
	.section	.text._ZN9rocsparseL19gebsrmvn_4xn_kernelILj128ELj8ELj64E21rocsparse_complex_numIdEEEvi20rocsparse_direction_NS_24const_host_device_scalarIT2_EEPKiS8_PKS5_SA_S6_PS5_21rocsparse_index_base_b,"axG",@progbits,_ZN9rocsparseL19gebsrmvn_4xn_kernelILj128ELj8ELj64E21rocsparse_complex_numIdEEEvi20rocsparse_direction_NS_24const_host_device_scalarIT2_EEPKiS8_PKS5_SA_S6_PS5_21rocsparse_index_base_b,comdat
	.globl	_ZN9rocsparseL19gebsrmvn_4xn_kernelILj128ELj8ELj64E21rocsparse_complex_numIdEEEvi20rocsparse_direction_NS_24const_host_device_scalarIT2_EEPKiS8_PKS5_SA_S6_PS5_21rocsparse_index_base_b ; -- Begin function _ZN9rocsparseL19gebsrmvn_4xn_kernelILj128ELj8ELj64E21rocsparse_complex_numIdEEEvi20rocsparse_direction_NS_24const_host_device_scalarIT2_EEPKiS8_PKS5_SA_S6_PS5_21rocsparse_index_base_b
	.p2align	8
	.type	_ZN9rocsparseL19gebsrmvn_4xn_kernelILj128ELj8ELj64E21rocsparse_complex_numIdEEEvi20rocsparse_direction_NS_24const_host_device_scalarIT2_EEPKiS8_PKS5_SA_S6_PS5_21rocsparse_index_base_b,@function
_ZN9rocsparseL19gebsrmvn_4xn_kernelILj128ELj8ELj64E21rocsparse_complex_numIdEEEvi20rocsparse_direction_NS_24const_host_device_scalarIT2_EEPKiS8_PKS5_SA_S6_PS5_21rocsparse_index_base_b: ; @_ZN9rocsparseL19gebsrmvn_4xn_kernelILj128ELj8ELj64E21rocsparse_complex_numIdEEEvi20rocsparse_direction_NS_24const_host_device_scalarIT2_EEPKiS8_PKS5_SA_S6_PS5_21rocsparse_index_base_b
; %bb.0:
	s_clause 0x1
	s_load_b64 s[12:13], s[0:1], 0x50
	s_load_b64 s[2:3], s[0:1], 0x8
	s_add_nc_u64 s[4:5], s[0:1], 8
	s_load_b64 s[6:7], s[0:1], 0x38
	s_wait_kmcnt 0x0
	s_bitcmp1_b32 s13, 0
	s_cselect_b32 s2, s4, s2
	s_cselect_b32 s3, s5, s3
	s_delay_alu instid0(SALU_CYCLE_1)
	v_dual_mov_b32 v1, s2 :: v_dual_mov_b32 v2, s3
	s_add_nc_u64 s[2:3], s[0:1], 56
	s_wait_alu 0xfffe
	s_cselect_b32 s2, s2, s6
	s_cselect_b32 s3, s3, s7
	flat_load_b128 v[1:4], v[1:2]
	s_wait_alu 0xfffe
	v_dual_mov_b32 v5, s2 :: v_dual_mov_b32 v6, s3
	flat_load_b128 v[5:8], v[5:6]
	s_wait_loadcnt_dscnt 0x101
	v_cmp_eq_f64_e32 vcc_lo, 0, v[1:2]
	v_cmp_eq_f64_e64 s2, 0, v[3:4]
	s_and_b32 s4, vcc_lo, s2
	s_mov_b32 s2, -1
	s_and_saveexec_b32 s3, s4
	s_cbranch_execz .LBB145_2
; %bb.1:
	s_wait_loadcnt_dscnt 0x0
	v_cmp_neq_f64_e32 vcc_lo, 1.0, v[5:6]
	v_cmp_neq_f64_e64 s2, 0, v[7:8]
	s_wait_alu 0xfffe
	s_or_b32 s2, vcc_lo, s2
	s_wait_alu 0xfffe
	s_or_not1_b32 s2, s2, exec_lo
.LBB145_2:
	s_wait_alu 0xfffe
	s_or_b32 exec_lo, exec_lo, s3
	s_and_saveexec_b32 s3, s2
	s_cbranch_execz .LBB145_25
; %bb.3:
	s_load_b64 s[2:3], s[0:1], 0x0
	v_lshrrev_b32_e32 v9, 6, v0
	s_delay_alu instid0(VALU_DEP_1) | instskip(SKIP_1) | instid1(VALU_DEP_1)
	v_lshl_or_b32 v9, ttmp9, 1, v9
	s_wait_kmcnt 0x0
	v_cmp_gt_i32_e32 vcc_lo, s2, v9
	s_and_b32 exec_lo, exec_lo, vcc_lo
	s_cbranch_execz .LBB145_25
; %bb.4:
	s_load_b256 s[4:11], s[0:1], 0x18
	v_ashrrev_i32_e32 v10, 31, v9
	v_and_b32_e32 v0, 63, v0
	s_cmp_lg_u32 s3, 0
	s_delay_alu instid0(VALU_DEP_2) | instskip(SKIP_1) | instid1(VALU_DEP_1)
	v_lshlrev_b64_e32 v[10:11], 2, v[9:10]
	s_wait_kmcnt 0x0
	v_add_co_u32 v10, vcc_lo, s4, v10
	s_delay_alu instid0(VALU_DEP_1) | instskip(SKIP_4) | instid1(VALU_DEP_2)
	v_add_co_ci_u32_e64 v11, null, s5, v11, vcc_lo
	global_load_b64 v[10:11], v[10:11], off
	s_wait_loadcnt 0x0
	v_subrev_nc_u32_e32 v10, s12, v10
	v_subrev_nc_u32_e32 v34, s12, v11
	v_add_nc_u32_e32 v26, v10, v0
	s_delay_alu instid0(VALU_DEP_1)
	v_cmp_lt_i32_e64 s2, v26, v34
	s_cbranch_scc0 .LBB145_12
; %bb.5:
	v_mov_b32_e32 v10, 0
	v_mov_b32_e32 v12, 0
	;; [unrolled: 1-line block ×3, first 2 shown]
	v_dual_mov_b32 v22, 0 :: v_dual_mov_b32 v11, 0
	v_dual_mov_b32 v16, 0 :: v_dual_mov_b32 v13, 0
	;; [unrolled: 1-line block ×5, first 2 shown]
	v_mov_b32_e32 v15, 0
	v_mov_b32_e32 v21, 0
	;; [unrolled: 1-line block ×3, first 2 shown]
	s_and_saveexec_b32 s3, s2
	s_cbranch_execz .LBB145_11
; %bb.6:
	v_dual_mov_b32 v10, 0 :: v_dual_lshlrev_b32 v27, 5, v26
	v_mov_b32_e32 v16, 0
	v_mov_b32_e32 v14, 0
	v_dual_mov_b32 v20, 0 :: v_dual_mov_b32 v17, 0
	v_dual_mov_b32 v12, 0 :: v_dual_mov_b32 v15, 0
	;; [unrolled: 1-line block ×3, first 2 shown]
	v_mov_b32_e32 v22, 0
	v_dual_mov_b32 v24, 0 :: v_dual_mov_b32 v31, v26
	v_dual_mov_b32 v11, 0 :: v_dual_mov_b32 v30, 0
	v_mov_b32_e32 v13, 0
	v_or_b32_e32 v35, 4, v27
	v_mov_b32_e32 v19, 0
	v_mov_b32_e32 v23, 0
	;; [unrolled: 1-line block ×3, first 2 shown]
	s_add_nc_u64 s[4:5], s[10:11], 16
	s_mov_b32 s13, 0
.LBB145_7:                              ; =>This Loop Header: Depth=1
                                        ;     Child Loop BB145_8 Depth 2
	v_ashrrev_i32_e32 v32, 31, v31
	s_mov_b64 s[14:15], 0
	s_delay_alu instid0(VALU_DEP_1) | instskip(NEXT) | instid1(VALU_DEP_1)
	v_lshlrev_b64_e32 v[28:29], 2, v[31:32]
	v_add_co_u32 v28, vcc_lo, s6, v28
	s_wait_alu 0xfffd
	s_delay_alu instid0(VALU_DEP_2) | instskip(SKIP_3) | instid1(VALU_DEP_1)
	v_add_co_ci_u32_e64 v29, null, s7, v29, vcc_lo
	global_load_b32 v28, v[28:29], off
	s_wait_loadcnt 0x0
	v_subrev_nc_u32_e32 v29, s12, v28
	v_dual_mov_b32 v28, v30 :: v_dual_lshlrev_b32 v29, 3, v29
	s_delay_alu instid0(VALU_DEP_1) | instskip(NEXT) | instid1(VALU_DEP_2)
	v_lshlrev_b64_e32 v[32:33], 4, v[27:28]
	v_lshlrev_b64_e32 v[37:38], 4, v[29:30]
	v_mov_b32_e32 v29, v35
	s_delay_alu instid0(VALU_DEP_3) | instskip(SKIP_1) | instid1(VALU_DEP_4)
	v_add_co_u32 v28, vcc_lo, s8, v32
	s_wait_alu 0xfffd
	v_add_co_ci_u32_e64 v36, null, s9, v33, vcc_lo
	s_wait_alu 0xfffe
	v_add_co_u32 v32, vcc_lo, s4, v37
	s_wait_alu 0xfffd
	v_add_co_ci_u32_e64 v33, null, s5, v38, vcc_lo
.LBB145_8:                              ;   Parent Loop BB145_7 Depth=1
                                        ; =>  This Inner Loop Header: Depth=2
	v_add_co_u32 v57, vcc_lo, v28, s14
	s_wait_alu 0xfffd
	v_add_co_ci_u32_e64 v58, null, s15, v36, vcc_lo
	v_lshlrev_b64_e32 v[61:62], 4, v[29:30]
	s_clause 0x1
	global_load_b128 v[37:40], v[32:33], off
	global_load_b128 v[41:44], v[32:33], off offset:-16
	s_clause 0x3
	global_load_b128 v[45:48], v[57:58], off
	global_load_b128 v[49:52], v[57:58], off offset:16
	global_load_b128 v[53:56], v[57:58], off offset:32
	;; [unrolled: 1-line block ×3, first 2 shown]
	v_add_nc_u32_e32 v29, 8, v29
	s_add_nc_u64 s[14:15], s[14:15], 0x80
	s_wait_alu 0xfffe
	s_cmp_eq_u32 s14, 0x200
	v_add_co_u32 v73, vcc_lo, s8, v61
	s_wait_alu 0xfffd
	v_add_co_ci_u32_e64 v74, null, s9, v62, vcc_lo
	s_clause 0x3
	global_load_b128 v[61:64], v[73:74], off
	global_load_b128 v[65:68], v[73:74], off offset:16
	global_load_b128 v[69:72], v[73:74], off offset:32
	global_load_b128 v[73:76], v[73:74], off offset:48
	v_add_co_u32 v32, vcc_lo, v32, 32
	s_wait_alu 0xfffd
	v_add_co_ci_u32_e64 v33, null, 0, v33, vcc_lo
	s_wait_loadcnt 0x7
	v_fma_f64 v[16:17], v[45:46], v[41:42], v[16:17]
	v_fma_f64 v[10:11], v[47:48], v[41:42], v[10:11]
	s_wait_loadcnt 0x6
	v_fma_f64 v[22:23], v[49:50], v[41:42], v[22:23]
	v_fma_f64 v[24:25], v[51:52], v[41:42], v[24:25]
	s_wait_loadcnt 0x5
	v_fma_f64 v[18:19], v[53:54], v[41:42], v[18:19]
	v_fma_f64 v[20:21], v[55:56], v[41:42], v[20:21]
	s_wait_loadcnt 0x4
	v_fma_f64 v[12:13], v[57:58], v[41:42], v[12:13]
	v_fma_f64 v[14:15], v[59:60], v[41:42], v[14:15]
	v_fma_f64 v[16:17], -v[47:48], v[43:44], v[16:17]
	v_fma_f64 v[10:11], v[45:46], v[43:44], v[10:11]
	v_fma_f64 v[22:23], -v[51:52], v[43:44], v[22:23]
	v_fma_f64 v[24:25], v[49:50], v[43:44], v[24:25]
	;; [unrolled: 2-line block ×4, first 2 shown]
	s_wait_loadcnt 0x3
	v_fma_f64 v[16:17], v[61:62], v[37:38], v[16:17]
	v_fma_f64 v[10:11], v[63:64], v[37:38], v[10:11]
	s_wait_loadcnt 0x2
	v_fma_f64 v[22:23], v[65:66], v[37:38], v[22:23]
	v_fma_f64 v[24:25], v[67:68], v[37:38], v[24:25]
	;; [unrolled: 3-line block ×4, first 2 shown]
	v_fma_f64 v[16:17], -v[63:64], v[39:40], v[16:17]
	v_fma_f64 v[10:11], v[61:62], v[39:40], v[10:11]
	v_fma_f64 v[22:23], -v[67:68], v[39:40], v[22:23]
	v_fma_f64 v[24:25], v[65:66], v[39:40], v[24:25]
	;; [unrolled: 2-line block ×4, first 2 shown]
	s_cbranch_scc0 .LBB145_8
; %bb.9:                                ;   in Loop: Header=BB145_7 Depth=1
	v_add_nc_u32_e32 v31, 64, v31
	v_add_nc_u32_e32 v35, 0x800, v35
	;; [unrolled: 1-line block ×3, first 2 shown]
	s_delay_alu instid0(VALU_DEP_3)
	v_cmp_ge_i32_e32 vcc_lo, v31, v34
	s_or_b32 s13, vcc_lo, s13
	s_wait_alu 0xfffe
	s_and_not1_b32 exec_lo, exec_lo, s13
	s_cbranch_execnz .LBB145_7
; %bb.10:
	s_or_b32 exec_lo, exec_lo, s13
.LBB145_11:
	s_wait_alu 0xfffe
	s_or_b32 exec_lo, exec_lo, s3
	s_cbranch_execz .LBB145_13
	s_branch .LBB145_20
.LBB145_12:
                                        ; implicit-def: $vgpr10_vgpr11
                                        ; implicit-def: $vgpr16_vgpr17
                                        ; implicit-def: $vgpr12_vgpr13
                                        ; implicit-def: $vgpr14_vgpr15
                                        ; implicit-def: $vgpr18_vgpr19
                                        ; implicit-def: $vgpr20_vgpr21
                                        ; implicit-def: $vgpr22_vgpr23
                                        ; implicit-def: $vgpr24_vgpr25
.LBB145_13:
	v_mov_b32_e32 v10, 0
	v_mov_b32_e32 v12, 0
	;; [unrolled: 1-line block ×3, first 2 shown]
	v_dual_mov_b32 v22, 0 :: v_dual_mov_b32 v11, 0
	v_dual_mov_b32 v16, 0 :: v_dual_mov_b32 v13, 0
	v_dual_mov_b32 v14, 0 :: v_dual_mov_b32 v19, 0
	v_dual_mov_b32 v20, 0 :: v_dual_mov_b32 v23, 0
	v_dual_mov_b32 v24, 0 :: v_dual_mov_b32 v17, 0
	v_mov_b32_e32 v15, 0
	v_mov_b32_e32 v21, 0
	;; [unrolled: 1-line block ×3, first 2 shown]
	s_and_saveexec_b32 s4, s2
	s_cbranch_execz .LBB145_19
; %bb.14:
	v_mov_b32_e32 v10, 0
	v_mov_b32_e32 v16, 0
	;; [unrolled: 1-line block ×7, first 2 shown]
	v_dual_mov_b32 v24, 0 :: v_dual_mov_b32 v29, 0
	v_dual_mov_b32 v11, 0 :: v_dual_lshlrev_b32 v28, 5, v26
	v_mov_b32_e32 v17, 0
	v_mov_b32_e32 v13, 0
	;; [unrolled: 1-line block ×7, first 2 shown]
	s_mov_b32 s5, 0
.LBB145_15:                             ; =>This Loop Header: Depth=1
                                        ;     Child Loop BB145_16 Depth 2
	v_ashrrev_i32_e32 v27, 31, v26
	v_lshlrev_b64_e32 v[32:33], 4, v[28:29]
	s_mov_b64 s[2:3], 0
	s_delay_alu instid0(VALU_DEP_2) | instskip(NEXT) | instid1(VALU_DEP_1)
	v_lshlrev_b64_e32 v[30:31], 2, v[26:27]
	v_add_co_u32 v30, vcc_lo, s6, v30
	s_wait_alu 0xfffd
	s_delay_alu instid0(VALU_DEP_2) | instskip(SKIP_3) | instid1(VALU_DEP_1)
	v_add_co_ci_u32_e64 v31, null, s7, v31, vcc_lo
	global_load_b32 v27, v[30:31], off
	s_wait_loadcnt 0x0
	v_subrev_nc_u32_e32 v27, s12, v27
	v_dual_mov_b32 v31, v29 :: v_dual_lshlrev_b32 v30, 3, v27
	v_add_co_u32 v27, vcc_lo, s8, v32
	s_delay_alu instid0(VALU_DEP_2) | instskip(SKIP_2) | instid1(VALU_DEP_2)
	v_lshlrev_b64_e32 v[35:36], 4, v[30:31]
	s_wait_alu 0xfffd
	v_add_co_ci_u32_e64 v30, null, s9, v33, vcc_lo
	v_add_co_u32 v31, vcc_lo, s10, v35
	s_wait_alu 0xfffd
	s_delay_alu instid0(VALU_DEP_3)
	v_add_co_ci_u32_e64 v32, null, s11, v36, vcc_lo
.LBB145_16:                             ;   Parent Loop BB145_15 Depth=1
                                        ; =>  This Inner Loop Header: Depth=2
	s_wait_alu 0xfffe
	v_add_co_u32 v71, vcc_lo, v27, s2
	s_wait_alu 0xfffd
	v_add_co_ci_u32_e64 v72, null, s3, v30, vcc_lo
	v_add_co_u32 v59, vcc_lo, v31, s2
	s_wait_alu 0xfffd
	v_add_co_ci_u32_e64 v60, null, s3, v32, vcc_lo
	global_load_b128 v[35:38], v[71:72], off
	global_load_b128 v[39:42], v[59:60], off
	s_clause 0x3
	global_load_b128 v[43:46], v[71:72], off offset:128
	global_load_b128 v[47:50], v[71:72], off offset:256
	;; [unrolled: 1-line block ×5, first 2 shown]
	s_clause 0x2
	global_load_b128 v[63:66], v[71:72], off offset:144
	global_load_b128 v[67:70], v[71:72], off offset:272
	;; [unrolled: 1-line block ×3, first 2 shown]
	s_add_nc_u64 s[2:3], s[2:3], 32
	s_wait_alu 0xfffe
	s_cmp_eq_u32 s2, 0x80
	s_wait_loadcnt 0x8
	v_fma_f64 v[16:17], v[35:36], v[39:40], v[16:17]
	v_fma_f64 v[10:11], v[37:38], v[39:40], v[10:11]
	s_wait_loadcnt 0x7
	v_fma_f64 v[22:23], v[43:44], v[39:40], v[22:23]
	v_fma_f64 v[24:25], v[45:46], v[39:40], v[24:25]
	;; [unrolled: 3-line block ×4, first 2 shown]
	v_fma_f64 v[16:17], -v[37:38], v[41:42], v[16:17]
	v_fma_f64 v[10:11], v[35:36], v[41:42], v[10:11]
	v_fma_f64 v[22:23], -v[45:46], v[41:42], v[22:23]
	v_fma_f64 v[24:25], v[43:44], v[41:42], v[24:25]
	;; [unrolled: 2-line block ×4, first 2 shown]
	s_wait_loadcnt 0x3
	v_fma_f64 v[16:17], v[55:56], v[59:60], v[16:17]
	v_fma_f64 v[10:11], v[57:58], v[59:60], v[10:11]
	s_wait_loadcnt 0x2
	v_fma_f64 v[22:23], v[63:64], v[59:60], v[22:23]
	v_fma_f64 v[24:25], v[65:66], v[59:60], v[24:25]
	;; [unrolled: 3-line block ×4, first 2 shown]
	v_fma_f64 v[16:17], -v[57:58], v[61:62], v[16:17]
	v_fma_f64 v[10:11], v[55:56], v[61:62], v[10:11]
	v_fma_f64 v[22:23], -v[65:66], v[61:62], v[22:23]
	v_fma_f64 v[24:25], v[63:64], v[61:62], v[24:25]
	;; [unrolled: 2-line block ×4, first 2 shown]
	s_cbranch_scc0 .LBB145_16
; %bb.17:                               ;   in Loop: Header=BB145_15 Depth=1
	v_add_nc_u32_e32 v26, 64, v26
	v_add_nc_u32_e32 v28, 0x800, v28
	s_delay_alu instid0(VALU_DEP_2)
	v_cmp_ge_i32_e32 vcc_lo, v26, v34
	s_or_b32 s5, vcc_lo, s5
	s_wait_alu 0xfffe
	s_and_not1_b32 exec_lo, exec_lo, s5
	s_cbranch_execnz .LBB145_15
; %bb.18:
	s_or_b32 exec_lo, exec_lo, s5
.LBB145_19:
	s_wait_alu 0xfffe
	s_or_b32 exec_lo, exec_lo, s4
.LBB145_20:
	v_mbcnt_lo_u32_b32 v44, -1, 0
	s_delay_alu instid0(VALU_DEP_1) | instskip(NEXT) | instid1(VALU_DEP_1)
	v_or_b32_e32 v26, 32, v44
	v_cmp_gt_i32_e32 vcc_lo, 32, v26
	s_wait_alu 0xfffd
	v_cndmask_b32_e32 v26, v44, v26, vcc_lo
	s_delay_alu instid0(VALU_DEP_1)
	v_lshlrev_b32_e32 v41, 2, v26
	ds_bpermute_b32 v26, v41, v16
	ds_bpermute_b32 v27, v41, v17
	ds_bpermute_b32 v28, v41, v10
	ds_bpermute_b32 v29, v41, v11
	ds_bpermute_b32 v30, v41, v22
	ds_bpermute_b32 v31, v41, v23
	ds_bpermute_b32 v32, v41, v24
	ds_bpermute_b32 v33, v41, v25
	ds_bpermute_b32 v34, v41, v18
	ds_bpermute_b32 v35, v41, v19
	ds_bpermute_b32 v36, v41, v20
	ds_bpermute_b32 v37, v41, v21
	ds_bpermute_b32 v38, v41, v12
	ds_bpermute_b32 v39, v41, v13
	ds_bpermute_b32 v40, v41, v14
	ds_bpermute_b32 v41, v41, v15
	s_wait_dscnt 0xe
	v_add_f64_e32 v[16:17], v[16:17], v[26:27]
	v_xor_b32_e32 v26, 16, v44
	s_wait_dscnt 0xc
	v_add_f64_e32 v[10:11], v[10:11], v[28:29]
	s_wait_dscnt 0xa
	v_add_f64_e32 v[22:23], v[22:23], v[30:31]
	s_wait_dscnt 0x8
	v_add_f64_e32 v[24:25], v[24:25], v[32:33]
	v_cmp_gt_i32_e32 vcc_lo, 32, v26
	s_wait_dscnt 0x6
	v_add_f64_e32 v[18:19], v[18:19], v[34:35]
	s_wait_dscnt 0x4
	v_add_f64_e32 v[20:21], v[20:21], v[36:37]
	s_wait_dscnt 0x2
	v_add_f64_e32 v[12:13], v[12:13], v[38:39]
	s_wait_alu 0xfffd
	v_cndmask_b32_e32 v26, v44, v26, vcc_lo
	s_wait_dscnt 0x0
	v_add_f64_e32 v[14:15], v[14:15], v[40:41]
	s_delay_alu instid0(VALU_DEP_2)
	v_lshlrev_b32_e32 v41, 2, v26
	ds_bpermute_b32 v26, v41, v16
	ds_bpermute_b32 v27, v41, v17
	ds_bpermute_b32 v28, v41, v10
	ds_bpermute_b32 v29, v41, v11
	ds_bpermute_b32 v30, v41, v22
	ds_bpermute_b32 v31, v41, v23
	ds_bpermute_b32 v32, v41, v24
	ds_bpermute_b32 v33, v41, v25
	ds_bpermute_b32 v34, v41, v18
	ds_bpermute_b32 v35, v41, v19
	ds_bpermute_b32 v36, v41, v20
	ds_bpermute_b32 v37, v41, v21
	ds_bpermute_b32 v38, v41, v12
	ds_bpermute_b32 v39, v41, v13
	ds_bpermute_b32 v40, v41, v14
	ds_bpermute_b32 v41, v41, v15
	s_wait_dscnt 0xe
	v_add_f64_e32 v[16:17], v[16:17], v[26:27]
	v_xor_b32_e32 v26, 8, v44
	s_wait_dscnt 0xc
	v_add_f64_e32 v[10:11], v[10:11], v[28:29]
	s_wait_dscnt 0xa
	v_add_f64_e32 v[22:23], v[22:23], v[30:31]
	s_wait_dscnt 0x8
	v_add_f64_e32 v[24:25], v[24:25], v[32:33]
	v_cmp_gt_i32_e32 vcc_lo, 32, v26
	s_wait_dscnt 0x6
	v_add_f64_e32 v[18:19], v[18:19], v[34:35]
	s_wait_dscnt 0x4
	v_add_f64_e32 v[20:21], v[20:21], v[36:37]
	s_wait_dscnt 0x2
	v_add_f64_e32 v[12:13], v[12:13], v[38:39]
	s_wait_alu 0xfffd
	v_cndmask_b32_e32 v26, v44, v26, vcc_lo
	s_wait_dscnt 0x0
	v_add_f64_e32 v[14:15], v[14:15], v[40:41]
	s_delay_alu instid0(VALU_DEP_2)
	;; [unrolled: 38-line block ×3, first 2 shown]
	v_lshlrev_b32_e32 v41, 2, v26
	ds_bpermute_b32 v26, v41, v16
	ds_bpermute_b32 v27, v41, v17
	;; [unrolled: 1-line block ×16, first 2 shown]
	s_wait_dscnt 0xe
	v_add_f64_e32 v[16:17], v[16:17], v[26:27]
	s_wait_dscnt 0xc
	v_add_f64_e32 v[26:27], v[10:11], v[28:29]
	v_xor_b32_e32 v10, 2, v44
	s_wait_dscnt 0xa
	v_add_f64_e32 v[22:23], v[22:23], v[30:31]
	s_wait_dscnt 0x8
	v_add_f64_e32 v[28:29], v[24:25], v[32:33]
	;; [unrolled: 2-line block ×3, first 2 shown]
	v_cmp_gt_i32_e32 vcc_lo, 32, v10
	s_wait_dscnt 0x4
	v_add_f64_e32 v[20:21], v[20:21], v[36:37]
	s_wait_dscnt 0x2
	v_add_f64_e32 v[30:31], v[12:13], v[38:39]
	;; [unrolled: 2-line block ×3, first 2 shown]
	s_wait_alu 0xfffd
	v_cndmask_b32_e32 v10, v44, v10, vcc_lo
	s_delay_alu instid0(VALU_DEP_1)
	v_lshlrev_b32_e32 v24, 2, v10
	ds_bpermute_b32 v10, v24, v16
	ds_bpermute_b32 v11, v24, v17
	;; [unrolled: 1-line block ×16, first 2 shown]
	s_wait_dscnt 0xe
	v_add_f64_e32 v[10:11], v[16:17], v[10:11]
	s_wait_dscnt 0xc
	v_add_f64_e32 v[24:25], v[26:27], v[12:13]
	v_xor_b32_e32 v26, 1, v44
	s_wait_dscnt 0xa
	v_add_f64_e32 v[12:13], v[22:23], v[14:15]
	s_wait_dscnt 0x8
	v_add_f64_e32 v[22:23], v[28:29], v[34:35]
	;; [unrolled: 2-line block ×3, first 2 shown]
	v_cmp_gt_i32_e32 vcc_lo, 32, v26
	s_wait_dscnt 0x4
	v_add_f64_e32 v[20:21], v[20:21], v[38:39]
	s_wait_dscnt 0x2
	v_add_f64_e32 v[16:17], v[30:31], v[40:41]
	;; [unrolled: 2-line block ×3, first 2 shown]
	s_wait_alu 0xfffd
	v_cndmask_b32_e32 v26, v44, v26, vcc_lo
	v_cmp_eq_u32_e32 vcc_lo, 63, v0
	s_delay_alu instid0(VALU_DEP_2)
	v_lshlrev_b32_e32 v29, 2, v26
	ds_bpermute_b32 v40, v29, v10
	ds_bpermute_b32 v41, v29, v11
	;; [unrolled: 1-line block ×16, first 2 shown]
	s_and_b32 exec_lo, exec_lo, vcc_lo
	s_cbranch_execz .LBB145_25
; %bb.21:
	v_cmp_eq_f64_e32 vcc_lo, 0, v[5:6]
	v_cmp_eq_f64_e64 s2, 0, v[7:8]
	s_wait_dscnt 0xe
	v_add_f64_e32 v[10:11], v[10:11], v[40:41]
	s_wait_dscnt 0xc
	v_add_f64_e32 v[24:25], v[24:25], v[38:39]
	s_wait_dscnt 0xa
	v_add_f64_e32 v[12:13], v[12:13], v[36:37]
	s_wait_dscnt 0x8
	v_add_f64_e32 v[22:23], v[22:23], v[34:35]
	s_wait_dscnt 0x6
	v_add_f64_e32 v[14:15], v[14:15], v[32:33]
	s_wait_dscnt 0x4
	v_add_f64_e32 v[20:21], v[20:21], v[30:31]
	s_wait_dscnt 0x2
	v_add_f64_e32 v[16:17], v[16:17], v[26:27]
	s_wait_dscnt 0x0
	v_add_f64_e32 v[18:19], v[18:19], v[28:29]
	s_load_b64 s[0:1], s[0:1], 0x48
	s_and_b32 s2, vcc_lo, s2
	s_wait_alu 0xfffe
	s_and_saveexec_b32 s3, s2
	s_wait_alu 0xfffe
	s_xor_b32 s2, exec_lo, s3
	s_cbranch_execz .LBB145_23
; %bb.22:
	v_mul_f64_e64 v[5:6], v[24:25], -v[3:4]
	v_mul_f64_e32 v[7:8], v[1:2], v[24:25]
	v_mul_f64_e64 v[24:25], v[22:23], -v[3:4]
	v_mul_f64_e32 v[22:23], v[1:2], v[22:23]
	;; [unrolled: 2-line block ×4, first 2 shown]
	v_fma_f64 v[5:6], v[1:2], v[10:11], v[5:6]
	v_fma_f64 v[7:8], v[3:4], v[10:11], v[7:8]
	v_fma_f64 v[10:11], v[1:2], v[12:13], v[24:25]
	v_fma_f64 v[12:13], v[3:4], v[12:13], v[22:23]
	v_fma_f64 v[18:19], v[1:2], v[14:15], v[26:27]
	v_fma_f64 v[20:21], v[3:4], v[14:15], v[20:21]
	v_fma_f64 v[0:1], v[1:2], v[16:17], v[28:29]
	v_fma_f64 v[2:3], v[3:4], v[16:17], v[30:31]
	v_lshlrev_b32_e32 v14, 2, v9
                                        ; implicit-def: $vgpr9
                                        ; implicit-def: $vgpr24_vgpr25
                                        ; implicit-def: $vgpr22_vgpr23
                                        ; implicit-def: $vgpr16_vgpr17
	s_delay_alu instid0(VALU_DEP_1) | instskip(NEXT) | instid1(VALU_DEP_1)
	v_ashrrev_i32_e32 v15, 31, v14
	v_lshlrev_b64_e32 v[14:15], 4, v[14:15]
	s_wait_kmcnt 0x0
	s_delay_alu instid0(VALU_DEP_1) | instskip(SKIP_1) | instid1(VALU_DEP_2)
	v_add_co_u32 v14, vcc_lo, s0, v14
	s_wait_alu 0xfffd
	v_add_co_ci_u32_e64 v15, null, s1, v15, vcc_lo
	s_clause 0x3
	global_store_b128 v[14:15], v[5:8], off
	global_store_b128 v[14:15], v[10:13], off offset:16
	global_store_b128 v[14:15], v[18:21], off offset:32
	;; [unrolled: 1-line block ×3, first 2 shown]
                                        ; implicit-def: $vgpr10_vgpr11
                                        ; implicit-def: $vgpr12_vgpr13
                                        ; implicit-def: $vgpr14_vgpr15
                                        ; implicit-def: $vgpr20_vgpr21
                                        ; implicit-def: $vgpr18_vgpr19
                                        ; implicit-def: $vgpr7_vgpr8
                                        ; implicit-def: $vgpr3_vgpr4
.LBB145_23:
	s_wait_alu 0xfffe
	s_and_not1_saveexec_b32 s2, s2
	s_cbranch_execz .LBB145_25
; %bb.24:
	v_lshlrev_b32_e32 v26, 2, v9
	v_mul_f64_e64 v[44:45], v[24:25], -v[3:4]
	v_mul_f64_e32 v[24:25], v[1:2], v[24:25]
	v_mul_f64_e64 v[46:47], v[22:23], -v[3:4]
	v_mul_f64_e32 v[22:23], v[1:2], v[22:23]
	v_ashrrev_i32_e32 v27, 31, v26
	v_mul_f64_e64 v[48:49], v[20:21], -v[3:4]
	v_mul_f64_e32 v[20:21], v[1:2], v[20:21]
	v_mul_f64_e64 v[50:51], v[18:19], -v[3:4]
	v_mul_f64_e32 v[18:19], v[1:2], v[18:19]
	v_lshlrev_b64_e32 v[26:27], 4, v[26:27]
	s_wait_kmcnt 0x0
	s_delay_alu instid0(VALU_DEP_1) | instskip(SKIP_1) | instid1(VALU_DEP_2)
	v_add_co_u32 v42, vcc_lo, s0, v26
	s_wait_alu 0xfffd
	v_add_co_ci_u32_e64 v43, null, s1, v27, vcc_lo
	s_clause 0x3
	global_load_b128 v[26:29], v[42:43], off
	global_load_b128 v[30:33], v[42:43], off offset:16
	global_load_b128 v[34:37], v[42:43], off offset:32
	;; [unrolled: 1-line block ×3, first 2 shown]
	v_fma_f64 v[44:45], v[1:2], v[10:11], v[44:45]
	v_fma_f64 v[9:10], v[3:4], v[10:11], v[24:25]
	;; [unrolled: 1-line block ×8, first 2 shown]
	s_wait_loadcnt 0x3
	v_fma_f64 v[15:16], v[5:6], v[26:27], v[44:45]
	v_fma_f64 v[9:10], v[7:8], v[26:27], v[9:10]
	s_wait_loadcnt 0x2
	v_fma_f64 v[17:18], v[5:6], v[30:31], v[24:25]
	v_fma_f64 v[11:12], v[7:8], v[30:31], v[11:12]
	;; [unrolled: 3-line block ×4, first 2 shown]
	v_fma_f64 v[0:1], -v[7:8], v[28:29], v[15:16]
	v_fma_f64 v[2:3], v[5:6], v[28:29], v[9:10]
	v_fma_f64 v[9:10], -v[7:8], v[32:33], v[17:18]
	v_fma_f64 v[11:12], v[5:6], v[32:33], v[11:12]
	;; [unrolled: 2-line block ×4, first 2 shown]
	s_clause 0x3
	global_store_b128 v[42:43], v[0:3], off
	global_store_b128 v[42:43], v[9:12], off offset:16
	global_store_b128 v[42:43], v[13:16], off offset:32
	;; [unrolled: 1-line block ×3, first 2 shown]
.LBB145_25:
	s_endpgm
	.section	.rodata,"a",@progbits
	.p2align	6, 0x0
	.amdhsa_kernel _ZN9rocsparseL19gebsrmvn_4xn_kernelILj128ELj8ELj64E21rocsparse_complex_numIdEEEvi20rocsparse_direction_NS_24const_host_device_scalarIT2_EEPKiS8_PKS5_SA_S6_PS5_21rocsparse_index_base_b
		.amdhsa_group_segment_fixed_size 0
		.amdhsa_private_segment_fixed_size 0
		.amdhsa_kernarg_size 88
		.amdhsa_user_sgpr_count 2
		.amdhsa_user_sgpr_dispatch_ptr 0
		.amdhsa_user_sgpr_queue_ptr 0
		.amdhsa_user_sgpr_kernarg_segment_ptr 1
		.amdhsa_user_sgpr_dispatch_id 0
		.amdhsa_user_sgpr_private_segment_size 0
		.amdhsa_wavefront_size32 1
		.amdhsa_uses_dynamic_stack 0
		.amdhsa_enable_private_segment 0
		.amdhsa_system_sgpr_workgroup_id_x 1
		.amdhsa_system_sgpr_workgroup_id_y 0
		.amdhsa_system_sgpr_workgroup_id_z 0
		.amdhsa_system_sgpr_workgroup_info 0
		.amdhsa_system_vgpr_workitem_id 0
		.amdhsa_next_free_vgpr 77
		.amdhsa_next_free_sgpr 16
		.amdhsa_reserve_vcc 1
		.amdhsa_float_round_mode_32 0
		.amdhsa_float_round_mode_16_64 0
		.amdhsa_float_denorm_mode_32 3
		.amdhsa_float_denorm_mode_16_64 3
		.amdhsa_fp16_overflow 0
		.amdhsa_workgroup_processor_mode 1
		.amdhsa_memory_ordered 1
		.amdhsa_forward_progress 1
		.amdhsa_inst_pref_size 32
		.amdhsa_round_robin_scheduling 0
		.amdhsa_exception_fp_ieee_invalid_op 0
		.amdhsa_exception_fp_denorm_src 0
		.amdhsa_exception_fp_ieee_div_zero 0
		.amdhsa_exception_fp_ieee_overflow 0
		.amdhsa_exception_fp_ieee_underflow 0
		.amdhsa_exception_fp_ieee_inexact 0
		.amdhsa_exception_int_div_zero 0
	.end_amdhsa_kernel
	.section	.text._ZN9rocsparseL19gebsrmvn_4xn_kernelILj128ELj8ELj64E21rocsparse_complex_numIdEEEvi20rocsparse_direction_NS_24const_host_device_scalarIT2_EEPKiS8_PKS5_SA_S6_PS5_21rocsparse_index_base_b,"axG",@progbits,_ZN9rocsparseL19gebsrmvn_4xn_kernelILj128ELj8ELj64E21rocsparse_complex_numIdEEEvi20rocsparse_direction_NS_24const_host_device_scalarIT2_EEPKiS8_PKS5_SA_S6_PS5_21rocsparse_index_base_b,comdat
.Lfunc_end145:
	.size	_ZN9rocsparseL19gebsrmvn_4xn_kernelILj128ELj8ELj64E21rocsparse_complex_numIdEEEvi20rocsparse_direction_NS_24const_host_device_scalarIT2_EEPKiS8_PKS5_SA_S6_PS5_21rocsparse_index_base_b, .Lfunc_end145-_ZN9rocsparseL19gebsrmvn_4xn_kernelILj128ELj8ELj64E21rocsparse_complex_numIdEEEvi20rocsparse_direction_NS_24const_host_device_scalarIT2_EEPKiS8_PKS5_SA_S6_PS5_21rocsparse_index_base_b
                                        ; -- End function
	.set _ZN9rocsparseL19gebsrmvn_4xn_kernelILj128ELj8ELj64E21rocsparse_complex_numIdEEEvi20rocsparse_direction_NS_24const_host_device_scalarIT2_EEPKiS8_PKS5_SA_S6_PS5_21rocsparse_index_base_b.num_vgpr, 77
	.set _ZN9rocsparseL19gebsrmvn_4xn_kernelILj128ELj8ELj64E21rocsparse_complex_numIdEEEvi20rocsparse_direction_NS_24const_host_device_scalarIT2_EEPKiS8_PKS5_SA_S6_PS5_21rocsparse_index_base_b.num_agpr, 0
	.set _ZN9rocsparseL19gebsrmvn_4xn_kernelILj128ELj8ELj64E21rocsparse_complex_numIdEEEvi20rocsparse_direction_NS_24const_host_device_scalarIT2_EEPKiS8_PKS5_SA_S6_PS5_21rocsparse_index_base_b.numbered_sgpr, 16
	.set _ZN9rocsparseL19gebsrmvn_4xn_kernelILj128ELj8ELj64E21rocsparse_complex_numIdEEEvi20rocsparse_direction_NS_24const_host_device_scalarIT2_EEPKiS8_PKS5_SA_S6_PS5_21rocsparse_index_base_b.num_named_barrier, 0
	.set _ZN9rocsparseL19gebsrmvn_4xn_kernelILj128ELj8ELj64E21rocsparse_complex_numIdEEEvi20rocsparse_direction_NS_24const_host_device_scalarIT2_EEPKiS8_PKS5_SA_S6_PS5_21rocsparse_index_base_b.private_seg_size, 0
	.set _ZN9rocsparseL19gebsrmvn_4xn_kernelILj128ELj8ELj64E21rocsparse_complex_numIdEEEvi20rocsparse_direction_NS_24const_host_device_scalarIT2_EEPKiS8_PKS5_SA_S6_PS5_21rocsparse_index_base_b.uses_vcc, 1
	.set _ZN9rocsparseL19gebsrmvn_4xn_kernelILj128ELj8ELj64E21rocsparse_complex_numIdEEEvi20rocsparse_direction_NS_24const_host_device_scalarIT2_EEPKiS8_PKS5_SA_S6_PS5_21rocsparse_index_base_b.uses_flat_scratch, 0
	.set _ZN9rocsparseL19gebsrmvn_4xn_kernelILj128ELj8ELj64E21rocsparse_complex_numIdEEEvi20rocsparse_direction_NS_24const_host_device_scalarIT2_EEPKiS8_PKS5_SA_S6_PS5_21rocsparse_index_base_b.has_dyn_sized_stack, 0
	.set _ZN9rocsparseL19gebsrmvn_4xn_kernelILj128ELj8ELj64E21rocsparse_complex_numIdEEEvi20rocsparse_direction_NS_24const_host_device_scalarIT2_EEPKiS8_PKS5_SA_S6_PS5_21rocsparse_index_base_b.has_recursion, 0
	.set _ZN9rocsparseL19gebsrmvn_4xn_kernelILj128ELj8ELj64E21rocsparse_complex_numIdEEEvi20rocsparse_direction_NS_24const_host_device_scalarIT2_EEPKiS8_PKS5_SA_S6_PS5_21rocsparse_index_base_b.has_indirect_call, 0
	.section	.AMDGPU.csdata,"",@progbits
; Kernel info:
; codeLenInByte = 3984
; TotalNumSgprs: 18
; NumVgprs: 77
; ScratchSize: 0
; MemoryBound: 0
; FloatMode: 240
; IeeeMode: 1
; LDSByteSize: 0 bytes/workgroup (compile time only)
; SGPRBlocks: 0
; VGPRBlocks: 9
; NumSGPRsForWavesPerEU: 18
; NumVGPRsForWavesPerEU: 77
; Occupancy: 16
; WaveLimiterHint : 1
; COMPUTE_PGM_RSRC2:SCRATCH_EN: 0
; COMPUTE_PGM_RSRC2:USER_SGPR: 2
; COMPUTE_PGM_RSRC2:TRAP_HANDLER: 0
; COMPUTE_PGM_RSRC2:TGID_X_EN: 1
; COMPUTE_PGM_RSRC2:TGID_Y_EN: 0
; COMPUTE_PGM_RSRC2:TGID_Z_EN: 0
; COMPUTE_PGM_RSRC2:TIDIG_COMP_CNT: 0
	.section	.text._ZN9rocsparseL23gebsrmvn_general_kernelILj64ELj16E21rocsparse_complex_numIdEEEvi20rocsparse_direction_NS_24const_host_device_scalarIT1_EEPKiS8_PKS5_iiSA_S6_PS5_21rocsparse_index_base_b,"axG",@progbits,_ZN9rocsparseL23gebsrmvn_general_kernelILj64ELj16E21rocsparse_complex_numIdEEEvi20rocsparse_direction_NS_24const_host_device_scalarIT1_EEPKiS8_PKS5_iiSA_S6_PS5_21rocsparse_index_base_b,comdat
	.globl	_ZN9rocsparseL23gebsrmvn_general_kernelILj64ELj16E21rocsparse_complex_numIdEEEvi20rocsparse_direction_NS_24const_host_device_scalarIT1_EEPKiS8_PKS5_iiSA_S6_PS5_21rocsparse_index_base_b ; -- Begin function _ZN9rocsparseL23gebsrmvn_general_kernelILj64ELj16E21rocsparse_complex_numIdEEEvi20rocsparse_direction_NS_24const_host_device_scalarIT1_EEPKiS8_PKS5_iiSA_S6_PS5_21rocsparse_index_base_b
	.p2align	8
	.type	_ZN9rocsparseL23gebsrmvn_general_kernelILj64ELj16E21rocsparse_complex_numIdEEEvi20rocsparse_direction_NS_24const_host_device_scalarIT1_EEPKiS8_PKS5_iiSA_S6_PS5_21rocsparse_index_base_b,@function
_ZN9rocsparseL23gebsrmvn_general_kernelILj64ELj16E21rocsparse_complex_numIdEEEvi20rocsparse_direction_NS_24const_host_device_scalarIT1_EEPKiS8_PKS5_iiSA_S6_PS5_21rocsparse_index_base_b: ; @_ZN9rocsparseL23gebsrmvn_general_kernelILj64ELj16E21rocsparse_complex_numIdEEEvi20rocsparse_direction_NS_24const_host_device_scalarIT1_EEPKiS8_PKS5_iiSA_S6_PS5_21rocsparse_index_base_b
; %bb.0:
	s_clause 0x1
	s_load_b64 s[8:9], s[0:1], 0x58
	s_load_b64 s[2:3], s[0:1], 0x8
	s_add_nc_u64 s[4:5], s[0:1], 8
	s_load_b64 s[6:7], s[0:1], 0x40
	s_wait_kmcnt 0x0
	s_bitcmp1_b32 s9, 0
	s_cselect_b32 s2, s4, s2
	s_cselect_b32 s3, s5, s3
	s_delay_alu instid0(SALU_CYCLE_1)
	v_dual_mov_b32 v1, s2 :: v_dual_mov_b32 v2, s3
	s_add_nc_u64 s[2:3], s[0:1], 64
	s_wait_alu 0xfffe
	s_cselect_b32 s2, s2, s6
	s_cselect_b32 s3, s3, s7
	flat_load_b128 v[1:4], v[1:2]
	s_wait_alu 0xfffe
	v_dual_mov_b32 v5, s2 :: v_dual_mov_b32 v6, s3
	flat_load_b128 v[5:8], v[5:6]
	s_wait_loadcnt_dscnt 0x101
	v_cmp_eq_f64_e32 vcc_lo, 0, v[1:2]
	v_cmp_eq_f64_e64 s2, 0, v[3:4]
	s_and_b32 s4, vcc_lo, s2
	s_mov_b32 s2, -1
	s_and_saveexec_b32 s3, s4
	s_cbranch_execz .LBB146_2
; %bb.1:
	s_wait_loadcnt_dscnt 0x0
	v_cmp_neq_f64_e32 vcc_lo, 1.0, v[5:6]
	v_cmp_neq_f64_e64 s2, 0, v[7:8]
	s_wait_alu 0xfffe
	s_or_b32 s2, vcc_lo, s2
	s_wait_alu 0xfffe
	s_or_not1_b32 s2, s2, exec_lo
.LBB146_2:
	s_wait_alu 0xfffe
	s_or_b32 exec_lo, exec_lo, s3
	s_and_saveexec_b32 s3, s2
	s_cbranch_execz .LBB146_22
; %bb.3:
	s_load_b64 s[10:11], s[0:1], 0x30
	v_lshrrev_b32_e32 v13, 4, v0
	s_wait_kmcnt 0x0
	s_delay_alu instid0(VALU_DEP_1)
	v_cmp_gt_i32_e32 vcc_lo, s10, v13
	s_and_b32 exec_lo, exec_lo, vcc_lo
	s_cbranch_execz .LBB146_22
; %bb.4:
	s_clause 0x1
	s_load_b128 s[4:7], s[0:1], 0x18
	s_load_b32 s20, s[0:1], 0x4
	s_mov_b32 s2, ttmp9
	s_ashr_i32 s3, ttmp9, 31
	s_wait_loadcnt_dscnt 0x0
	v_cmp_eq_f64_e32 vcc_lo, 0, v[5:6]
	s_wait_alu 0xfffe
	s_lshl_b64 s[12:13], s[2:3], 2
	v_cmp_eq_f64_e64 s2, 0, v[7:8]
	v_mbcnt_lo_u32_b32 v11, -1, 0
	v_and_b32_e32 v0, 15, v0
	s_mov_b32 s9, 0
	s_mul_i32 s21, s10, ttmp9
	s_mul_i32 s23, s11, s10
	v_xor_b32_e32 v9, 8, v11
	v_xor_b32_e32 v10, 4, v11
	;; [unrolled: 1-line block ×4, first 2 shown]
	s_wait_kmcnt 0x0
	s_add_nc_u64 s[4:5], s[4:5], s[12:13]
	s_load_b64 s[18:19], s[4:5], 0x0
	s_clause 0x2
	s_load_b64 s[4:5], s[0:1], 0x50
	s_load_b64 s[12:13], s[0:1], 0x28
	;; [unrolled: 1-line block ×3, first 2 shown]
	v_cmp_gt_i32_e64 s1, 32, v9
	v_cmp_gt_i32_e64 s0, s11, v0
	s_delay_alu instid0(VALU_DEP_2) | instskip(SKIP_1) | instid1(VALU_DEP_2)
	v_cndmask_b32_e64 v15, v11, v9, s1
	v_cmp_gt_i32_e64 s1, 32, v10
	v_lshlrev_b32_e32 v18, 2, v15
	s_wait_alu 0xf1ff
	s_delay_alu instid0(VALU_DEP_2) | instskip(SKIP_1) | instid1(VALU_DEP_2)
	v_cndmask_b32_e64 v16, v11, v10, s1
	v_cmp_gt_i32_e64 s1, 32, v12
	v_lshlrev_b32_e32 v19, 2, v16
	s_wait_alu 0xf1ff
	s_delay_alu instid0(VALU_DEP_2)
	v_cndmask_b32_e64 v12, v11, v12, s1
	s_wait_kmcnt 0x0
	s_sub_co_i32 s16, s18, s8
	v_cmp_gt_i32_e64 s1, 32, v14
	v_mad_co_u64_u32 v[9:10], null, s10, s16, v[13:14]
	s_sub_co_i32 s17, s19, s8
	s_cmp_lt_i32 s18, s19
	s_wait_alu 0xf1ff
	v_cndmask_b32_e64 v10, v11, v14, s1
	v_lshlrev_b32_e32 v20, 2, v12
	v_cmp_eq_u32_e64 s1, 15, v0
	s_cselect_b32 s18, -1, 0
	v_mul_lo_u32 v22, s11, v9
	v_lshlrev_b32_e32 v21, 2, v10
	s_cmp_lg_u32 s20, 0
	s_cselect_b32 s19, -1, 0
	s_and_b32 s20, vcc_lo, s2
	s_lshl_b32 s22, s11, 2
	s_branch .LBB146_6
.LBB146_5:                              ;   in Loop: Header=BB146_6 Depth=1
	s_wait_alu 0xfffe
	s_or_b32 exec_lo, exec_lo, s2
	v_add_nc_u32_e32 v13, 4, v13
	v_add_nc_u32_e32 v22, s22, v22
	s_delay_alu instid0(VALU_DEP_2) | instskip(SKIP_1) | instid1(SALU_CYCLE_1)
	v_cmp_le_i32_e32 vcc_lo, s10, v13
	s_or_b32 s9, vcc_lo, s9
	s_and_not1_b32 exec_lo, exec_lo, s9
	s_cbranch_execz .LBB146_22
.LBB146_6:                              ; =>This Loop Header: Depth=1
                                        ;     Child Loop BB146_10 Depth 2
                                        ;       Child Loop BB146_13 Depth 3
	v_mov_b32_e32 v9, 0
	v_dual_mov_b32 v10, 0 :: v_dual_mov_b32 v11, 0
	v_mov_b32_e32 v12, 0
	s_and_not1_b32 vcc_lo, exec_lo, s18
	s_wait_alu 0xfffe
	s_cbranch_vccnz .LBB146_17
; %bb.7:                                ;   in Loop: Header=BB146_6 Depth=1
	v_mov_b32_e32 v9, 0
	v_dual_mov_b32 v10, 0 :: v_dual_mov_b32 v11, 0
	v_mov_b32_e32 v12, 0
	s_wait_dscnt 0x1
	v_mov_b32_e32 v16, v22
	s_mov_b32 s2, s16
	s_branch .LBB146_10
.LBB146_8:                              ;   in Loop: Header=BB146_10 Depth=2
	s_or_b32 exec_lo, exec_lo, s25
.LBB146_9:                              ;   in Loop: Header=BB146_10 Depth=2
	s_delay_alu instid0(SALU_CYCLE_1)
	s_or_b32 exec_lo, exec_lo, s24
	v_add_nc_u32_e32 v16, s23, v16
	s_wait_alu 0xfffe
	s_add_co_i32 s2, s2, 1
	s_wait_alu 0xfffe
	s_cmp_ge_i32 s2, s17
	s_cbranch_scc1 .LBB146_17
.LBB146_10:                             ;   Parent Loop BB146_6 Depth=1
                                        ; =>  This Loop Header: Depth=2
                                        ;       Child Loop BB146_13 Depth 3
	s_and_saveexec_b32 s24, s0
	s_cbranch_execz .LBB146_9
; %bb.11:                               ;   in Loop: Header=BB146_10 Depth=2
	s_wait_alu 0xfffe
	s_ashr_i32 s3, s2, 31
	s_wait_dscnt 0x0
	v_mov_b32_e32 v17, v0
	s_wait_alu 0xfffe
	s_lshl_b64 s[26:27], s[2:3], 2
	s_mov_b32 s25, 0
	s_wait_alu 0xfffe
	s_add_nc_u64 s[26:27], s[6:7], s[26:27]
	s_load_b32 s3, s[26:27], 0x0
	s_wait_kmcnt 0x0
	s_sub_co_i32 s26, s3, s8
	s_mul_i32 s3, s2, s11
	s_wait_alu 0xfffe
	s_mul_i32 s26, s26, s11
	s_branch .LBB146_13
.LBB146_12:                             ;   in Loop: Header=BB146_13 Depth=3
	v_add_nc_u32_e32 v23, s26, v17
	s_delay_alu instid0(VALU_DEP_2) | instskip(SKIP_1) | instid1(VALU_DEP_3)
	v_ashrrev_i32_e32 v15, 31, v14
	v_add_nc_u32_e32 v17, 16, v17
	v_ashrrev_i32_e32 v24, 31, v23
	s_delay_alu instid0(VALU_DEP_3) | instskip(NEXT) | instid1(VALU_DEP_2)
	v_lshlrev_b64_e32 v[14:15], 4, v[14:15]
	v_lshlrev_b64_e32 v[23:24], 4, v[23:24]
	s_delay_alu instid0(VALU_DEP_2) | instskip(SKIP_1) | instid1(VALU_DEP_3)
	v_add_co_u32 v14, vcc_lo, s12, v14
	s_wait_alu 0xfffd
	v_add_co_ci_u32_e64 v15, null, s13, v15, vcc_lo
	s_delay_alu instid0(VALU_DEP_3)
	v_add_co_u32 v27, vcc_lo, s14, v23
	s_wait_alu 0xfffd
	v_add_co_ci_u32_e64 v28, null, s15, v24, vcc_lo
	v_cmp_le_i32_e32 vcc_lo, s11, v17
	global_load_b128 v[23:26], v[14:15], off
	global_load_b128 v[27:30], v[27:28], off
	s_or_b32 s25, vcc_lo, s25
	s_wait_loadcnt 0x0
	v_fma_f64 v[11:12], v[23:24], v[27:28], v[11:12]
	v_fma_f64 v[9:10], v[25:26], v[27:28], v[9:10]
	s_delay_alu instid0(VALU_DEP_2) | instskip(NEXT) | instid1(VALU_DEP_2)
	v_fma_f64 v[11:12], -v[25:26], v[29:30], v[11:12]
	v_fma_f64 v[9:10], v[23:24], v[29:30], v[9:10]
	s_and_not1_b32 exec_lo, exec_lo, s25
	s_cbranch_execz .LBB146_8
.LBB146_13:                             ;   Parent Loop BB146_6 Depth=1
                                        ;     Parent Loop BB146_10 Depth=2
                                        ; =>    This Inner Loop Header: Depth=3
	s_and_b32 vcc_lo, exec_lo, s19
	s_wait_alu 0xfffe
	s_cbranch_vccz .LBB146_15
; %bb.14:                               ;   in Loop: Header=BB146_13 Depth=3
	v_add_nc_u32_e32 v14, s3, v17
	s_delay_alu instid0(VALU_DEP_1)
	v_mad_co_u64_u32 v[14:15], null, v14, s10, v[13:14]
	s_cbranch_execnz .LBB146_12
	s_branch .LBB146_16
.LBB146_15:                             ;   in Loop: Header=BB146_13 Depth=3
                                        ; implicit-def: $vgpr14
.LBB146_16:                             ;   in Loop: Header=BB146_13 Depth=3
	v_add_nc_u32_e32 v14, v16, v17
	s_branch .LBB146_12
.LBB146_17:                             ;   in Loop: Header=BB146_6 Depth=1
	s_wait_dscnt 0x3
	ds_bpermute_b32 v14, v18, v11
	s_wait_dscnt 0x3
	ds_bpermute_b32 v15, v18, v12
	;; [unrolled: 2-line block ×4, first 2 shown]
	s_wait_dscnt 0x2
	v_add_f64_e32 v[11:12], v[11:12], v[14:15]
	s_wait_dscnt 0x0
	v_add_f64_e32 v[9:10], v[9:10], v[16:17]
	ds_bpermute_b32 v14, v19, v11
	ds_bpermute_b32 v15, v19, v12
	ds_bpermute_b32 v16, v19, v9
	ds_bpermute_b32 v17, v19, v10
	s_wait_dscnt 0x2
	v_add_f64_e32 v[11:12], v[11:12], v[14:15]
	s_wait_dscnt 0x0
	v_add_f64_e32 v[14:15], v[9:10], v[16:17]
	ds_bpermute_b32 v9, v20, v11
	ds_bpermute_b32 v10, v20, v12
	ds_bpermute_b32 v16, v20, v14
	ds_bpermute_b32 v17, v20, v15
	;; [unrolled: 8-line block ×3, first 2 shown]
	s_and_saveexec_b32 s2, s1
	s_cbranch_execz .LBB146_5
; %bb.18:                               ;   in Loop: Header=BB146_6 Depth=1
	s_wait_dscnt 0x0
	v_add_f64_e32 v[11:12], v[11:12], v[16:17]
	v_add_f64_e32 v[14:15], v[9:10], v[14:15]
	s_delay_alu instid0(VALU_DEP_2) | instskip(SKIP_1) | instid1(VALU_DEP_2)
	v_mul_f64_e64 v[9:10], v[11:12], -v[3:4]
	v_mul_f64_e32 v[11:12], v[1:2], v[11:12]
	v_fma_f64 v[9:10], v[1:2], v[14:15], v[9:10]
	s_delay_alu instid0(VALU_DEP_2) | instskip(SKIP_1) | instid1(VALU_DEP_1)
	v_fma_f64 v[11:12], v[3:4], v[14:15], v[11:12]
	v_add_nc_u32_e32 v14, s21, v13
	v_ashrrev_i32_e32 v15, 31, v14
	s_and_saveexec_b32 s3, s20
	s_wait_alu 0xfffe
	s_xor_b32 s3, exec_lo, s3
	s_cbranch_execz .LBB146_20
; %bb.19:                               ;   in Loop: Header=BB146_6 Depth=1
	v_lshlrev_b64_e32 v[14:15], 4, v[14:15]
	s_delay_alu instid0(VALU_DEP_1) | instskip(SKIP_1) | instid1(VALU_DEP_2)
	v_add_co_u32 v14, vcc_lo, s4, v14
	s_wait_alu 0xfffd
	v_add_co_ci_u32_e64 v15, null, s5, v15, vcc_lo
	global_store_b128 v[14:15], v[9:12], off
                                        ; implicit-def: $vgpr14
                                        ; implicit-def: $vgpr9_vgpr10
.LBB146_20:                             ;   in Loop: Header=BB146_6 Depth=1
	s_wait_alu 0xfffe
	s_and_not1_saveexec_b32 s3, s3
	s_cbranch_execz .LBB146_5
; %bb.21:                               ;   in Loop: Header=BB146_6 Depth=1
	v_lshlrev_b64_e32 v[14:15], 4, v[14:15]
	s_delay_alu instid0(VALU_DEP_1) | instskip(SKIP_1) | instid1(VALU_DEP_2)
	v_add_co_u32 v23, vcc_lo, s4, v14
	s_wait_alu 0xfffd
	v_add_co_ci_u32_e64 v24, null, s5, v15, vcc_lo
	global_load_b128 v[14:17], v[23:24], off
	s_wait_loadcnt 0x0
	v_fma_f64 v[9:10], v[5:6], v[14:15], v[9:10]
	v_fma_f64 v[11:12], v[7:8], v[14:15], v[11:12]
	s_delay_alu instid0(VALU_DEP_2) | instskip(NEXT) | instid1(VALU_DEP_2)
	v_fma_f64 v[9:10], -v[7:8], v[16:17], v[9:10]
	v_fma_f64 v[11:12], v[5:6], v[16:17], v[11:12]
	global_store_b128 v[23:24], v[9:12], off
	s_branch .LBB146_5
.LBB146_22:
	s_endpgm
	.section	.rodata,"a",@progbits
	.p2align	6, 0x0
	.amdhsa_kernel _ZN9rocsparseL23gebsrmvn_general_kernelILj64ELj16E21rocsparse_complex_numIdEEEvi20rocsparse_direction_NS_24const_host_device_scalarIT1_EEPKiS8_PKS5_iiSA_S6_PS5_21rocsparse_index_base_b
		.amdhsa_group_segment_fixed_size 0
		.amdhsa_private_segment_fixed_size 0
		.amdhsa_kernarg_size 96
		.amdhsa_user_sgpr_count 2
		.amdhsa_user_sgpr_dispatch_ptr 0
		.amdhsa_user_sgpr_queue_ptr 0
		.amdhsa_user_sgpr_kernarg_segment_ptr 1
		.amdhsa_user_sgpr_dispatch_id 0
		.amdhsa_user_sgpr_private_segment_size 0
		.amdhsa_wavefront_size32 1
		.amdhsa_uses_dynamic_stack 0
		.amdhsa_enable_private_segment 0
		.amdhsa_system_sgpr_workgroup_id_x 1
		.amdhsa_system_sgpr_workgroup_id_y 0
		.amdhsa_system_sgpr_workgroup_id_z 0
		.amdhsa_system_sgpr_workgroup_info 0
		.amdhsa_system_vgpr_workitem_id 0
		.amdhsa_next_free_vgpr 31
		.amdhsa_next_free_sgpr 28
		.amdhsa_reserve_vcc 1
		.amdhsa_float_round_mode_32 0
		.amdhsa_float_round_mode_16_64 0
		.amdhsa_float_denorm_mode_32 3
		.amdhsa_float_denorm_mode_16_64 3
		.amdhsa_fp16_overflow 0
		.amdhsa_workgroup_processor_mode 1
		.amdhsa_memory_ordered 1
		.amdhsa_forward_progress 1
		.amdhsa_inst_pref_size 11
		.amdhsa_round_robin_scheduling 0
		.amdhsa_exception_fp_ieee_invalid_op 0
		.amdhsa_exception_fp_denorm_src 0
		.amdhsa_exception_fp_ieee_div_zero 0
		.amdhsa_exception_fp_ieee_overflow 0
		.amdhsa_exception_fp_ieee_underflow 0
		.amdhsa_exception_fp_ieee_inexact 0
		.amdhsa_exception_int_div_zero 0
	.end_amdhsa_kernel
	.section	.text._ZN9rocsparseL23gebsrmvn_general_kernelILj64ELj16E21rocsparse_complex_numIdEEEvi20rocsparse_direction_NS_24const_host_device_scalarIT1_EEPKiS8_PKS5_iiSA_S6_PS5_21rocsparse_index_base_b,"axG",@progbits,_ZN9rocsparseL23gebsrmvn_general_kernelILj64ELj16E21rocsparse_complex_numIdEEEvi20rocsparse_direction_NS_24const_host_device_scalarIT1_EEPKiS8_PKS5_iiSA_S6_PS5_21rocsparse_index_base_b,comdat
.Lfunc_end146:
	.size	_ZN9rocsparseL23gebsrmvn_general_kernelILj64ELj16E21rocsparse_complex_numIdEEEvi20rocsparse_direction_NS_24const_host_device_scalarIT1_EEPKiS8_PKS5_iiSA_S6_PS5_21rocsparse_index_base_b, .Lfunc_end146-_ZN9rocsparseL23gebsrmvn_general_kernelILj64ELj16E21rocsparse_complex_numIdEEEvi20rocsparse_direction_NS_24const_host_device_scalarIT1_EEPKiS8_PKS5_iiSA_S6_PS5_21rocsparse_index_base_b
                                        ; -- End function
	.set _ZN9rocsparseL23gebsrmvn_general_kernelILj64ELj16E21rocsparse_complex_numIdEEEvi20rocsparse_direction_NS_24const_host_device_scalarIT1_EEPKiS8_PKS5_iiSA_S6_PS5_21rocsparse_index_base_b.num_vgpr, 31
	.set _ZN9rocsparseL23gebsrmvn_general_kernelILj64ELj16E21rocsparse_complex_numIdEEEvi20rocsparse_direction_NS_24const_host_device_scalarIT1_EEPKiS8_PKS5_iiSA_S6_PS5_21rocsparse_index_base_b.num_agpr, 0
	.set _ZN9rocsparseL23gebsrmvn_general_kernelILj64ELj16E21rocsparse_complex_numIdEEEvi20rocsparse_direction_NS_24const_host_device_scalarIT1_EEPKiS8_PKS5_iiSA_S6_PS5_21rocsparse_index_base_b.numbered_sgpr, 28
	.set _ZN9rocsparseL23gebsrmvn_general_kernelILj64ELj16E21rocsparse_complex_numIdEEEvi20rocsparse_direction_NS_24const_host_device_scalarIT1_EEPKiS8_PKS5_iiSA_S6_PS5_21rocsparse_index_base_b.num_named_barrier, 0
	.set _ZN9rocsparseL23gebsrmvn_general_kernelILj64ELj16E21rocsparse_complex_numIdEEEvi20rocsparse_direction_NS_24const_host_device_scalarIT1_EEPKiS8_PKS5_iiSA_S6_PS5_21rocsparse_index_base_b.private_seg_size, 0
	.set _ZN9rocsparseL23gebsrmvn_general_kernelILj64ELj16E21rocsparse_complex_numIdEEEvi20rocsparse_direction_NS_24const_host_device_scalarIT1_EEPKiS8_PKS5_iiSA_S6_PS5_21rocsparse_index_base_b.uses_vcc, 1
	.set _ZN9rocsparseL23gebsrmvn_general_kernelILj64ELj16E21rocsparse_complex_numIdEEEvi20rocsparse_direction_NS_24const_host_device_scalarIT1_EEPKiS8_PKS5_iiSA_S6_PS5_21rocsparse_index_base_b.uses_flat_scratch, 0
	.set _ZN9rocsparseL23gebsrmvn_general_kernelILj64ELj16E21rocsparse_complex_numIdEEEvi20rocsparse_direction_NS_24const_host_device_scalarIT1_EEPKiS8_PKS5_iiSA_S6_PS5_21rocsparse_index_base_b.has_dyn_sized_stack, 0
	.set _ZN9rocsparseL23gebsrmvn_general_kernelILj64ELj16E21rocsparse_complex_numIdEEEvi20rocsparse_direction_NS_24const_host_device_scalarIT1_EEPKiS8_PKS5_iiSA_S6_PS5_21rocsparse_index_base_b.has_recursion, 0
	.set _ZN9rocsparseL23gebsrmvn_general_kernelILj64ELj16E21rocsparse_complex_numIdEEEvi20rocsparse_direction_NS_24const_host_device_scalarIT1_EEPKiS8_PKS5_iiSA_S6_PS5_21rocsparse_index_base_b.has_indirect_call, 0
	.section	.AMDGPU.csdata,"",@progbits
; Kernel info:
; codeLenInByte = 1372
; TotalNumSgprs: 30
; NumVgprs: 31
; ScratchSize: 0
; MemoryBound: 0
; FloatMode: 240
; IeeeMode: 1
; LDSByteSize: 0 bytes/workgroup (compile time only)
; SGPRBlocks: 0
; VGPRBlocks: 3
; NumSGPRsForWavesPerEU: 30
; NumVGPRsForWavesPerEU: 31
; Occupancy: 16
; WaveLimiterHint : 1
; COMPUTE_PGM_RSRC2:SCRATCH_EN: 0
; COMPUTE_PGM_RSRC2:USER_SGPR: 2
; COMPUTE_PGM_RSRC2:TRAP_HANDLER: 0
; COMPUTE_PGM_RSRC2:TGID_X_EN: 1
; COMPUTE_PGM_RSRC2:TGID_Y_EN: 0
; COMPUTE_PGM_RSRC2:TGID_Z_EN: 0
; COMPUTE_PGM_RSRC2:TIDIG_COMP_CNT: 0
	.section	.text._ZN9rocsparseL23gebsrmvn_general_kernelILj128ELj32E21rocsparse_complex_numIdEEEvi20rocsparse_direction_NS_24const_host_device_scalarIT1_EEPKiS8_PKS5_iiSA_S6_PS5_21rocsparse_index_base_b,"axG",@progbits,_ZN9rocsparseL23gebsrmvn_general_kernelILj128ELj32E21rocsparse_complex_numIdEEEvi20rocsparse_direction_NS_24const_host_device_scalarIT1_EEPKiS8_PKS5_iiSA_S6_PS5_21rocsparse_index_base_b,comdat
	.globl	_ZN9rocsparseL23gebsrmvn_general_kernelILj128ELj32E21rocsparse_complex_numIdEEEvi20rocsparse_direction_NS_24const_host_device_scalarIT1_EEPKiS8_PKS5_iiSA_S6_PS5_21rocsparse_index_base_b ; -- Begin function _ZN9rocsparseL23gebsrmvn_general_kernelILj128ELj32E21rocsparse_complex_numIdEEEvi20rocsparse_direction_NS_24const_host_device_scalarIT1_EEPKiS8_PKS5_iiSA_S6_PS5_21rocsparse_index_base_b
	.p2align	8
	.type	_ZN9rocsparseL23gebsrmvn_general_kernelILj128ELj32E21rocsparse_complex_numIdEEEvi20rocsparse_direction_NS_24const_host_device_scalarIT1_EEPKiS8_PKS5_iiSA_S6_PS5_21rocsparse_index_base_b,@function
_ZN9rocsparseL23gebsrmvn_general_kernelILj128ELj32E21rocsparse_complex_numIdEEEvi20rocsparse_direction_NS_24const_host_device_scalarIT1_EEPKiS8_PKS5_iiSA_S6_PS5_21rocsparse_index_base_b: ; @_ZN9rocsparseL23gebsrmvn_general_kernelILj128ELj32E21rocsparse_complex_numIdEEEvi20rocsparse_direction_NS_24const_host_device_scalarIT1_EEPKiS8_PKS5_iiSA_S6_PS5_21rocsparse_index_base_b
; %bb.0:
	s_clause 0x1
	s_load_b64 s[8:9], s[0:1], 0x58
	s_load_b64 s[2:3], s[0:1], 0x8
	s_add_nc_u64 s[4:5], s[0:1], 8
	s_load_b64 s[6:7], s[0:1], 0x40
	s_wait_kmcnt 0x0
	s_bitcmp1_b32 s9, 0
	s_cselect_b32 s2, s4, s2
	s_cselect_b32 s3, s5, s3
	s_delay_alu instid0(SALU_CYCLE_1)
	v_dual_mov_b32 v1, s2 :: v_dual_mov_b32 v2, s3
	s_add_nc_u64 s[2:3], s[0:1], 64
	s_wait_alu 0xfffe
	s_cselect_b32 s2, s2, s6
	s_cselect_b32 s3, s3, s7
	flat_load_b128 v[1:4], v[1:2]
	s_wait_alu 0xfffe
	v_dual_mov_b32 v5, s2 :: v_dual_mov_b32 v6, s3
	flat_load_b128 v[5:8], v[5:6]
	s_wait_loadcnt_dscnt 0x101
	v_cmp_eq_f64_e32 vcc_lo, 0, v[1:2]
	v_cmp_eq_f64_e64 s2, 0, v[3:4]
	s_and_b32 s4, vcc_lo, s2
	s_mov_b32 s2, -1
	s_and_saveexec_b32 s3, s4
	s_cbranch_execz .LBB147_2
; %bb.1:
	s_wait_loadcnt_dscnt 0x0
	v_cmp_neq_f64_e32 vcc_lo, 1.0, v[5:6]
	v_cmp_neq_f64_e64 s2, 0, v[7:8]
	s_wait_alu 0xfffe
	s_or_b32 s2, vcc_lo, s2
	s_wait_alu 0xfffe
	s_or_not1_b32 s2, s2, exec_lo
.LBB147_2:
	s_wait_alu 0xfffe
	s_or_b32 exec_lo, exec_lo, s3
	s_and_saveexec_b32 s3, s2
	s_cbranch_execz .LBB147_22
; %bb.3:
	s_load_b64 s[10:11], s[0:1], 0x30
	v_lshrrev_b32_e32 v13, 5, v0
	s_wait_kmcnt 0x0
	s_delay_alu instid0(VALU_DEP_1)
	v_cmp_gt_i32_e32 vcc_lo, s10, v13
	s_and_b32 exec_lo, exec_lo, vcc_lo
	s_cbranch_execz .LBB147_22
; %bb.4:
	s_clause 0x1
	s_load_b128 s[4:7], s[0:1], 0x18
	s_load_b32 s20, s[0:1], 0x4
	v_mbcnt_lo_u32_b32 v11, -1, 0
	s_mov_b32 s2, ttmp9
	s_ashr_i32 s3, ttmp9, 31
	s_wait_loadcnt_dscnt 0x0
	v_cmp_eq_f64_e32 vcc_lo, 0, v[5:6]
	s_wait_alu 0xfffe
	s_lshl_b64 s[2:3], s[2:3], 2
	v_xor_b32_e32 v9, 16, v11
	v_xor_b32_e32 v10, 8, v11
	;; [unrolled: 1-line block ×5, first 2 shown]
	v_and_b32_e32 v0, 31, v0
	s_mov_b32 s9, 0
	s_mul_i32 s21, s10, ttmp9
	s_mul_i32 s23, s11, s10
	s_wait_kmcnt 0x0
	s_wait_alu 0xfffe
	s_add_nc_u64 s[4:5], s[4:5], s[2:3]
	v_cmp_eq_f64_e64 s2, 0, v[7:8]
	s_load_b64 s[18:19], s[4:5], 0x0
	s_clause 0x2
	s_load_b64 s[4:5], s[0:1], 0x50
	s_load_b64 s[12:13], s[0:1], 0x28
	;; [unrolled: 1-line block ×3, first 2 shown]
	v_cmp_gt_i32_e64 s1, 32, v9
	v_cmp_gt_i32_e64 s0, s11, v0
	s_delay_alu instid0(VALU_DEP_2) | instskip(SKIP_1) | instid1(VALU_DEP_2)
	v_cndmask_b32_e64 v16, v11, v9, s1
	v_cmp_gt_i32_e64 s1, 32, v10
	v_lshlrev_b32_e32 v18, 2, v16
	s_wait_alu 0xf1ff
	s_delay_alu instid0(VALU_DEP_2) | instskip(SKIP_1) | instid1(VALU_DEP_2)
	v_cndmask_b32_e64 v17, v11, v10, s1
	v_cmp_gt_i32_e64 s1, 32, v12
	v_lshlrev_b32_e32 v19, 2, v17
	s_wait_alu 0xf1ff
	s_delay_alu instid0(VALU_DEP_2)
	v_cndmask_b32_e64 v12, v11, v12, s1
	v_cmp_gt_i32_e64 s1, 32, v14
	s_wait_kmcnt 0x0
	s_sub_co_i32 s16, s18, s8
	s_sub_co_i32 s17, s19, s8
	s_cmp_lt_i32 s18, s19
	v_lshlrev_b32_e32 v20, 2, v12
	s_wait_alu 0xf1ff
	v_cndmask_b32_e64 v14, v11, v14, s1
	v_cmp_gt_i32_e64 s1, 32, v15
	s_cselect_b32 s18, -1, 0
	s_cmp_lg_u32 s20, 0
	v_mad_co_u64_u32 v[9:10], null, s10, s16, v[13:14]
	s_wait_alu 0xf1ff
	v_cndmask_b32_e64 v10, v11, v15, s1
	v_lshlrev_b32_e32 v21, 2, v14
	v_cmp_eq_u32_e64 s1, 31, v0
	s_cselect_b32 s19, -1, 0
	s_lshl_b32 s22, s11, 2
	v_lshlrev_b32_e32 v22, 2, v10
	v_mul_lo_u32 v23, s11, v9
	s_and_b32 s20, vcc_lo, s2
	s_branch .LBB147_6
.LBB147_5:                              ;   in Loop: Header=BB147_6 Depth=1
	s_wait_alu 0xfffe
	s_or_b32 exec_lo, exec_lo, s2
	v_add_nc_u32_e32 v13, 4, v13
	v_add_nc_u32_e32 v23, s22, v23
	s_delay_alu instid0(VALU_DEP_2) | instskip(SKIP_1) | instid1(SALU_CYCLE_1)
	v_cmp_le_i32_e32 vcc_lo, s10, v13
	s_or_b32 s9, vcc_lo, s9
	s_and_not1_b32 exec_lo, exec_lo, s9
	s_cbranch_execz .LBB147_22
.LBB147_6:                              ; =>This Loop Header: Depth=1
                                        ;     Child Loop BB147_10 Depth 2
                                        ;       Child Loop BB147_13 Depth 3
	v_mov_b32_e32 v9, 0
	v_dual_mov_b32 v10, 0 :: v_dual_mov_b32 v11, 0
	v_mov_b32_e32 v12, 0
	s_and_not1_b32 vcc_lo, exec_lo, s18
	s_wait_alu 0xfffe
	s_cbranch_vccnz .LBB147_17
; %bb.7:                                ;   in Loop: Header=BB147_6 Depth=1
	v_mov_b32_e32 v9, 0
	v_dual_mov_b32 v10, 0 :: v_dual_mov_b32 v11, 0
	v_mov_b32_e32 v12, 0
	s_wait_dscnt 0x1
	v_mov_b32_e32 v16, v23
	s_mov_b32 s2, s16
	s_branch .LBB147_10
.LBB147_8:                              ;   in Loop: Header=BB147_10 Depth=2
	s_or_b32 exec_lo, exec_lo, s25
.LBB147_9:                              ;   in Loop: Header=BB147_10 Depth=2
	s_delay_alu instid0(SALU_CYCLE_1)
	s_or_b32 exec_lo, exec_lo, s24
	v_add_nc_u32_e32 v16, s23, v16
	s_wait_alu 0xfffe
	s_add_co_i32 s2, s2, 1
	s_wait_alu 0xfffe
	s_cmp_ge_i32 s2, s17
	s_cbranch_scc1 .LBB147_17
.LBB147_10:                             ;   Parent Loop BB147_6 Depth=1
                                        ; =>  This Loop Header: Depth=2
                                        ;       Child Loop BB147_13 Depth 3
	s_and_saveexec_b32 s24, s0
	s_cbranch_execz .LBB147_9
; %bb.11:                               ;   in Loop: Header=BB147_10 Depth=2
	s_wait_alu 0xfffe
	s_ashr_i32 s3, s2, 31
	s_wait_dscnt 0x0
	v_mov_b32_e32 v17, v0
	s_wait_alu 0xfffe
	s_lshl_b64 s[26:27], s[2:3], 2
	s_mov_b32 s25, 0
	s_wait_alu 0xfffe
	s_add_nc_u64 s[26:27], s[6:7], s[26:27]
	s_load_b32 s3, s[26:27], 0x0
	s_wait_kmcnt 0x0
	s_sub_co_i32 s26, s3, s8
	s_mul_i32 s3, s2, s11
	s_wait_alu 0xfffe
	s_mul_i32 s26, s26, s11
	s_branch .LBB147_13
.LBB147_12:                             ;   in Loop: Header=BB147_13 Depth=3
	v_add_nc_u32_e32 v24, s26, v17
	s_delay_alu instid0(VALU_DEP_2) | instskip(SKIP_1) | instid1(VALU_DEP_3)
	v_ashrrev_i32_e32 v15, 31, v14
	v_add_nc_u32_e32 v17, 32, v17
	v_ashrrev_i32_e32 v25, 31, v24
	s_delay_alu instid0(VALU_DEP_3) | instskip(NEXT) | instid1(VALU_DEP_2)
	v_lshlrev_b64_e32 v[14:15], 4, v[14:15]
	v_lshlrev_b64_e32 v[24:25], 4, v[24:25]
	s_delay_alu instid0(VALU_DEP_2) | instskip(SKIP_1) | instid1(VALU_DEP_3)
	v_add_co_u32 v14, vcc_lo, s12, v14
	s_wait_alu 0xfffd
	v_add_co_ci_u32_e64 v15, null, s13, v15, vcc_lo
	s_delay_alu instid0(VALU_DEP_3)
	v_add_co_u32 v28, vcc_lo, s14, v24
	s_wait_alu 0xfffd
	v_add_co_ci_u32_e64 v29, null, s15, v25, vcc_lo
	v_cmp_le_i32_e32 vcc_lo, s11, v17
	global_load_b128 v[24:27], v[14:15], off
	global_load_b128 v[28:31], v[28:29], off
	s_or_b32 s25, vcc_lo, s25
	s_wait_loadcnt 0x0
	v_fma_f64 v[11:12], v[24:25], v[28:29], v[11:12]
	v_fma_f64 v[9:10], v[26:27], v[28:29], v[9:10]
	s_delay_alu instid0(VALU_DEP_2) | instskip(NEXT) | instid1(VALU_DEP_2)
	v_fma_f64 v[11:12], -v[26:27], v[30:31], v[11:12]
	v_fma_f64 v[9:10], v[24:25], v[30:31], v[9:10]
	s_and_not1_b32 exec_lo, exec_lo, s25
	s_cbranch_execz .LBB147_8
.LBB147_13:                             ;   Parent Loop BB147_6 Depth=1
                                        ;     Parent Loop BB147_10 Depth=2
                                        ; =>    This Inner Loop Header: Depth=3
	s_and_b32 vcc_lo, exec_lo, s19
	s_wait_alu 0xfffe
	s_cbranch_vccz .LBB147_15
; %bb.14:                               ;   in Loop: Header=BB147_13 Depth=3
	v_add_nc_u32_e32 v14, s3, v17
	s_delay_alu instid0(VALU_DEP_1)
	v_mad_co_u64_u32 v[14:15], null, v14, s10, v[13:14]
	s_cbranch_execnz .LBB147_12
	s_branch .LBB147_16
.LBB147_15:                             ;   in Loop: Header=BB147_13 Depth=3
                                        ; implicit-def: $vgpr14
.LBB147_16:                             ;   in Loop: Header=BB147_13 Depth=3
	v_add_nc_u32_e32 v14, v16, v17
	s_branch .LBB147_12
.LBB147_17:                             ;   in Loop: Header=BB147_6 Depth=1
	s_wait_dscnt 0x3
	ds_bpermute_b32 v14, v18, v11
	s_wait_dscnt 0x3
	ds_bpermute_b32 v15, v18, v12
	;; [unrolled: 2-line block ×4, first 2 shown]
	s_wait_dscnt 0x2
	v_add_f64_e32 v[11:12], v[11:12], v[14:15]
	s_wait_dscnt 0x0
	v_add_f64_e32 v[9:10], v[9:10], v[16:17]
	ds_bpermute_b32 v14, v19, v11
	ds_bpermute_b32 v15, v19, v12
	ds_bpermute_b32 v16, v19, v9
	ds_bpermute_b32 v17, v19, v10
	s_wait_dscnt 0x2
	v_add_f64_e32 v[11:12], v[11:12], v[14:15]
	s_wait_dscnt 0x0
	v_add_f64_e32 v[9:10], v[9:10], v[16:17]
	ds_bpermute_b32 v14, v20, v11
	ds_bpermute_b32 v15, v20, v12
	ds_bpermute_b32 v16, v20, v9
	ds_bpermute_b32 v17, v20, v10
	;; [unrolled: 8-line block ×4, first 2 shown]
	s_and_saveexec_b32 s2, s1
	s_cbranch_execz .LBB147_5
; %bb.18:                               ;   in Loop: Header=BB147_6 Depth=1
	s_wait_dscnt 0x0
	v_add_f64_e32 v[11:12], v[11:12], v[16:17]
	v_add_f64_e32 v[14:15], v[9:10], v[14:15]
	s_delay_alu instid0(VALU_DEP_2) | instskip(SKIP_1) | instid1(VALU_DEP_2)
	v_mul_f64_e64 v[9:10], v[11:12], -v[3:4]
	v_mul_f64_e32 v[11:12], v[1:2], v[11:12]
	v_fma_f64 v[9:10], v[1:2], v[14:15], v[9:10]
	s_delay_alu instid0(VALU_DEP_2) | instskip(SKIP_1) | instid1(VALU_DEP_1)
	v_fma_f64 v[11:12], v[3:4], v[14:15], v[11:12]
	v_add_nc_u32_e32 v14, s21, v13
	v_ashrrev_i32_e32 v15, 31, v14
	s_and_saveexec_b32 s3, s20
	s_wait_alu 0xfffe
	s_xor_b32 s3, exec_lo, s3
	s_cbranch_execz .LBB147_20
; %bb.19:                               ;   in Loop: Header=BB147_6 Depth=1
	v_lshlrev_b64_e32 v[14:15], 4, v[14:15]
	s_delay_alu instid0(VALU_DEP_1) | instskip(SKIP_1) | instid1(VALU_DEP_2)
	v_add_co_u32 v14, vcc_lo, s4, v14
	s_wait_alu 0xfffd
	v_add_co_ci_u32_e64 v15, null, s5, v15, vcc_lo
	global_store_b128 v[14:15], v[9:12], off
                                        ; implicit-def: $vgpr14
                                        ; implicit-def: $vgpr9_vgpr10
.LBB147_20:                             ;   in Loop: Header=BB147_6 Depth=1
	s_wait_alu 0xfffe
	s_and_not1_saveexec_b32 s3, s3
	s_cbranch_execz .LBB147_5
; %bb.21:                               ;   in Loop: Header=BB147_6 Depth=1
	v_lshlrev_b64_e32 v[14:15], 4, v[14:15]
	s_delay_alu instid0(VALU_DEP_1) | instskip(SKIP_1) | instid1(VALU_DEP_2)
	v_add_co_u32 v24, vcc_lo, s4, v14
	s_wait_alu 0xfffd
	v_add_co_ci_u32_e64 v25, null, s5, v15, vcc_lo
	global_load_b128 v[14:17], v[24:25], off
	s_wait_loadcnt 0x0
	v_fma_f64 v[9:10], v[5:6], v[14:15], v[9:10]
	v_fma_f64 v[11:12], v[7:8], v[14:15], v[11:12]
	s_delay_alu instid0(VALU_DEP_2) | instskip(NEXT) | instid1(VALU_DEP_2)
	v_fma_f64 v[9:10], -v[7:8], v[16:17], v[9:10]
	v_fma_f64 v[11:12], v[5:6], v[16:17], v[11:12]
	global_store_b128 v[24:25], v[9:12], off
	s_branch .LBB147_5
.LBB147_22:
	s_endpgm
	.section	.rodata,"a",@progbits
	.p2align	6, 0x0
	.amdhsa_kernel _ZN9rocsparseL23gebsrmvn_general_kernelILj128ELj32E21rocsparse_complex_numIdEEEvi20rocsparse_direction_NS_24const_host_device_scalarIT1_EEPKiS8_PKS5_iiSA_S6_PS5_21rocsparse_index_base_b
		.amdhsa_group_segment_fixed_size 0
		.amdhsa_private_segment_fixed_size 0
		.amdhsa_kernarg_size 96
		.amdhsa_user_sgpr_count 2
		.amdhsa_user_sgpr_dispatch_ptr 0
		.amdhsa_user_sgpr_queue_ptr 0
		.amdhsa_user_sgpr_kernarg_segment_ptr 1
		.amdhsa_user_sgpr_dispatch_id 0
		.amdhsa_user_sgpr_private_segment_size 0
		.amdhsa_wavefront_size32 1
		.amdhsa_uses_dynamic_stack 0
		.amdhsa_enable_private_segment 0
		.amdhsa_system_sgpr_workgroup_id_x 1
		.amdhsa_system_sgpr_workgroup_id_y 0
		.amdhsa_system_sgpr_workgroup_id_z 0
		.amdhsa_system_sgpr_workgroup_info 0
		.amdhsa_system_vgpr_workitem_id 0
		.amdhsa_next_free_vgpr 32
		.amdhsa_next_free_sgpr 28
		.amdhsa_reserve_vcc 1
		.amdhsa_float_round_mode_32 0
		.amdhsa_float_round_mode_16_64 0
		.amdhsa_float_denorm_mode_32 3
		.amdhsa_float_denorm_mode_16_64 3
		.amdhsa_fp16_overflow 0
		.amdhsa_workgroup_processor_mode 1
		.amdhsa_memory_ordered 1
		.amdhsa_forward_progress 1
		.amdhsa_inst_pref_size 12
		.amdhsa_round_robin_scheduling 0
		.amdhsa_exception_fp_ieee_invalid_op 0
		.amdhsa_exception_fp_denorm_src 0
		.amdhsa_exception_fp_ieee_div_zero 0
		.amdhsa_exception_fp_ieee_overflow 0
		.amdhsa_exception_fp_ieee_underflow 0
		.amdhsa_exception_fp_ieee_inexact 0
		.amdhsa_exception_int_div_zero 0
	.end_amdhsa_kernel
	.section	.text._ZN9rocsparseL23gebsrmvn_general_kernelILj128ELj32E21rocsparse_complex_numIdEEEvi20rocsparse_direction_NS_24const_host_device_scalarIT1_EEPKiS8_PKS5_iiSA_S6_PS5_21rocsparse_index_base_b,"axG",@progbits,_ZN9rocsparseL23gebsrmvn_general_kernelILj128ELj32E21rocsparse_complex_numIdEEEvi20rocsparse_direction_NS_24const_host_device_scalarIT1_EEPKiS8_PKS5_iiSA_S6_PS5_21rocsparse_index_base_b,comdat
.Lfunc_end147:
	.size	_ZN9rocsparseL23gebsrmvn_general_kernelILj128ELj32E21rocsparse_complex_numIdEEEvi20rocsparse_direction_NS_24const_host_device_scalarIT1_EEPKiS8_PKS5_iiSA_S6_PS5_21rocsparse_index_base_b, .Lfunc_end147-_ZN9rocsparseL23gebsrmvn_general_kernelILj128ELj32E21rocsparse_complex_numIdEEEvi20rocsparse_direction_NS_24const_host_device_scalarIT1_EEPKiS8_PKS5_iiSA_S6_PS5_21rocsparse_index_base_b
                                        ; -- End function
	.set _ZN9rocsparseL23gebsrmvn_general_kernelILj128ELj32E21rocsparse_complex_numIdEEEvi20rocsparse_direction_NS_24const_host_device_scalarIT1_EEPKiS8_PKS5_iiSA_S6_PS5_21rocsparse_index_base_b.num_vgpr, 32
	.set _ZN9rocsparseL23gebsrmvn_general_kernelILj128ELj32E21rocsparse_complex_numIdEEEvi20rocsparse_direction_NS_24const_host_device_scalarIT1_EEPKiS8_PKS5_iiSA_S6_PS5_21rocsparse_index_base_b.num_agpr, 0
	.set _ZN9rocsparseL23gebsrmvn_general_kernelILj128ELj32E21rocsparse_complex_numIdEEEvi20rocsparse_direction_NS_24const_host_device_scalarIT1_EEPKiS8_PKS5_iiSA_S6_PS5_21rocsparse_index_base_b.numbered_sgpr, 28
	.set _ZN9rocsparseL23gebsrmvn_general_kernelILj128ELj32E21rocsparse_complex_numIdEEEvi20rocsparse_direction_NS_24const_host_device_scalarIT1_EEPKiS8_PKS5_iiSA_S6_PS5_21rocsparse_index_base_b.num_named_barrier, 0
	.set _ZN9rocsparseL23gebsrmvn_general_kernelILj128ELj32E21rocsparse_complex_numIdEEEvi20rocsparse_direction_NS_24const_host_device_scalarIT1_EEPKiS8_PKS5_iiSA_S6_PS5_21rocsparse_index_base_b.private_seg_size, 0
	.set _ZN9rocsparseL23gebsrmvn_general_kernelILj128ELj32E21rocsparse_complex_numIdEEEvi20rocsparse_direction_NS_24const_host_device_scalarIT1_EEPKiS8_PKS5_iiSA_S6_PS5_21rocsparse_index_base_b.uses_vcc, 1
	.set _ZN9rocsparseL23gebsrmvn_general_kernelILj128ELj32E21rocsparse_complex_numIdEEEvi20rocsparse_direction_NS_24const_host_device_scalarIT1_EEPKiS8_PKS5_iiSA_S6_PS5_21rocsparse_index_base_b.uses_flat_scratch, 0
	.set _ZN9rocsparseL23gebsrmvn_general_kernelILj128ELj32E21rocsparse_complex_numIdEEEvi20rocsparse_direction_NS_24const_host_device_scalarIT1_EEPKiS8_PKS5_iiSA_S6_PS5_21rocsparse_index_base_b.has_dyn_sized_stack, 0
	.set _ZN9rocsparseL23gebsrmvn_general_kernelILj128ELj32E21rocsparse_complex_numIdEEEvi20rocsparse_direction_NS_24const_host_device_scalarIT1_EEPKiS8_PKS5_iiSA_S6_PS5_21rocsparse_index_base_b.has_recursion, 0
	.set _ZN9rocsparseL23gebsrmvn_general_kernelILj128ELj32E21rocsparse_complex_numIdEEEvi20rocsparse_direction_NS_24const_host_device_scalarIT1_EEPKiS8_PKS5_iiSA_S6_PS5_21rocsparse_index_base_b.has_indirect_call, 0
	.section	.AMDGPU.csdata,"",@progbits
; Kernel info:
; codeLenInByte = 1452
; TotalNumSgprs: 30
; NumVgprs: 32
; ScratchSize: 0
; MemoryBound: 0
; FloatMode: 240
; IeeeMode: 1
; LDSByteSize: 0 bytes/workgroup (compile time only)
; SGPRBlocks: 0
; VGPRBlocks: 3
; NumSGPRsForWavesPerEU: 30
; NumVGPRsForWavesPerEU: 32
; Occupancy: 16
; WaveLimiterHint : 1
; COMPUTE_PGM_RSRC2:SCRATCH_EN: 0
; COMPUTE_PGM_RSRC2:USER_SGPR: 2
; COMPUTE_PGM_RSRC2:TRAP_HANDLER: 0
; COMPUTE_PGM_RSRC2:TGID_X_EN: 1
; COMPUTE_PGM_RSRC2:TGID_Y_EN: 0
; COMPUTE_PGM_RSRC2:TGID_Z_EN: 0
; COMPUTE_PGM_RSRC2:TIDIG_COMP_CNT: 0
	.section	.AMDGPU.gpr_maximums,"",@progbits
	.set amdgpu.max_num_vgpr, 0
	.set amdgpu.max_num_agpr, 0
	.set amdgpu.max_num_sgpr, 0
	.section	.AMDGPU.csdata,"",@progbits
	.type	__hip_cuid_ca708240634c5ccb,@object ; @__hip_cuid_ca708240634c5ccb
	.section	.bss,"aw",@nobits
	.globl	__hip_cuid_ca708240634c5ccb
__hip_cuid_ca708240634c5ccb:
	.byte	0                               ; 0x0
	.size	__hip_cuid_ca708240634c5ccb, 1

	.ident	"AMD clang version 22.0.0git (https://github.com/RadeonOpenCompute/llvm-project roc-7.2.4 26084 f58b06dce1f9c15707c5f808fd002e18c2accf7e)"
	.section	".note.GNU-stack","",@progbits
	.addrsig
	.addrsig_sym __hip_cuid_ca708240634c5ccb
	.amdgpu_metadata
---
amdhsa.kernels:
  - .args:
      - .offset:         0
        .size:           4
        .value_kind:     by_value
      - .offset:         4
        .size:           4
        .value_kind:     by_value
      - .offset:         8
        .size:           8
        .value_kind:     by_value
      - .actual_access:  read_only
        .address_space:  global
        .offset:         16
        .size:           8
        .value_kind:     global_buffer
      - .actual_access:  read_only
        .address_space:  global
        .offset:         24
        .size:           8
        .value_kind:     global_buffer
      - .actual_access:  read_only
        .address_space:  global
        .offset:         32
        .size:           8
        .value_kind:     global_buffer
      - .actual_access:  read_only
        .address_space:  global
        .offset:         40
        .size:           8
        .value_kind:     global_buffer
      - .offset:         48
        .size:           8
        .value_kind:     by_value
      - .address_space:  global
        .offset:         56
        .size:           8
        .value_kind:     global_buffer
      - .offset:         64
        .size:           4
        .value_kind:     by_value
      - .offset:         68
        .size:           1
        .value_kind:     by_value
    .group_segment_fixed_size: 0
    .kernarg_segment_align: 8
    .kernarg_segment_size: 72
    .language:       OpenCL C
    .language_version:
      - 2
      - 0
    .max_flat_workgroup_size: 128
    .name:           _ZN9rocsparseL19gebsrmvn_4xn_kernelILj128ELj1ELj4EfEEvi20rocsparse_direction_NS_24const_host_device_scalarIT2_EEPKiS6_PKS3_S8_S4_PS3_21rocsparse_index_base_b
    .private_segment_fixed_size: 0
    .sgpr_count:     20
    .sgpr_spill_count: 0
    .symbol:         _ZN9rocsparseL19gebsrmvn_4xn_kernelILj128ELj1ELj4EfEEvi20rocsparse_direction_NS_24const_host_device_scalarIT2_EEPKiS6_PKS3_S8_S4_PS3_21rocsparse_index_base_b.kd
    .uniform_work_group_size: 1
    .uses_dynamic_stack: false
    .vgpr_count:     20
    .vgpr_spill_count: 0
    .wavefront_size: 32
    .workgroup_processor_mode: 1
  - .args:
      - .offset:         0
        .size:           4
        .value_kind:     by_value
      - .offset:         4
        .size:           4
        .value_kind:     by_value
      - .offset:         8
        .size:           8
        .value_kind:     by_value
      - .actual_access:  read_only
        .address_space:  global
        .offset:         16
        .size:           8
        .value_kind:     global_buffer
      - .actual_access:  read_only
        .address_space:  global
        .offset:         24
        .size:           8
        .value_kind:     global_buffer
      - .actual_access:  read_only
        .address_space:  global
        .offset:         32
        .size:           8
        .value_kind:     global_buffer
      - .actual_access:  read_only
        .address_space:  global
        .offset:         40
        .size:           8
        .value_kind:     global_buffer
      - .offset:         48
        .size:           8
        .value_kind:     by_value
      - .address_space:  global
        .offset:         56
        .size:           8
        .value_kind:     global_buffer
      - .offset:         64
        .size:           4
        .value_kind:     by_value
      - .offset:         68
        .size:           1
        .value_kind:     by_value
    .group_segment_fixed_size: 0
    .kernarg_segment_align: 8
    .kernarg_segment_size: 72
    .language:       OpenCL C
    .language_version:
      - 2
      - 0
    .max_flat_workgroup_size: 128
    .name:           _ZN9rocsparseL19gebsrmvn_4xn_kernelILj128ELj1ELj8EfEEvi20rocsparse_direction_NS_24const_host_device_scalarIT2_EEPKiS6_PKS3_S8_S4_PS3_21rocsparse_index_base_b
    .private_segment_fixed_size: 0
    .sgpr_count:     20
    .sgpr_spill_count: 0
    .symbol:         _ZN9rocsparseL19gebsrmvn_4xn_kernelILj128ELj1ELj8EfEEvi20rocsparse_direction_NS_24const_host_device_scalarIT2_EEPKiS6_PKS3_S8_S4_PS3_21rocsparse_index_base_b.kd
    .uniform_work_group_size: 1
    .uses_dynamic_stack: false
    .vgpr_count:     20
    .vgpr_spill_count: 0
    .wavefront_size: 32
    .workgroup_processor_mode: 1
  - .args:
      - .offset:         0
        .size:           4
        .value_kind:     by_value
      - .offset:         4
        .size:           4
        .value_kind:     by_value
      - .offset:         8
        .size:           8
        .value_kind:     by_value
      - .actual_access:  read_only
        .address_space:  global
        .offset:         16
        .size:           8
        .value_kind:     global_buffer
      - .actual_access:  read_only
        .address_space:  global
        .offset:         24
        .size:           8
        .value_kind:     global_buffer
      - .actual_access:  read_only
        .address_space:  global
        .offset:         32
        .size:           8
        .value_kind:     global_buffer
      - .actual_access:  read_only
        .address_space:  global
        .offset:         40
        .size:           8
        .value_kind:     global_buffer
      - .offset:         48
        .size:           8
        .value_kind:     by_value
      - .address_space:  global
        .offset:         56
        .size:           8
        .value_kind:     global_buffer
      - .offset:         64
        .size:           4
        .value_kind:     by_value
      - .offset:         68
        .size:           1
        .value_kind:     by_value
    .group_segment_fixed_size: 0
    .kernarg_segment_align: 8
    .kernarg_segment_size: 72
    .language:       OpenCL C
    .language_version:
      - 2
      - 0
    .max_flat_workgroup_size: 128
    .name:           _ZN9rocsparseL19gebsrmvn_4xn_kernelILj128ELj1ELj16EfEEvi20rocsparse_direction_NS_24const_host_device_scalarIT2_EEPKiS6_PKS3_S8_S4_PS3_21rocsparse_index_base_b
    .private_segment_fixed_size: 0
    .sgpr_count:     20
    .sgpr_spill_count: 0
    .symbol:         _ZN9rocsparseL19gebsrmvn_4xn_kernelILj128ELj1ELj16EfEEvi20rocsparse_direction_NS_24const_host_device_scalarIT2_EEPKiS6_PKS3_S8_S4_PS3_21rocsparse_index_base_b.kd
    .uniform_work_group_size: 1
    .uses_dynamic_stack: false
    .vgpr_count:     20
    .vgpr_spill_count: 0
    .wavefront_size: 32
    .workgroup_processor_mode: 1
  - .args:
      - .offset:         0
        .size:           4
        .value_kind:     by_value
      - .offset:         4
        .size:           4
        .value_kind:     by_value
      - .offset:         8
        .size:           8
        .value_kind:     by_value
      - .actual_access:  read_only
        .address_space:  global
        .offset:         16
        .size:           8
        .value_kind:     global_buffer
      - .actual_access:  read_only
        .address_space:  global
        .offset:         24
        .size:           8
        .value_kind:     global_buffer
      - .actual_access:  read_only
        .address_space:  global
        .offset:         32
        .size:           8
        .value_kind:     global_buffer
      - .actual_access:  read_only
        .address_space:  global
        .offset:         40
        .size:           8
        .value_kind:     global_buffer
      - .offset:         48
        .size:           8
        .value_kind:     by_value
      - .address_space:  global
        .offset:         56
        .size:           8
        .value_kind:     global_buffer
      - .offset:         64
        .size:           4
        .value_kind:     by_value
      - .offset:         68
        .size:           1
        .value_kind:     by_value
    .group_segment_fixed_size: 0
    .kernarg_segment_align: 8
    .kernarg_segment_size: 72
    .language:       OpenCL C
    .language_version:
      - 2
      - 0
    .max_flat_workgroup_size: 128
    .name:           _ZN9rocsparseL19gebsrmvn_4xn_kernelILj128ELj1ELj32EfEEvi20rocsparse_direction_NS_24const_host_device_scalarIT2_EEPKiS6_PKS3_S8_S4_PS3_21rocsparse_index_base_b
    .private_segment_fixed_size: 0
    .sgpr_count:     20
    .sgpr_spill_count: 0
    .symbol:         _ZN9rocsparseL19gebsrmvn_4xn_kernelILj128ELj1ELj32EfEEvi20rocsparse_direction_NS_24const_host_device_scalarIT2_EEPKiS6_PKS3_S8_S4_PS3_21rocsparse_index_base_b.kd
    .uniform_work_group_size: 1
    .uses_dynamic_stack: false
    .vgpr_count:     20
    .vgpr_spill_count: 0
    .wavefront_size: 32
    .workgroup_processor_mode: 1
  - .args:
      - .offset:         0
        .size:           4
        .value_kind:     by_value
      - .offset:         4
        .size:           4
        .value_kind:     by_value
      - .offset:         8
        .size:           8
        .value_kind:     by_value
      - .actual_access:  read_only
        .address_space:  global
        .offset:         16
        .size:           8
        .value_kind:     global_buffer
      - .actual_access:  read_only
        .address_space:  global
        .offset:         24
        .size:           8
        .value_kind:     global_buffer
      - .actual_access:  read_only
        .address_space:  global
        .offset:         32
        .size:           8
        .value_kind:     global_buffer
      - .actual_access:  read_only
        .address_space:  global
        .offset:         40
        .size:           8
        .value_kind:     global_buffer
      - .offset:         48
        .size:           8
        .value_kind:     by_value
      - .address_space:  global
        .offset:         56
        .size:           8
        .value_kind:     global_buffer
      - .offset:         64
        .size:           4
        .value_kind:     by_value
      - .offset:         68
        .size:           1
        .value_kind:     by_value
    .group_segment_fixed_size: 0
    .kernarg_segment_align: 8
    .kernarg_segment_size: 72
    .language:       OpenCL C
    .language_version:
      - 2
      - 0
    .max_flat_workgroup_size: 128
    .name:           _ZN9rocsparseL19gebsrmvn_4xn_kernelILj128ELj1ELj64EfEEvi20rocsparse_direction_NS_24const_host_device_scalarIT2_EEPKiS6_PKS3_S8_S4_PS3_21rocsparse_index_base_b
    .private_segment_fixed_size: 0
    .sgpr_count:     20
    .sgpr_spill_count: 0
    .symbol:         _ZN9rocsparseL19gebsrmvn_4xn_kernelILj128ELj1ELj64EfEEvi20rocsparse_direction_NS_24const_host_device_scalarIT2_EEPKiS6_PKS3_S8_S4_PS3_21rocsparse_index_base_b.kd
    .uniform_work_group_size: 1
    .uses_dynamic_stack: false
    .vgpr_count:     20
    .vgpr_spill_count: 0
    .wavefront_size: 32
    .workgroup_processor_mode: 1
  - .args:
      - .offset:         0
        .size:           4
        .value_kind:     by_value
      - .offset:         4
        .size:           4
        .value_kind:     by_value
      - .offset:         8
        .size:           8
        .value_kind:     by_value
      - .actual_access:  read_only
        .address_space:  global
        .offset:         16
        .size:           8
        .value_kind:     global_buffer
      - .actual_access:  read_only
        .address_space:  global
        .offset:         24
        .size:           8
        .value_kind:     global_buffer
      - .actual_access:  read_only
        .address_space:  global
        .offset:         32
        .size:           8
        .value_kind:     global_buffer
      - .actual_access:  read_only
        .address_space:  global
        .offset:         40
        .size:           8
        .value_kind:     global_buffer
      - .offset:         48
        .size:           8
        .value_kind:     by_value
      - .address_space:  global
        .offset:         56
        .size:           8
        .value_kind:     global_buffer
      - .offset:         64
        .size:           4
        .value_kind:     by_value
      - .offset:         68
        .size:           1
        .value_kind:     by_value
    .group_segment_fixed_size: 0
    .kernarg_segment_align: 8
    .kernarg_segment_size: 72
    .language:       OpenCL C
    .language_version:
      - 2
      - 0
    .max_flat_workgroup_size: 128
    .name:           _ZN9rocsparseL19gebsrmvn_4xn_kernelILj128ELj2ELj4EfEEvi20rocsparse_direction_NS_24const_host_device_scalarIT2_EEPKiS6_PKS3_S8_S4_PS3_21rocsparse_index_base_b
    .private_segment_fixed_size: 0
    .sgpr_count:     20
    .sgpr_spill_count: 0
    .symbol:         _ZN9rocsparseL19gebsrmvn_4xn_kernelILj128ELj2ELj4EfEEvi20rocsparse_direction_NS_24const_host_device_scalarIT2_EEPKiS6_PKS3_S8_S4_PS3_21rocsparse_index_base_b.kd
    .uniform_work_group_size: 1
    .uses_dynamic_stack: false
    .vgpr_count:     23
    .vgpr_spill_count: 0
    .wavefront_size: 32
    .workgroup_processor_mode: 1
  - .args:
      - .offset:         0
        .size:           4
        .value_kind:     by_value
      - .offset:         4
        .size:           4
        .value_kind:     by_value
      - .offset:         8
        .size:           8
        .value_kind:     by_value
      - .actual_access:  read_only
        .address_space:  global
        .offset:         16
        .size:           8
        .value_kind:     global_buffer
      - .actual_access:  read_only
        .address_space:  global
        .offset:         24
        .size:           8
        .value_kind:     global_buffer
      - .actual_access:  read_only
        .address_space:  global
        .offset:         32
        .size:           8
        .value_kind:     global_buffer
      - .actual_access:  read_only
        .address_space:  global
        .offset:         40
        .size:           8
        .value_kind:     global_buffer
      - .offset:         48
        .size:           8
        .value_kind:     by_value
      - .address_space:  global
        .offset:         56
        .size:           8
        .value_kind:     global_buffer
      - .offset:         64
        .size:           4
        .value_kind:     by_value
      - .offset:         68
        .size:           1
        .value_kind:     by_value
    .group_segment_fixed_size: 0
    .kernarg_segment_align: 8
    .kernarg_segment_size: 72
    .language:       OpenCL C
    .language_version:
      - 2
      - 0
    .max_flat_workgroup_size: 128
    .name:           _ZN9rocsparseL19gebsrmvn_4xn_kernelILj128ELj2ELj8EfEEvi20rocsparse_direction_NS_24const_host_device_scalarIT2_EEPKiS6_PKS3_S8_S4_PS3_21rocsparse_index_base_b
    .private_segment_fixed_size: 0
    .sgpr_count:     20
    .sgpr_spill_count: 0
    .symbol:         _ZN9rocsparseL19gebsrmvn_4xn_kernelILj128ELj2ELj8EfEEvi20rocsparse_direction_NS_24const_host_device_scalarIT2_EEPKiS6_PKS3_S8_S4_PS3_21rocsparse_index_base_b.kd
    .uniform_work_group_size: 1
    .uses_dynamic_stack: false
    .vgpr_count:     23
    .vgpr_spill_count: 0
    .wavefront_size: 32
    .workgroup_processor_mode: 1
  - .args:
      - .offset:         0
        .size:           4
        .value_kind:     by_value
      - .offset:         4
        .size:           4
        .value_kind:     by_value
      - .offset:         8
        .size:           8
        .value_kind:     by_value
      - .actual_access:  read_only
        .address_space:  global
        .offset:         16
        .size:           8
        .value_kind:     global_buffer
      - .actual_access:  read_only
        .address_space:  global
        .offset:         24
        .size:           8
        .value_kind:     global_buffer
      - .actual_access:  read_only
        .address_space:  global
        .offset:         32
        .size:           8
        .value_kind:     global_buffer
      - .actual_access:  read_only
        .address_space:  global
        .offset:         40
        .size:           8
        .value_kind:     global_buffer
      - .offset:         48
        .size:           8
        .value_kind:     by_value
      - .address_space:  global
        .offset:         56
        .size:           8
        .value_kind:     global_buffer
      - .offset:         64
        .size:           4
        .value_kind:     by_value
      - .offset:         68
        .size:           1
        .value_kind:     by_value
    .group_segment_fixed_size: 0
    .kernarg_segment_align: 8
    .kernarg_segment_size: 72
    .language:       OpenCL C
    .language_version:
      - 2
      - 0
    .max_flat_workgroup_size: 128
    .name:           _ZN9rocsparseL19gebsrmvn_4xn_kernelILj128ELj2ELj16EfEEvi20rocsparse_direction_NS_24const_host_device_scalarIT2_EEPKiS6_PKS3_S8_S4_PS3_21rocsparse_index_base_b
    .private_segment_fixed_size: 0
    .sgpr_count:     20
    .sgpr_spill_count: 0
    .symbol:         _ZN9rocsparseL19gebsrmvn_4xn_kernelILj128ELj2ELj16EfEEvi20rocsparse_direction_NS_24const_host_device_scalarIT2_EEPKiS6_PKS3_S8_S4_PS3_21rocsparse_index_base_b.kd
    .uniform_work_group_size: 1
    .uses_dynamic_stack: false
    .vgpr_count:     23
    .vgpr_spill_count: 0
    .wavefront_size: 32
    .workgroup_processor_mode: 1
  - .args:
      - .offset:         0
        .size:           4
        .value_kind:     by_value
      - .offset:         4
        .size:           4
        .value_kind:     by_value
      - .offset:         8
        .size:           8
        .value_kind:     by_value
      - .actual_access:  read_only
        .address_space:  global
        .offset:         16
        .size:           8
        .value_kind:     global_buffer
      - .actual_access:  read_only
        .address_space:  global
        .offset:         24
        .size:           8
        .value_kind:     global_buffer
      - .actual_access:  read_only
        .address_space:  global
        .offset:         32
        .size:           8
        .value_kind:     global_buffer
      - .actual_access:  read_only
        .address_space:  global
        .offset:         40
        .size:           8
        .value_kind:     global_buffer
      - .offset:         48
        .size:           8
        .value_kind:     by_value
      - .address_space:  global
        .offset:         56
        .size:           8
        .value_kind:     global_buffer
      - .offset:         64
        .size:           4
        .value_kind:     by_value
      - .offset:         68
        .size:           1
        .value_kind:     by_value
    .group_segment_fixed_size: 0
    .kernarg_segment_align: 8
    .kernarg_segment_size: 72
    .language:       OpenCL C
    .language_version:
      - 2
      - 0
    .max_flat_workgroup_size: 128
    .name:           _ZN9rocsparseL19gebsrmvn_4xn_kernelILj128ELj2ELj32EfEEvi20rocsparse_direction_NS_24const_host_device_scalarIT2_EEPKiS6_PKS3_S8_S4_PS3_21rocsparse_index_base_b
    .private_segment_fixed_size: 0
    .sgpr_count:     20
    .sgpr_spill_count: 0
    .symbol:         _ZN9rocsparseL19gebsrmvn_4xn_kernelILj128ELj2ELj32EfEEvi20rocsparse_direction_NS_24const_host_device_scalarIT2_EEPKiS6_PKS3_S8_S4_PS3_21rocsparse_index_base_b.kd
    .uniform_work_group_size: 1
    .uses_dynamic_stack: false
    .vgpr_count:     23
    .vgpr_spill_count: 0
    .wavefront_size: 32
    .workgroup_processor_mode: 1
  - .args:
      - .offset:         0
        .size:           4
        .value_kind:     by_value
      - .offset:         4
        .size:           4
        .value_kind:     by_value
      - .offset:         8
        .size:           8
        .value_kind:     by_value
      - .actual_access:  read_only
        .address_space:  global
        .offset:         16
        .size:           8
        .value_kind:     global_buffer
      - .actual_access:  read_only
        .address_space:  global
        .offset:         24
        .size:           8
        .value_kind:     global_buffer
      - .actual_access:  read_only
        .address_space:  global
        .offset:         32
        .size:           8
        .value_kind:     global_buffer
      - .actual_access:  read_only
        .address_space:  global
        .offset:         40
        .size:           8
        .value_kind:     global_buffer
      - .offset:         48
        .size:           8
        .value_kind:     by_value
      - .address_space:  global
        .offset:         56
        .size:           8
        .value_kind:     global_buffer
      - .offset:         64
        .size:           4
        .value_kind:     by_value
      - .offset:         68
        .size:           1
        .value_kind:     by_value
    .group_segment_fixed_size: 0
    .kernarg_segment_align: 8
    .kernarg_segment_size: 72
    .language:       OpenCL C
    .language_version:
      - 2
      - 0
    .max_flat_workgroup_size: 128
    .name:           _ZN9rocsparseL19gebsrmvn_4xn_kernelILj128ELj2ELj64EfEEvi20rocsparse_direction_NS_24const_host_device_scalarIT2_EEPKiS6_PKS3_S8_S4_PS3_21rocsparse_index_base_b
    .private_segment_fixed_size: 0
    .sgpr_count:     20
    .sgpr_spill_count: 0
    .symbol:         _ZN9rocsparseL19gebsrmvn_4xn_kernelILj128ELj2ELj64EfEEvi20rocsparse_direction_NS_24const_host_device_scalarIT2_EEPKiS6_PKS3_S8_S4_PS3_21rocsparse_index_base_b.kd
    .uniform_work_group_size: 1
    .uses_dynamic_stack: false
    .vgpr_count:     23
    .vgpr_spill_count: 0
    .wavefront_size: 32
    .workgroup_processor_mode: 1
  - .args:
      - .offset:         0
        .size:           4
        .value_kind:     by_value
      - .offset:         4
        .size:           4
        .value_kind:     by_value
      - .offset:         8
        .size:           8
        .value_kind:     by_value
      - .actual_access:  read_only
        .address_space:  global
        .offset:         16
        .size:           8
        .value_kind:     global_buffer
      - .actual_access:  read_only
        .address_space:  global
        .offset:         24
        .size:           8
        .value_kind:     global_buffer
      - .actual_access:  read_only
        .address_space:  global
        .offset:         32
        .size:           8
        .value_kind:     global_buffer
      - .actual_access:  read_only
        .address_space:  global
        .offset:         40
        .size:           8
        .value_kind:     global_buffer
      - .offset:         48
        .size:           8
        .value_kind:     by_value
      - .address_space:  global
        .offset:         56
        .size:           8
        .value_kind:     global_buffer
      - .offset:         64
        .size:           4
        .value_kind:     by_value
      - .offset:         68
        .size:           1
        .value_kind:     by_value
    .group_segment_fixed_size: 0
    .kernarg_segment_align: 8
    .kernarg_segment_size: 72
    .language:       OpenCL C
    .language_version:
      - 2
      - 0
    .max_flat_workgroup_size: 128
    .name:           _ZN9rocsparseL19gebsrmvn_4xn_kernelILj128ELj3ELj4EfEEvi20rocsparse_direction_NS_24const_host_device_scalarIT2_EEPKiS6_PKS3_S8_S4_PS3_21rocsparse_index_base_b
    .private_segment_fixed_size: 0
    .sgpr_count:     20
    .sgpr_spill_count: 0
    .symbol:         _ZN9rocsparseL19gebsrmvn_4xn_kernelILj128ELj3ELj4EfEEvi20rocsparse_direction_NS_24const_host_device_scalarIT2_EEPKiS6_PKS3_S8_S4_PS3_21rocsparse_index_base_b.kd
    .uniform_work_group_size: 1
    .uses_dynamic_stack: false
    .vgpr_count:     32
    .vgpr_spill_count: 0
    .wavefront_size: 32
    .workgroup_processor_mode: 1
  - .args:
      - .offset:         0
        .size:           4
        .value_kind:     by_value
      - .offset:         4
        .size:           4
        .value_kind:     by_value
      - .offset:         8
        .size:           8
        .value_kind:     by_value
      - .actual_access:  read_only
        .address_space:  global
        .offset:         16
        .size:           8
        .value_kind:     global_buffer
      - .actual_access:  read_only
        .address_space:  global
        .offset:         24
        .size:           8
        .value_kind:     global_buffer
      - .actual_access:  read_only
        .address_space:  global
        .offset:         32
        .size:           8
        .value_kind:     global_buffer
      - .actual_access:  read_only
        .address_space:  global
        .offset:         40
        .size:           8
        .value_kind:     global_buffer
      - .offset:         48
        .size:           8
        .value_kind:     by_value
      - .address_space:  global
        .offset:         56
        .size:           8
        .value_kind:     global_buffer
      - .offset:         64
        .size:           4
        .value_kind:     by_value
      - .offset:         68
        .size:           1
        .value_kind:     by_value
    .group_segment_fixed_size: 0
    .kernarg_segment_align: 8
    .kernarg_segment_size: 72
    .language:       OpenCL C
    .language_version:
      - 2
      - 0
    .max_flat_workgroup_size: 128
    .name:           _ZN9rocsparseL19gebsrmvn_4xn_kernelILj128ELj3ELj8EfEEvi20rocsparse_direction_NS_24const_host_device_scalarIT2_EEPKiS6_PKS3_S8_S4_PS3_21rocsparse_index_base_b
    .private_segment_fixed_size: 0
    .sgpr_count:     20
    .sgpr_spill_count: 0
    .symbol:         _ZN9rocsparseL19gebsrmvn_4xn_kernelILj128ELj3ELj8EfEEvi20rocsparse_direction_NS_24const_host_device_scalarIT2_EEPKiS6_PKS3_S8_S4_PS3_21rocsparse_index_base_b.kd
    .uniform_work_group_size: 1
    .uses_dynamic_stack: false
    .vgpr_count:     32
    .vgpr_spill_count: 0
    .wavefront_size: 32
    .workgroup_processor_mode: 1
  - .args:
      - .offset:         0
        .size:           4
        .value_kind:     by_value
      - .offset:         4
        .size:           4
        .value_kind:     by_value
      - .offset:         8
        .size:           8
        .value_kind:     by_value
      - .actual_access:  read_only
        .address_space:  global
        .offset:         16
        .size:           8
        .value_kind:     global_buffer
      - .actual_access:  read_only
        .address_space:  global
        .offset:         24
        .size:           8
        .value_kind:     global_buffer
      - .actual_access:  read_only
        .address_space:  global
        .offset:         32
        .size:           8
        .value_kind:     global_buffer
      - .actual_access:  read_only
        .address_space:  global
        .offset:         40
        .size:           8
        .value_kind:     global_buffer
      - .offset:         48
        .size:           8
        .value_kind:     by_value
      - .address_space:  global
        .offset:         56
        .size:           8
        .value_kind:     global_buffer
      - .offset:         64
        .size:           4
        .value_kind:     by_value
      - .offset:         68
        .size:           1
        .value_kind:     by_value
    .group_segment_fixed_size: 0
    .kernarg_segment_align: 8
    .kernarg_segment_size: 72
    .language:       OpenCL C
    .language_version:
      - 2
      - 0
    .max_flat_workgroup_size: 128
    .name:           _ZN9rocsparseL19gebsrmvn_4xn_kernelILj128ELj3ELj16EfEEvi20rocsparse_direction_NS_24const_host_device_scalarIT2_EEPKiS6_PKS3_S8_S4_PS3_21rocsparse_index_base_b
    .private_segment_fixed_size: 0
    .sgpr_count:     20
    .sgpr_spill_count: 0
    .symbol:         _ZN9rocsparseL19gebsrmvn_4xn_kernelILj128ELj3ELj16EfEEvi20rocsparse_direction_NS_24const_host_device_scalarIT2_EEPKiS6_PKS3_S8_S4_PS3_21rocsparse_index_base_b.kd
    .uniform_work_group_size: 1
    .uses_dynamic_stack: false
    .vgpr_count:     32
    .vgpr_spill_count: 0
    .wavefront_size: 32
    .workgroup_processor_mode: 1
  - .args:
      - .offset:         0
        .size:           4
        .value_kind:     by_value
      - .offset:         4
        .size:           4
        .value_kind:     by_value
      - .offset:         8
        .size:           8
        .value_kind:     by_value
      - .actual_access:  read_only
        .address_space:  global
        .offset:         16
        .size:           8
        .value_kind:     global_buffer
      - .actual_access:  read_only
        .address_space:  global
        .offset:         24
        .size:           8
        .value_kind:     global_buffer
      - .actual_access:  read_only
        .address_space:  global
        .offset:         32
        .size:           8
        .value_kind:     global_buffer
      - .actual_access:  read_only
        .address_space:  global
        .offset:         40
        .size:           8
        .value_kind:     global_buffer
      - .offset:         48
        .size:           8
        .value_kind:     by_value
      - .address_space:  global
        .offset:         56
        .size:           8
        .value_kind:     global_buffer
      - .offset:         64
        .size:           4
        .value_kind:     by_value
      - .offset:         68
        .size:           1
        .value_kind:     by_value
    .group_segment_fixed_size: 0
    .kernarg_segment_align: 8
    .kernarg_segment_size: 72
    .language:       OpenCL C
    .language_version:
      - 2
      - 0
    .max_flat_workgroup_size: 128
    .name:           _ZN9rocsparseL19gebsrmvn_4xn_kernelILj128ELj3ELj32EfEEvi20rocsparse_direction_NS_24const_host_device_scalarIT2_EEPKiS6_PKS3_S8_S4_PS3_21rocsparse_index_base_b
    .private_segment_fixed_size: 0
    .sgpr_count:     20
    .sgpr_spill_count: 0
    .symbol:         _ZN9rocsparseL19gebsrmvn_4xn_kernelILj128ELj3ELj32EfEEvi20rocsparse_direction_NS_24const_host_device_scalarIT2_EEPKiS6_PKS3_S8_S4_PS3_21rocsparse_index_base_b.kd
    .uniform_work_group_size: 1
    .uses_dynamic_stack: false
    .vgpr_count:     32
    .vgpr_spill_count: 0
    .wavefront_size: 32
    .workgroup_processor_mode: 1
  - .args:
      - .offset:         0
        .size:           4
        .value_kind:     by_value
      - .offset:         4
        .size:           4
        .value_kind:     by_value
      - .offset:         8
        .size:           8
        .value_kind:     by_value
      - .actual_access:  read_only
        .address_space:  global
        .offset:         16
        .size:           8
        .value_kind:     global_buffer
      - .actual_access:  read_only
        .address_space:  global
        .offset:         24
        .size:           8
        .value_kind:     global_buffer
      - .actual_access:  read_only
        .address_space:  global
        .offset:         32
        .size:           8
        .value_kind:     global_buffer
      - .actual_access:  read_only
        .address_space:  global
        .offset:         40
        .size:           8
        .value_kind:     global_buffer
      - .offset:         48
        .size:           8
        .value_kind:     by_value
      - .address_space:  global
        .offset:         56
        .size:           8
        .value_kind:     global_buffer
      - .offset:         64
        .size:           4
        .value_kind:     by_value
      - .offset:         68
        .size:           1
        .value_kind:     by_value
    .group_segment_fixed_size: 0
    .kernarg_segment_align: 8
    .kernarg_segment_size: 72
    .language:       OpenCL C
    .language_version:
      - 2
      - 0
    .max_flat_workgroup_size: 128
    .name:           _ZN9rocsparseL19gebsrmvn_4xn_kernelILj128ELj3ELj64EfEEvi20rocsparse_direction_NS_24const_host_device_scalarIT2_EEPKiS6_PKS3_S8_S4_PS3_21rocsparse_index_base_b
    .private_segment_fixed_size: 0
    .sgpr_count:     20
    .sgpr_spill_count: 0
    .symbol:         _ZN9rocsparseL19gebsrmvn_4xn_kernelILj128ELj3ELj64EfEEvi20rocsparse_direction_NS_24const_host_device_scalarIT2_EEPKiS6_PKS3_S8_S4_PS3_21rocsparse_index_base_b.kd
    .uniform_work_group_size: 1
    .uses_dynamic_stack: false
    .vgpr_count:     32
    .vgpr_spill_count: 0
    .wavefront_size: 32
    .workgroup_processor_mode: 1
  - .args:
      - .offset:         0
        .size:           4
        .value_kind:     by_value
      - .offset:         4
        .size:           4
        .value_kind:     by_value
      - .offset:         8
        .size:           8
        .value_kind:     by_value
      - .actual_access:  read_only
        .address_space:  global
        .offset:         16
        .size:           8
        .value_kind:     global_buffer
      - .actual_access:  read_only
        .address_space:  global
        .offset:         24
        .size:           8
        .value_kind:     global_buffer
      - .actual_access:  read_only
        .address_space:  global
        .offset:         32
        .size:           8
        .value_kind:     global_buffer
      - .actual_access:  read_only
        .address_space:  global
        .offset:         40
        .size:           8
        .value_kind:     global_buffer
      - .offset:         48
        .size:           8
        .value_kind:     by_value
      - .address_space:  global
        .offset:         56
        .size:           8
        .value_kind:     global_buffer
      - .offset:         64
        .size:           4
        .value_kind:     by_value
      - .offset:         68
        .size:           1
        .value_kind:     by_value
    .group_segment_fixed_size: 0
    .kernarg_segment_align: 8
    .kernarg_segment_size: 72
    .language:       OpenCL C
    .language_version:
      - 2
      - 0
    .max_flat_workgroup_size: 128
    .name:           _ZN9rocsparseL19gebsrmvn_4xn_kernelILj128ELj5ELj4EfEEvi20rocsparse_direction_NS_24const_host_device_scalarIT2_EEPKiS6_PKS3_S8_S4_PS3_21rocsparse_index_base_b
    .private_segment_fixed_size: 0
    .sgpr_count:     20
    .sgpr_spill_count: 0
    .symbol:         _ZN9rocsparseL19gebsrmvn_4xn_kernelILj128ELj5ELj4EfEEvi20rocsparse_direction_NS_24const_host_device_scalarIT2_EEPKiS6_PKS3_S8_S4_PS3_21rocsparse_index_base_b.kd
    .uniform_work_group_size: 1
    .uses_dynamic_stack: false
    .vgpr_count:     41
    .vgpr_spill_count: 0
    .wavefront_size: 32
    .workgroup_processor_mode: 1
  - .args:
      - .offset:         0
        .size:           4
        .value_kind:     by_value
      - .offset:         4
        .size:           4
        .value_kind:     by_value
      - .offset:         8
        .size:           8
        .value_kind:     by_value
      - .actual_access:  read_only
        .address_space:  global
        .offset:         16
        .size:           8
        .value_kind:     global_buffer
      - .actual_access:  read_only
        .address_space:  global
        .offset:         24
        .size:           8
        .value_kind:     global_buffer
      - .actual_access:  read_only
        .address_space:  global
        .offset:         32
        .size:           8
        .value_kind:     global_buffer
      - .actual_access:  read_only
        .address_space:  global
        .offset:         40
        .size:           8
        .value_kind:     global_buffer
      - .offset:         48
        .size:           8
        .value_kind:     by_value
      - .address_space:  global
        .offset:         56
        .size:           8
        .value_kind:     global_buffer
      - .offset:         64
        .size:           4
        .value_kind:     by_value
      - .offset:         68
        .size:           1
        .value_kind:     by_value
    .group_segment_fixed_size: 0
    .kernarg_segment_align: 8
    .kernarg_segment_size: 72
    .language:       OpenCL C
    .language_version:
      - 2
      - 0
    .max_flat_workgroup_size: 128
    .name:           _ZN9rocsparseL19gebsrmvn_4xn_kernelILj128ELj5ELj8EfEEvi20rocsparse_direction_NS_24const_host_device_scalarIT2_EEPKiS6_PKS3_S8_S4_PS3_21rocsparse_index_base_b
    .private_segment_fixed_size: 0
    .sgpr_count:     20
    .sgpr_spill_count: 0
    .symbol:         _ZN9rocsparseL19gebsrmvn_4xn_kernelILj128ELj5ELj8EfEEvi20rocsparse_direction_NS_24const_host_device_scalarIT2_EEPKiS6_PKS3_S8_S4_PS3_21rocsparse_index_base_b.kd
    .uniform_work_group_size: 1
    .uses_dynamic_stack: false
    .vgpr_count:     41
    .vgpr_spill_count: 0
    .wavefront_size: 32
    .workgroup_processor_mode: 1
  - .args:
      - .offset:         0
        .size:           4
        .value_kind:     by_value
      - .offset:         4
        .size:           4
        .value_kind:     by_value
      - .offset:         8
        .size:           8
        .value_kind:     by_value
      - .actual_access:  read_only
        .address_space:  global
        .offset:         16
        .size:           8
        .value_kind:     global_buffer
      - .actual_access:  read_only
        .address_space:  global
        .offset:         24
        .size:           8
        .value_kind:     global_buffer
      - .actual_access:  read_only
        .address_space:  global
        .offset:         32
        .size:           8
        .value_kind:     global_buffer
      - .actual_access:  read_only
        .address_space:  global
        .offset:         40
        .size:           8
        .value_kind:     global_buffer
      - .offset:         48
        .size:           8
        .value_kind:     by_value
      - .address_space:  global
        .offset:         56
        .size:           8
        .value_kind:     global_buffer
      - .offset:         64
        .size:           4
        .value_kind:     by_value
      - .offset:         68
        .size:           1
        .value_kind:     by_value
    .group_segment_fixed_size: 0
    .kernarg_segment_align: 8
    .kernarg_segment_size: 72
    .language:       OpenCL C
    .language_version:
      - 2
      - 0
    .max_flat_workgroup_size: 128
    .name:           _ZN9rocsparseL19gebsrmvn_4xn_kernelILj128ELj5ELj16EfEEvi20rocsparse_direction_NS_24const_host_device_scalarIT2_EEPKiS6_PKS3_S8_S4_PS3_21rocsparse_index_base_b
    .private_segment_fixed_size: 0
    .sgpr_count:     20
    .sgpr_spill_count: 0
    .symbol:         _ZN9rocsparseL19gebsrmvn_4xn_kernelILj128ELj5ELj16EfEEvi20rocsparse_direction_NS_24const_host_device_scalarIT2_EEPKiS6_PKS3_S8_S4_PS3_21rocsparse_index_base_b.kd
    .uniform_work_group_size: 1
    .uses_dynamic_stack: false
    .vgpr_count:     41
    .vgpr_spill_count: 0
    .wavefront_size: 32
    .workgroup_processor_mode: 1
  - .args:
      - .offset:         0
        .size:           4
        .value_kind:     by_value
      - .offset:         4
        .size:           4
        .value_kind:     by_value
      - .offset:         8
        .size:           8
        .value_kind:     by_value
      - .actual_access:  read_only
        .address_space:  global
        .offset:         16
        .size:           8
        .value_kind:     global_buffer
      - .actual_access:  read_only
        .address_space:  global
        .offset:         24
        .size:           8
        .value_kind:     global_buffer
      - .actual_access:  read_only
        .address_space:  global
        .offset:         32
        .size:           8
        .value_kind:     global_buffer
      - .actual_access:  read_only
        .address_space:  global
        .offset:         40
        .size:           8
        .value_kind:     global_buffer
      - .offset:         48
        .size:           8
        .value_kind:     by_value
      - .address_space:  global
        .offset:         56
        .size:           8
        .value_kind:     global_buffer
      - .offset:         64
        .size:           4
        .value_kind:     by_value
      - .offset:         68
        .size:           1
        .value_kind:     by_value
    .group_segment_fixed_size: 0
    .kernarg_segment_align: 8
    .kernarg_segment_size: 72
    .language:       OpenCL C
    .language_version:
      - 2
      - 0
    .max_flat_workgroup_size: 128
    .name:           _ZN9rocsparseL19gebsrmvn_4xn_kernelILj128ELj5ELj32EfEEvi20rocsparse_direction_NS_24const_host_device_scalarIT2_EEPKiS6_PKS3_S8_S4_PS3_21rocsparse_index_base_b
    .private_segment_fixed_size: 0
    .sgpr_count:     20
    .sgpr_spill_count: 0
    .symbol:         _ZN9rocsparseL19gebsrmvn_4xn_kernelILj128ELj5ELj32EfEEvi20rocsparse_direction_NS_24const_host_device_scalarIT2_EEPKiS6_PKS3_S8_S4_PS3_21rocsparse_index_base_b.kd
    .uniform_work_group_size: 1
    .uses_dynamic_stack: false
    .vgpr_count:     41
    .vgpr_spill_count: 0
    .wavefront_size: 32
    .workgroup_processor_mode: 1
  - .args:
      - .offset:         0
        .size:           4
        .value_kind:     by_value
      - .offset:         4
        .size:           4
        .value_kind:     by_value
      - .offset:         8
        .size:           8
        .value_kind:     by_value
      - .actual_access:  read_only
        .address_space:  global
        .offset:         16
        .size:           8
        .value_kind:     global_buffer
      - .actual_access:  read_only
        .address_space:  global
        .offset:         24
        .size:           8
        .value_kind:     global_buffer
      - .actual_access:  read_only
        .address_space:  global
        .offset:         32
        .size:           8
        .value_kind:     global_buffer
      - .actual_access:  read_only
        .address_space:  global
        .offset:         40
        .size:           8
        .value_kind:     global_buffer
      - .offset:         48
        .size:           8
        .value_kind:     by_value
      - .address_space:  global
        .offset:         56
        .size:           8
        .value_kind:     global_buffer
      - .offset:         64
        .size:           4
        .value_kind:     by_value
      - .offset:         68
        .size:           1
        .value_kind:     by_value
    .group_segment_fixed_size: 0
    .kernarg_segment_align: 8
    .kernarg_segment_size: 72
    .language:       OpenCL C
    .language_version:
      - 2
      - 0
    .max_flat_workgroup_size: 128
    .name:           _ZN9rocsparseL19gebsrmvn_4xn_kernelILj128ELj5ELj64EfEEvi20rocsparse_direction_NS_24const_host_device_scalarIT2_EEPKiS6_PKS3_S8_S4_PS3_21rocsparse_index_base_b
    .private_segment_fixed_size: 0
    .sgpr_count:     20
    .sgpr_spill_count: 0
    .symbol:         _ZN9rocsparseL19gebsrmvn_4xn_kernelILj128ELj5ELj64EfEEvi20rocsparse_direction_NS_24const_host_device_scalarIT2_EEPKiS6_PKS3_S8_S4_PS3_21rocsparse_index_base_b.kd
    .uniform_work_group_size: 1
    .uses_dynamic_stack: false
    .vgpr_count:     41
    .vgpr_spill_count: 0
    .wavefront_size: 32
    .workgroup_processor_mode: 1
  - .args:
      - .offset:         0
        .size:           4
        .value_kind:     by_value
      - .offset:         4
        .size:           4
        .value_kind:     by_value
      - .offset:         8
        .size:           8
        .value_kind:     by_value
      - .actual_access:  read_only
        .address_space:  global
        .offset:         16
        .size:           8
        .value_kind:     global_buffer
      - .actual_access:  read_only
        .address_space:  global
        .offset:         24
        .size:           8
        .value_kind:     global_buffer
      - .actual_access:  read_only
        .address_space:  global
        .offset:         32
        .size:           8
        .value_kind:     global_buffer
      - .actual_access:  read_only
        .address_space:  global
        .offset:         40
        .size:           8
        .value_kind:     global_buffer
      - .offset:         48
        .size:           8
        .value_kind:     by_value
      - .address_space:  global
        .offset:         56
        .size:           8
        .value_kind:     global_buffer
      - .offset:         64
        .size:           4
        .value_kind:     by_value
      - .offset:         68
        .size:           1
        .value_kind:     by_value
    .group_segment_fixed_size: 0
    .kernarg_segment_align: 8
    .kernarg_segment_size: 72
    .language:       OpenCL C
    .language_version:
      - 2
      - 0
    .max_flat_workgroup_size: 128
    .name:           _ZN9rocsparseL19gebsrmvn_4xn_kernelILj128ELj6ELj4EfEEvi20rocsparse_direction_NS_24const_host_device_scalarIT2_EEPKiS6_PKS3_S8_S4_PS3_21rocsparse_index_base_b
    .private_segment_fixed_size: 0
    .sgpr_count:     20
    .sgpr_spill_count: 0
    .symbol:         _ZN9rocsparseL19gebsrmvn_4xn_kernelILj128ELj6ELj4EfEEvi20rocsparse_direction_NS_24const_host_device_scalarIT2_EEPKiS6_PKS3_S8_S4_PS3_21rocsparse_index_base_b.kd
    .uniform_work_group_size: 1
    .uses_dynamic_stack: false
    .vgpr_count:     45
    .vgpr_spill_count: 0
    .wavefront_size: 32
    .workgroup_processor_mode: 1
  - .args:
      - .offset:         0
        .size:           4
        .value_kind:     by_value
      - .offset:         4
        .size:           4
        .value_kind:     by_value
      - .offset:         8
        .size:           8
        .value_kind:     by_value
      - .actual_access:  read_only
        .address_space:  global
        .offset:         16
        .size:           8
        .value_kind:     global_buffer
      - .actual_access:  read_only
        .address_space:  global
        .offset:         24
        .size:           8
        .value_kind:     global_buffer
      - .actual_access:  read_only
        .address_space:  global
        .offset:         32
        .size:           8
        .value_kind:     global_buffer
      - .actual_access:  read_only
        .address_space:  global
        .offset:         40
        .size:           8
        .value_kind:     global_buffer
      - .offset:         48
        .size:           8
        .value_kind:     by_value
      - .address_space:  global
        .offset:         56
        .size:           8
        .value_kind:     global_buffer
      - .offset:         64
        .size:           4
        .value_kind:     by_value
      - .offset:         68
        .size:           1
        .value_kind:     by_value
    .group_segment_fixed_size: 0
    .kernarg_segment_align: 8
    .kernarg_segment_size: 72
    .language:       OpenCL C
    .language_version:
      - 2
      - 0
    .max_flat_workgroup_size: 128
    .name:           _ZN9rocsparseL19gebsrmvn_4xn_kernelILj128ELj6ELj8EfEEvi20rocsparse_direction_NS_24const_host_device_scalarIT2_EEPKiS6_PKS3_S8_S4_PS3_21rocsparse_index_base_b
    .private_segment_fixed_size: 0
    .sgpr_count:     20
    .sgpr_spill_count: 0
    .symbol:         _ZN9rocsparseL19gebsrmvn_4xn_kernelILj128ELj6ELj8EfEEvi20rocsparse_direction_NS_24const_host_device_scalarIT2_EEPKiS6_PKS3_S8_S4_PS3_21rocsparse_index_base_b.kd
    .uniform_work_group_size: 1
    .uses_dynamic_stack: false
    .vgpr_count:     45
    .vgpr_spill_count: 0
    .wavefront_size: 32
    .workgroup_processor_mode: 1
  - .args:
      - .offset:         0
        .size:           4
        .value_kind:     by_value
      - .offset:         4
        .size:           4
        .value_kind:     by_value
      - .offset:         8
        .size:           8
        .value_kind:     by_value
      - .actual_access:  read_only
        .address_space:  global
        .offset:         16
        .size:           8
        .value_kind:     global_buffer
      - .actual_access:  read_only
        .address_space:  global
        .offset:         24
        .size:           8
        .value_kind:     global_buffer
      - .actual_access:  read_only
        .address_space:  global
        .offset:         32
        .size:           8
        .value_kind:     global_buffer
      - .actual_access:  read_only
        .address_space:  global
        .offset:         40
        .size:           8
        .value_kind:     global_buffer
      - .offset:         48
        .size:           8
        .value_kind:     by_value
      - .address_space:  global
        .offset:         56
        .size:           8
        .value_kind:     global_buffer
      - .offset:         64
        .size:           4
        .value_kind:     by_value
      - .offset:         68
        .size:           1
        .value_kind:     by_value
    .group_segment_fixed_size: 0
    .kernarg_segment_align: 8
    .kernarg_segment_size: 72
    .language:       OpenCL C
    .language_version:
      - 2
      - 0
    .max_flat_workgroup_size: 128
    .name:           _ZN9rocsparseL19gebsrmvn_4xn_kernelILj128ELj6ELj16EfEEvi20rocsparse_direction_NS_24const_host_device_scalarIT2_EEPKiS6_PKS3_S8_S4_PS3_21rocsparse_index_base_b
    .private_segment_fixed_size: 0
    .sgpr_count:     20
    .sgpr_spill_count: 0
    .symbol:         _ZN9rocsparseL19gebsrmvn_4xn_kernelILj128ELj6ELj16EfEEvi20rocsparse_direction_NS_24const_host_device_scalarIT2_EEPKiS6_PKS3_S8_S4_PS3_21rocsparse_index_base_b.kd
    .uniform_work_group_size: 1
    .uses_dynamic_stack: false
    .vgpr_count:     45
    .vgpr_spill_count: 0
    .wavefront_size: 32
    .workgroup_processor_mode: 1
  - .args:
      - .offset:         0
        .size:           4
        .value_kind:     by_value
      - .offset:         4
        .size:           4
        .value_kind:     by_value
      - .offset:         8
        .size:           8
        .value_kind:     by_value
      - .actual_access:  read_only
        .address_space:  global
        .offset:         16
        .size:           8
        .value_kind:     global_buffer
      - .actual_access:  read_only
        .address_space:  global
        .offset:         24
        .size:           8
        .value_kind:     global_buffer
      - .actual_access:  read_only
        .address_space:  global
        .offset:         32
        .size:           8
        .value_kind:     global_buffer
      - .actual_access:  read_only
        .address_space:  global
        .offset:         40
        .size:           8
        .value_kind:     global_buffer
      - .offset:         48
        .size:           8
        .value_kind:     by_value
      - .address_space:  global
        .offset:         56
        .size:           8
        .value_kind:     global_buffer
      - .offset:         64
        .size:           4
        .value_kind:     by_value
      - .offset:         68
        .size:           1
        .value_kind:     by_value
    .group_segment_fixed_size: 0
    .kernarg_segment_align: 8
    .kernarg_segment_size: 72
    .language:       OpenCL C
    .language_version:
      - 2
      - 0
    .max_flat_workgroup_size: 128
    .name:           _ZN9rocsparseL19gebsrmvn_4xn_kernelILj128ELj6ELj32EfEEvi20rocsparse_direction_NS_24const_host_device_scalarIT2_EEPKiS6_PKS3_S8_S4_PS3_21rocsparse_index_base_b
    .private_segment_fixed_size: 0
    .sgpr_count:     20
    .sgpr_spill_count: 0
    .symbol:         _ZN9rocsparseL19gebsrmvn_4xn_kernelILj128ELj6ELj32EfEEvi20rocsparse_direction_NS_24const_host_device_scalarIT2_EEPKiS6_PKS3_S8_S4_PS3_21rocsparse_index_base_b.kd
    .uniform_work_group_size: 1
    .uses_dynamic_stack: false
    .vgpr_count:     45
    .vgpr_spill_count: 0
    .wavefront_size: 32
    .workgroup_processor_mode: 1
  - .args:
      - .offset:         0
        .size:           4
        .value_kind:     by_value
      - .offset:         4
        .size:           4
        .value_kind:     by_value
      - .offset:         8
        .size:           8
        .value_kind:     by_value
      - .actual_access:  read_only
        .address_space:  global
        .offset:         16
        .size:           8
        .value_kind:     global_buffer
      - .actual_access:  read_only
        .address_space:  global
        .offset:         24
        .size:           8
        .value_kind:     global_buffer
      - .actual_access:  read_only
        .address_space:  global
        .offset:         32
        .size:           8
        .value_kind:     global_buffer
      - .actual_access:  read_only
        .address_space:  global
        .offset:         40
        .size:           8
        .value_kind:     global_buffer
      - .offset:         48
        .size:           8
        .value_kind:     by_value
      - .address_space:  global
        .offset:         56
        .size:           8
        .value_kind:     global_buffer
      - .offset:         64
        .size:           4
        .value_kind:     by_value
      - .offset:         68
        .size:           1
        .value_kind:     by_value
    .group_segment_fixed_size: 0
    .kernarg_segment_align: 8
    .kernarg_segment_size: 72
    .language:       OpenCL C
    .language_version:
      - 2
      - 0
    .max_flat_workgroup_size: 128
    .name:           _ZN9rocsparseL19gebsrmvn_4xn_kernelILj128ELj6ELj64EfEEvi20rocsparse_direction_NS_24const_host_device_scalarIT2_EEPKiS6_PKS3_S8_S4_PS3_21rocsparse_index_base_b
    .private_segment_fixed_size: 0
    .sgpr_count:     20
    .sgpr_spill_count: 0
    .symbol:         _ZN9rocsparseL19gebsrmvn_4xn_kernelILj128ELj6ELj64EfEEvi20rocsparse_direction_NS_24const_host_device_scalarIT2_EEPKiS6_PKS3_S8_S4_PS3_21rocsparse_index_base_b.kd
    .uniform_work_group_size: 1
    .uses_dynamic_stack: false
    .vgpr_count:     45
    .vgpr_spill_count: 0
    .wavefront_size: 32
    .workgroup_processor_mode: 1
  - .args:
      - .offset:         0
        .size:           4
        .value_kind:     by_value
      - .offset:         4
        .size:           4
        .value_kind:     by_value
      - .offset:         8
        .size:           8
        .value_kind:     by_value
      - .actual_access:  read_only
        .address_space:  global
        .offset:         16
        .size:           8
        .value_kind:     global_buffer
      - .actual_access:  read_only
        .address_space:  global
        .offset:         24
        .size:           8
        .value_kind:     global_buffer
      - .actual_access:  read_only
        .address_space:  global
        .offset:         32
        .size:           8
        .value_kind:     global_buffer
      - .actual_access:  read_only
        .address_space:  global
        .offset:         40
        .size:           8
        .value_kind:     global_buffer
      - .offset:         48
        .size:           8
        .value_kind:     by_value
      - .address_space:  global
        .offset:         56
        .size:           8
        .value_kind:     global_buffer
      - .offset:         64
        .size:           4
        .value_kind:     by_value
      - .offset:         68
        .size:           1
        .value_kind:     by_value
    .group_segment_fixed_size: 0
    .kernarg_segment_align: 8
    .kernarg_segment_size: 72
    .language:       OpenCL C
    .language_version:
      - 2
      - 0
    .max_flat_workgroup_size: 128
    .name:           _ZN9rocsparseL19gebsrmvn_4xn_kernelILj128ELj7ELj4EfEEvi20rocsparse_direction_NS_24const_host_device_scalarIT2_EEPKiS6_PKS3_S8_S4_PS3_21rocsparse_index_base_b
    .private_segment_fixed_size: 0
    .sgpr_count:     20
    .sgpr_spill_count: 0
    .symbol:         _ZN9rocsparseL19gebsrmvn_4xn_kernelILj128ELj7ELj4EfEEvi20rocsparse_direction_NS_24const_host_device_scalarIT2_EEPKiS6_PKS3_S8_S4_PS3_21rocsparse_index_base_b.kd
    .uniform_work_group_size: 1
    .uses_dynamic_stack: false
    .vgpr_count:     51
    .vgpr_spill_count: 0
    .wavefront_size: 32
    .workgroup_processor_mode: 1
  - .args:
      - .offset:         0
        .size:           4
        .value_kind:     by_value
      - .offset:         4
        .size:           4
        .value_kind:     by_value
      - .offset:         8
        .size:           8
        .value_kind:     by_value
      - .actual_access:  read_only
        .address_space:  global
        .offset:         16
        .size:           8
        .value_kind:     global_buffer
      - .actual_access:  read_only
        .address_space:  global
        .offset:         24
        .size:           8
        .value_kind:     global_buffer
      - .actual_access:  read_only
        .address_space:  global
        .offset:         32
        .size:           8
        .value_kind:     global_buffer
      - .actual_access:  read_only
        .address_space:  global
        .offset:         40
        .size:           8
        .value_kind:     global_buffer
      - .offset:         48
        .size:           8
        .value_kind:     by_value
      - .address_space:  global
        .offset:         56
        .size:           8
        .value_kind:     global_buffer
      - .offset:         64
        .size:           4
        .value_kind:     by_value
      - .offset:         68
        .size:           1
        .value_kind:     by_value
    .group_segment_fixed_size: 0
    .kernarg_segment_align: 8
    .kernarg_segment_size: 72
    .language:       OpenCL C
    .language_version:
      - 2
      - 0
    .max_flat_workgroup_size: 128
    .name:           _ZN9rocsparseL19gebsrmvn_4xn_kernelILj128ELj7ELj8EfEEvi20rocsparse_direction_NS_24const_host_device_scalarIT2_EEPKiS6_PKS3_S8_S4_PS3_21rocsparse_index_base_b
    .private_segment_fixed_size: 0
    .sgpr_count:     20
    .sgpr_spill_count: 0
    .symbol:         _ZN9rocsparseL19gebsrmvn_4xn_kernelILj128ELj7ELj8EfEEvi20rocsparse_direction_NS_24const_host_device_scalarIT2_EEPKiS6_PKS3_S8_S4_PS3_21rocsparse_index_base_b.kd
    .uniform_work_group_size: 1
    .uses_dynamic_stack: false
    .vgpr_count:     51
    .vgpr_spill_count: 0
    .wavefront_size: 32
    .workgroup_processor_mode: 1
  - .args:
      - .offset:         0
        .size:           4
        .value_kind:     by_value
      - .offset:         4
        .size:           4
        .value_kind:     by_value
      - .offset:         8
        .size:           8
        .value_kind:     by_value
      - .actual_access:  read_only
        .address_space:  global
        .offset:         16
        .size:           8
        .value_kind:     global_buffer
      - .actual_access:  read_only
        .address_space:  global
        .offset:         24
        .size:           8
        .value_kind:     global_buffer
      - .actual_access:  read_only
        .address_space:  global
        .offset:         32
        .size:           8
        .value_kind:     global_buffer
      - .actual_access:  read_only
        .address_space:  global
        .offset:         40
        .size:           8
        .value_kind:     global_buffer
      - .offset:         48
        .size:           8
        .value_kind:     by_value
      - .address_space:  global
        .offset:         56
        .size:           8
        .value_kind:     global_buffer
      - .offset:         64
        .size:           4
        .value_kind:     by_value
      - .offset:         68
        .size:           1
        .value_kind:     by_value
    .group_segment_fixed_size: 0
    .kernarg_segment_align: 8
    .kernarg_segment_size: 72
    .language:       OpenCL C
    .language_version:
      - 2
      - 0
    .max_flat_workgroup_size: 128
    .name:           _ZN9rocsparseL19gebsrmvn_4xn_kernelILj128ELj7ELj16EfEEvi20rocsparse_direction_NS_24const_host_device_scalarIT2_EEPKiS6_PKS3_S8_S4_PS3_21rocsparse_index_base_b
    .private_segment_fixed_size: 0
    .sgpr_count:     20
    .sgpr_spill_count: 0
    .symbol:         _ZN9rocsparseL19gebsrmvn_4xn_kernelILj128ELj7ELj16EfEEvi20rocsparse_direction_NS_24const_host_device_scalarIT2_EEPKiS6_PKS3_S8_S4_PS3_21rocsparse_index_base_b.kd
    .uniform_work_group_size: 1
    .uses_dynamic_stack: false
    .vgpr_count:     51
    .vgpr_spill_count: 0
    .wavefront_size: 32
    .workgroup_processor_mode: 1
  - .args:
      - .offset:         0
        .size:           4
        .value_kind:     by_value
      - .offset:         4
        .size:           4
        .value_kind:     by_value
      - .offset:         8
        .size:           8
        .value_kind:     by_value
      - .actual_access:  read_only
        .address_space:  global
        .offset:         16
        .size:           8
        .value_kind:     global_buffer
      - .actual_access:  read_only
        .address_space:  global
        .offset:         24
        .size:           8
        .value_kind:     global_buffer
      - .actual_access:  read_only
        .address_space:  global
        .offset:         32
        .size:           8
        .value_kind:     global_buffer
      - .actual_access:  read_only
        .address_space:  global
        .offset:         40
        .size:           8
        .value_kind:     global_buffer
      - .offset:         48
        .size:           8
        .value_kind:     by_value
      - .address_space:  global
        .offset:         56
        .size:           8
        .value_kind:     global_buffer
      - .offset:         64
        .size:           4
        .value_kind:     by_value
      - .offset:         68
        .size:           1
        .value_kind:     by_value
    .group_segment_fixed_size: 0
    .kernarg_segment_align: 8
    .kernarg_segment_size: 72
    .language:       OpenCL C
    .language_version:
      - 2
      - 0
    .max_flat_workgroup_size: 128
    .name:           _ZN9rocsparseL19gebsrmvn_4xn_kernelILj128ELj7ELj32EfEEvi20rocsparse_direction_NS_24const_host_device_scalarIT2_EEPKiS6_PKS3_S8_S4_PS3_21rocsparse_index_base_b
    .private_segment_fixed_size: 0
    .sgpr_count:     20
    .sgpr_spill_count: 0
    .symbol:         _ZN9rocsparseL19gebsrmvn_4xn_kernelILj128ELj7ELj32EfEEvi20rocsparse_direction_NS_24const_host_device_scalarIT2_EEPKiS6_PKS3_S8_S4_PS3_21rocsparse_index_base_b.kd
    .uniform_work_group_size: 1
    .uses_dynamic_stack: false
    .vgpr_count:     51
    .vgpr_spill_count: 0
    .wavefront_size: 32
    .workgroup_processor_mode: 1
  - .args:
      - .offset:         0
        .size:           4
        .value_kind:     by_value
      - .offset:         4
        .size:           4
        .value_kind:     by_value
      - .offset:         8
        .size:           8
        .value_kind:     by_value
      - .actual_access:  read_only
        .address_space:  global
        .offset:         16
        .size:           8
        .value_kind:     global_buffer
      - .actual_access:  read_only
        .address_space:  global
        .offset:         24
        .size:           8
        .value_kind:     global_buffer
      - .actual_access:  read_only
        .address_space:  global
        .offset:         32
        .size:           8
        .value_kind:     global_buffer
      - .actual_access:  read_only
        .address_space:  global
        .offset:         40
        .size:           8
        .value_kind:     global_buffer
      - .offset:         48
        .size:           8
        .value_kind:     by_value
      - .address_space:  global
        .offset:         56
        .size:           8
        .value_kind:     global_buffer
      - .offset:         64
        .size:           4
        .value_kind:     by_value
      - .offset:         68
        .size:           1
        .value_kind:     by_value
    .group_segment_fixed_size: 0
    .kernarg_segment_align: 8
    .kernarg_segment_size: 72
    .language:       OpenCL C
    .language_version:
      - 2
      - 0
    .max_flat_workgroup_size: 128
    .name:           _ZN9rocsparseL19gebsrmvn_4xn_kernelILj128ELj7ELj64EfEEvi20rocsparse_direction_NS_24const_host_device_scalarIT2_EEPKiS6_PKS3_S8_S4_PS3_21rocsparse_index_base_b
    .private_segment_fixed_size: 0
    .sgpr_count:     20
    .sgpr_spill_count: 0
    .symbol:         _ZN9rocsparseL19gebsrmvn_4xn_kernelILj128ELj7ELj64EfEEvi20rocsparse_direction_NS_24const_host_device_scalarIT2_EEPKiS6_PKS3_S8_S4_PS3_21rocsparse_index_base_b.kd
    .uniform_work_group_size: 1
    .uses_dynamic_stack: false
    .vgpr_count:     51
    .vgpr_spill_count: 0
    .wavefront_size: 32
    .workgroup_processor_mode: 1
  - .args:
      - .offset:         0
        .size:           4
        .value_kind:     by_value
      - .offset:         4
        .size:           4
        .value_kind:     by_value
      - .offset:         8
        .size:           8
        .value_kind:     by_value
      - .actual_access:  read_only
        .address_space:  global
        .offset:         16
        .size:           8
        .value_kind:     global_buffer
      - .actual_access:  read_only
        .address_space:  global
        .offset:         24
        .size:           8
        .value_kind:     global_buffer
      - .actual_access:  read_only
        .address_space:  global
        .offset:         32
        .size:           8
        .value_kind:     global_buffer
      - .actual_access:  read_only
        .address_space:  global
        .offset:         40
        .size:           8
        .value_kind:     global_buffer
      - .offset:         48
        .size:           8
        .value_kind:     by_value
      - .address_space:  global
        .offset:         56
        .size:           8
        .value_kind:     global_buffer
      - .offset:         64
        .size:           4
        .value_kind:     by_value
      - .offset:         68
        .size:           1
        .value_kind:     by_value
    .group_segment_fixed_size: 0
    .kernarg_segment_align: 8
    .kernarg_segment_size: 72
    .language:       OpenCL C
    .language_version:
      - 2
      - 0
    .max_flat_workgroup_size: 128
    .name:           _ZN9rocsparseL19gebsrmvn_4xn_kernelILj128ELj8ELj4EfEEvi20rocsparse_direction_NS_24const_host_device_scalarIT2_EEPKiS6_PKS3_S8_S4_PS3_21rocsparse_index_base_b
    .private_segment_fixed_size: 0
    .sgpr_count:     20
    .sgpr_spill_count: 0
    .symbol:         _ZN9rocsparseL19gebsrmvn_4xn_kernelILj128ELj8ELj4EfEEvi20rocsparse_direction_NS_24const_host_device_scalarIT2_EEPKiS6_PKS3_S8_S4_PS3_21rocsparse_index_base_b.kd
    .uniform_work_group_size: 1
    .uses_dynamic_stack: false
    .vgpr_count:     53
    .vgpr_spill_count: 0
    .wavefront_size: 32
    .workgroup_processor_mode: 1
  - .args:
      - .offset:         0
        .size:           4
        .value_kind:     by_value
      - .offset:         4
        .size:           4
        .value_kind:     by_value
      - .offset:         8
        .size:           8
        .value_kind:     by_value
      - .actual_access:  read_only
        .address_space:  global
        .offset:         16
        .size:           8
        .value_kind:     global_buffer
      - .actual_access:  read_only
        .address_space:  global
        .offset:         24
        .size:           8
        .value_kind:     global_buffer
      - .actual_access:  read_only
        .address_space:  global
        .offset:         32
        .size:           8
        .value_kind:     global_buffer
      - .actual_access:  read_only
        .address_space:  global
        .offset:         40
        .size:           8
        .value_kind:     global_buffer
      - .offset:         48
        .size:           8
        .value_kind:     by_value
      - .address_space:  global
        .offset:         56
        .size:           8
        .value_kind:     global_buffer
      - .offset:         64
        .size:           4
        .value_kind:     by_value
      - .offset:         68
        .size:           1
        .value_kind:     by_value
    .group_segment_fixed_size: 0
    .kernarg_segment_align: 8
    .kernarg_segment_size: 72
    .language:       OpenCL C
    .language_version:
      - 2
      - 0
    .max_flat_workgroup_size: 128
    .name:           _ZN9rocsparseL19gebsrmvn_4xn_kernelILj128ELj8ELj8EfEEvi20rocsparse_direction_NS_24const_host_device_scalarIT2_EEPKiS6_PKS3_S8_S4_PS3_21rocsparse_index_base_b
    .private_segment_fixed_size: 0
    .sgpr_count:     20
    .sgpr_spill_count: 0
    .symbol:         _ZN9rocsparseL19gebsrmvn_4xn_kernelILj128ELj8ELj8EfEEvi20rocsparse_direction_NS_24const_host_device_scalarIT2_EEPKiS6_PKS3_S8_S4_PS3_21rocsparse_index_base_b.kd
    .uniform_work_group_size: 1
    .uses_dynamic_stack: false
    .vgpr_count:     53
    .vgpr_spill_count: 0
    .wavefront_size: 32
    .workgroup_processor_mode: 1
  - .args:
      - .offset:         0
        .size:           4
        .value_kind:     by_value
      - .offset:         4
        .size:           4
        .value_kind:     by_value
      - .offset:         8
        .size:           8
        .value_kind:     by_value
      - .actual_access:  read_only
        .address_space:  global
        .offset:         16
        .size:           8
        .value_kind:     global_buffer
      - .actual_access:  read_only
        .address_space:  global
        .offset:         24
        .size:           8
        .value_kind:     global_buffer
      - .actual_access:  read_only
        .address_space:  global
        .offset:         32
        .size:           8
        .value_kind:     global_buffer
      - .actual_access:  read_only
        .address_space:  global
        .offset:         40
        .size:           8
        .value_kind:     global_buffer
      - .offset:         48
        .size:           8
        .value_kind:     by_value
      - .address_space:  global
        .offset:         56
        .size:           8
        .value_kind:     global_buffer
      - .offset:         64
        .size:           4
        .value_kind:     by_value
      - .offset:         68
        .size:           1
        .value_kind:     by_value
    .group_segment_fixed_size: 0
    .kernarg_segment_align: 8
    .kernarg_segment_size: 72
    .language:       OpenCL C
    .language_version:
      - 2
      - 0
    .max_flat_workgroup_size: 128
    .name:           _ZN9rocsparseL19gebsrmvn_4xn_kernelILj128ELj8ELj16EfEEvi20rocsparse_direction_NS_24const_host_device_scalarIT2_EEPKiS6_PKS3_S8_S4_PS3_21rocsparse_index_base_b
    .private_segment_fixed_size: 0
    .sgpr_count:     20
    .sgpr_spill_count: 0
    .symbol:         _ZN9rocsparseL19gebsrmvn_4xn_kernelILj128ELj8ELj16EfEEvi20rocsparse_direction_NS_24const_host_device_scalarIT2_EEPKiS6_PKS3_S8_S4_PS3_21rocsparse_index_base_b.kd
    .uniform_work_group_size: 1
    .uses_dynamic_stack: false
    .vgpr_count:     53
    .vgpr_spill_count: 0
    .wavefront_size: 32
    .workgroup_processor_mode: 1
  - .args:
      - .offset:         0
        .size:           4
        .value_kind:     by_value
      - .offset:         4
        .size:           4
        .value_kind:     by_value
      - .offset:         8
        .size:           8
        .value_kind:     by_value
      - .actual_access:  read_only
        .address_space:  global
        .offset:         16
        .size:           8
        .value_kind:     global_buffer
      - .actual_access:  read_only
        .address_space:  global
        .offset:         24
        .size:           8
        .value_kind:     global_buffer
      - .actual_access:  read_only
        .address_space:  global
        .offset:         32
        .size:           8
        .value_kind:     global_buffer
      - .actual_access:  read_only
        .address_space:  global
        .offset:         40
        .size:           8
        .value_kind:     global_buffer
      - .offset:         48
        .size:           8
        .value_kind:     by_value
      - .address_space:  global
        .offset:         56
        .size:           8
        .value_kind:     global_buffer
      - .offset:         64
        .size:           4
        .value_kind:     by_value
      - .offset:         68
        .size:           1
        .value_kind:     by_value
    .group_segment_fixed_size: 0
    .kernarg_segment_align: 8
    .kernarg_segment_size: 72
    .language:       OpenCL C
    .language_version:
      - 2
      - 0
    .max_flat_workgroup_size: 128
    .name:           _ZN9rocsparseL19gebsrmvn_4xn_kernelILj128ELj8ELj32EfEEvi20rocsparse_direction_NS_24const_host_device_scalarIT2_EEPKiS6_PKS3_S8_S4_PS3_21rocsparse_index_base_b
    .private_segment_fixed_size: 0
    .sgpr_count:     20
    .sgpr_spill_count: 0
    .symbol:         _ZN9rocsparseL19gebsrmvn_4xn_kernelILj128ELj8ELj32EfEEvi20rocsparse_direction_NS_24const_host_device_scalarIT2_EEPKiS6_PKS3_S8_S4_PS3_21rocsparse_index_base_b.kd
    .uniform_work_group_size: 1
    .uses_dynamic_stack: false
    .vgpr_count:     53
    .vgpr_spill_count: 0
    .wavefront_size: 32
    .workgroup_processor_mode: 1
  - .args:
      - .offset:         0
        .size:           4
        .value_kind:     by_value
      - .offset:         4
        .size:           4
        .value_kind:     by_value
      - .offset:         8
        .size:           8
        .value_kind:     by_value
      - .actual_access:  read_only
        .address_space:  global
        .offset:         16
        .size:           8
        .value_kind:     global_buffer
      - .actual_access:  read_only
        .address_space:  global
        .offset:         24
        .size:           8
        .value_kind:     global_buffer
      - .actual_access:  read_only
        .address_space:  global
        .offset:         32
        .size:           8
        .value_kind:     global_buffer
      - .actual_access:  read_only
        .address_space:  global
        .offset:         40
        .size:           8
        .value_kind:     global_buffer
      - .offset:         48
        .size:           8
        .value_kind:     by_value
      - .address_space:  global
        .offset:         56
        .size:           8
        .value_kind:     global_buffer
      - .offset:         64
        .size:           4
        .value_kind:     by_value
      - .offset:         68
        .size:           1
        .value_kind:     by_value
    .group_segment_fixed_size: 0
    .kernarg_segment_align: 8
    .kernarg_segment_size: 72
    .language:       OpenCL C
    .language_version:
      - 2
      - 0
    .max_flat_workgroup_size: 128
    .name:           _ZN9rocsparseL19gebsrmvn_4xn_kernelILj128ELj8ELj64EfEEvi20rocsparse_direction_NS_24const_host_device_scalarIT2_EEPKiS6_PKS3_S8_S4_PS3_21rocsparse_index_base_b
    .private_segment_fixed_size: 0
    .sgpr_count:     20
    .sgpr_spill_count: 0
    .symbol:         _ZN9rocsparseL19gebsrmvn_4xn_kernelILj128ELj8ELj64EfEEvi20rocsparse_direction_NS_24const_host_device_scalarIT2_EEPKiS6_PKS3_S8_S4_PS3_21rocsparse_index_base_b.kd
    .uniform_work_group_size: 1
    .uses_dynamic_stack: false
    .vgpr_count:     53
    .vgpr_spill_count: 0
    .wavefront_size: 32
    .workgroup_processor_mode: 1
  - .args:
      - .offset:         0
        .size:           4
        .value_kind:     by_value
      - .offset:         4
        .size:           4
        .value_kind:     by_value
      - .offset:         8
        .size:           8
        .value_kind:     by_value
      - .actual_access:  read_only
        .address_space:  global
        .offset:         16
        .size:           8
        .value_kind:     global_buffer
      - .actual_access:  read_only
        .address_space:  global
        .offset:         24
        .size:           8
        .value_kind:     global_buffer
      - .actual_access:  read_only
        .address_space:  global
        .offset:         32
        .size:           8
        .value_kind:     global_buffer
      - .offset:         40
        .size:           4
        .value_kind:     by_value
      - .offset:         44
        .size:           4
        .value_kind:     by_value
      - .actual_access:  read_only
        .address_space:  global
        .offset:         48
        .size:           8
        .value_kind:     global_buffer
      - .offset:         56
        .size:           8
        .value_kind:     by_value
      - .address_space:  global
        .offset:         64
        .size:           8
        .value_kind:     global_buffer
      - .offset:         72
        .size:           4
        .value_kind:     by_value
      - .offset:         76
        .size:           1
        .value_kind:     by_value
    .group_segment_fixed_size: 0
    .kernarg_segment_align: 8
    .kernarg_segment_size: 80
    .language:       OpenCL C
    .language_version:
      - 2
      - 0
    .max_flat_workgroup_size: 64
    .name:           _ZN9rocsparseL23gebsrmvn_general_kernelILj64ELj16EfEEvi20rocsparse_direction_NS_24const_host_device_scalarIT1_EEPKiS6_PKS3_iiS8_S4_PS3_21rocsparse_index_base_b
    .private_segment_fixed_size: 0
    .sgpr_count:     32
    .sgpr_spill_count: 0
    .symbol:         _ZN9rocsparseL23gebsrmvn_general_kernelILj64ELj16EfEEvi20rocsparse_direction_NS_24const_host_device_scalarIT1_EEPKiS6_PKS3_iiS8_S4_PS3_21rocsparse_index_base_b.kd
    .uniform_work_group_size: 1
    .uses_dynamic_stack: false
    .vgpr_count:     14
    .vgpr_spill_count: 0
    .wavefront_size: 32
    .workgroup_processor_mode: 1
  - .args:
      - .offset:         0
        .size:           4
        .value_kind:     by_value
      - .offset:         4
        .size:           4
        .value_kind:     by_value
      - .offset:         8
        .size:           8
        .value_kind:     by_value
      - .actual_access:  read_only
        .address_space:  global
        .offset:         16
        .size:           8
        .value_kind:     global_buffer
      - .actual_access:  read_only
        .address_space:  global
        .offset:         24
        .size:           8
        .value_kind:     global_buffer
      - .actual_access:  read_only
        .address_space:  global
        .offset:         32
        .size:           8
        .value_kind:     global_buffer
      - .offset:         40
        .size:           4
        .value_kind:     by_value
      - .offset:         44
        .size:           4
        .value_kind:     by_value
      - .actual_access:  read_only
        .address_space:  global
        .offset:         48
        .size:           8
        .value_kind:     global_buffer
      - .offset:         56
        .size:           8
        .value_kind:     by_value
      - .address_space:  global
        .offset:         64
        .size:           8
        .value_kind:     global_buffer
      - .offset:         72
        .size:           4
        .value_kind:     by_value
      - .offset:         76
        .size:           1
        .value_kind:     by_value
    .group_segment_fixed_size: 0
    .kernarg_segment_align: 8
    .kernarg_segment_size: 80
    .language:       OpenCL C
    .language_version:
      - 2
      - 0
    .max_flat_workgroup_size: 128
    .name:           _ZN9rocsparseL23gebsrmvn_general_kernelILj128ELj32EfEEvi20rocsparse_direction_NS_24const_host_device_scalarIT1_EEPKiS6_PKS3_iiS8_S4_PS3_21rocsparse_index_base_b
    .private_segment_fixed_size: 0
    .sgpr_count:     32
    .sgpr_spill_count: 0
    .symbol:         _ZN9rocsparseL23gebsrmvn_general_kernelILj128ELj32EfEEvi20rocsparse_direction_NS_24const_host_device_scalarIT1_EEPKiS6_PKS3_iiS8_S4_PS3_21rocsparse_index_base_b.kd
    .uniform_work_group_size: 1
    .uses_dynamic_stack: false
    .vgpr_count:     15
    .vgpr_spill_count: 0
    .wavefront_size: 32
    .workgroup_processor_mode: 1
  - .args:
      - .offset:         0
        .size:           4
        .value_kind:     by_value
      - .offset:         4
        .size:           4
        .value_kind:     by_value
      - .offset:         8
        .size:           8
        .value_kind:     by_value
      - .actual_access:  read_only
        .address_space:  global
        .offset:         16
        .size:           8
        .value_kind:     global_buffer
      - .actual_access:  read_only
        .address_space:  global
        .offset:         24
        .size:           8
        .value_kind:     global_buffer
      - .actual_access:  read_only
        .address_space:  global
        .offset:         32
        .size:           8
        .value_kind:     global_buffer
      - .actual_access:  read_only
        .address_space:  global
        .offset:         40
        .size:           8
        .value_kind:     global_buffer
      - .offset:         48
        .size:           8
        .value_kind:     by_value
      - .address_space:  global
        .offset:         56
        .size:           8
        .value_kind:     global_buffer
      - .offset:         64
        .size:           4
        .value_kind:     by_value
      - .offset:         68
        .size:           1
        .value_kind:     by_value
    .group_segment_fixed_size: 0
    .kernarg_segment_align: 8
    .kernarg_segment_size: 72
    .language:       OpenCL C
    .language_version:
      - 2
      - 0
    .max_flat_workgroup_size: 128
    .name:           _ZN9rocsparseL19gebsrmvn_4xn_kernelILj128ELj1ELj4EdEEvi20rocsparse_direction_NS_24const_host_device_scalarIT2_EEPKiS6_PKS3_S8_S4_PS3_21rocsparse_index_base_b
    .private_segment_fixed_size: 0
    .sgpr_count:     16
    .sgpr_spill_count: 0
    .symbol:         _ZN9rocsparseL19gebsrmvn_4xn_kernelILj128ELj1ELj4EdEEvi20rocsparse_direction_NS_24const_host_device_scalarIT2_EEPKiS6_PKS3_S8_S4_PS3_21rocsparse_index_base_b.kd
    .uniform_work_group_size: 1
    .uses_dynamic_stack: false
    .vgpr_count:     30
    .vgpr_spill_count: 0
    .wavefront_size: 32
    .workgroup_processor_mode: 1
  - .args:
      - .offset:         0
        .size:           4
        .value_kind:     by_value
      - .offset:         4
        .size:           4
        .value_kind:     by_value
      - .offset:         8
        .size:           8
        .value_kind:     by_value
      - .actual_access:  read_only
        .address_space:  global
        .offset:         16
        .size:           8
        .value_kind:     global_buffer
      - .actual_access:  read_only
        .address_space:  global
        .offset:         24
        .size:           8
        .value_kind:     global_buffer
      - .actual_access:  read_only
        .address_space:  global
        .offset:         32
        .size:           8
        .value_kind:     global_buffer
      - .actual_access:  read_only
        .address_space:  global
        .offset:         40
        .size:           8
        .value_kind:     global_buffer
      - .offset:         48
        .size:           8
        .value_kind:     by_value
      - .address_space:  global
        .offset:         56
        .size:           8
        .value_kind:     global_buffer
      - .offset:         64
        .size:           4
        .value_kind:     by_value
      - .offset:         68
        .size:           1
        .value_kind:     by_value
    .group_segment_fixed_size: 0
    .kernarg_segment_align: 8
    .kernarg_segment_size: 72
    .language:       OpenCL C
    .language_version:
      - 2
      - 0
    .max_flat_workgroup_size: 128
    .name:           _ZN9rocsparseL19gebsrmvn_4xn_kernelILj128ELj1ELj8EdEEvi20rocsparse_direction_NS_24const_host_device_scalarIT2_EEPKiS6_PKS3_S8_S4_PS3_21rocsparse_index_base_b
    .private_segment_fixed_size: 0
    .sgpr_count:     16
    .sgpr_spill_count: 0
    .symbol:         _ZN9rocsparseL19gebsrmvn_4xn_kernelILj128ELj1ELj8EdEEvi20rocsparse_direction_NS_24const_host_device_scalarIT2_EEPKiS6_PKS3_S8_S4_PS3_21rocsparse_index_base_b.kd
    .uniform_work_group_size: 1
    .uses_dynamic_stack: false
    .vgpr_count:     30
    .vgpr_spill_count: 0
    .wavefront_size: 32
    .workgroup_processor_mode: 1
  - .args:
      - .offset:         0
        .size:           4
        .value_kind:     by_value
      - .offset:         4
        .size:           4
        .value_kind:     by_value
      - .offset:         8
        .size:           8
        .value_kind:     by_value
      - .actual_access:  read_only
        .address_space:  global
        .offset:         16
        .size:           8
        .value_kind:     global_buffer
      - .actual_access:  read_only
        .address_space:  global
        .offset:         24
        .size:           8
        .value_kind:     global_buffer
      - .actual_access:  read_only
        .address_space:  global
        .offset:         32
        .size:           8
        .value_kind:     global_buffer
      - .actual_access:  read_only
        .address_space:  global
        .offset:         40
        .size:           8
        .value_kind:     global_buffer
      - .offset:         48
        .size:           8
        .value_kind:     by_value
      - .address_space:  global
        .offset:         56
        .size:           8
        .value_kind:     global_buffer
      - .offset:         64
        .size:           4
        .value_kind:     by_value
      - .offset:         68
        .size:           1
        .value_kind:     by_value
    .group_segment_fixed_size: 0
    .kernarg_segment_align: 8
    .kernarg_segment_size: 72
    .language:       OpenCL C
    .language_version:
      - 2
      - 0
    .max_flat_workgroup_size: 128
    .name:           _ZN9rocsparseL19gebsrmvn_4xn_kernelILj128ELj1ELj16EdEEvi20rocsparse_direction_NS_24const_host_device_scalarIT2_EEPKiS6_PKS3_S8_S4_PS3_21rocsparse_index_base_b
    .private_segment_fixed_size: 0
    .sgpr_count:     16
    .sgpr_spill_count: 0
    .symbol:         _ZN9rocsparseL19gebsrmvn_4xn_kernelILj128ELj1ELj16EdEEvi20rocsparse_direction_NS_24const_host_device_scalarIT2_EEPKiS6_PKS3_S8_S4_PS3_21rocsparse_index_base_b.kd
    .uniform_work_group_size: 1
    .uses_dynamic_stack: false
    .vgpr_count:     30
    .vgpr_spill_count: 0
    .wavefront_size: 32
    .workgroup_processor_mode: 1
  - .args:
      - .offset:         0
        .size:           4
        .value_kind:     by_value
      - .offset:         4
        .size:           4
        .value_kind:     by_value
      - .offset:         8
        .size:           8
        .value_kind:     by_value
      - .actual_access:  read_only
        .address_space:  global
        .offset:         16
        .size:           8
        .value_kind:     global_buffer
      - .actual_access:  read_only
        .address_space:  global
        .offset:         24
        .size:           8
        .value_kind:     global_buffer
      - .actual_access:  read_only
        .address_space:  global
        .offset:         32
        .size:           8
        .value_kind:     global_buffer
      - .actual_access:  read_only
        .address_space:  global
        .offset:         40
        .size:           8
        .value_kind:     global_buffer
      - .offset:         48
        .size:           8
        .value_kind:     by_value
      - .address_space:  global
        .offset:         56
        .size:           8
        .value_kind:     global_buffer
      - .offset:         64
        .size:           4
        .value_kind:     by_value
      - .offset:         68
        .size:           1
        .value_kind:     by_value
    .group_segment_fixed_size: 0
    .kernarg_segment_align: 8
    .kernarg_segment_size: 72
    .language:       OpenCL C
    .language_version:
      - 2
      - 0
    .max_flat_workgroup_size: 128
    .name:           _ZN9rocsparseL19gebsrmvn_4xn_kernelILj128ELj1ELj32EdEEvi20rocsparse_direction_NS_24const_host_device_scalarIT2_EEPKiS6_PKS3_S8_S4_PS3_21rocsparse_index_base_b
    .private_segment_fixed_size: 0
    .sgpr_count:     16
    .sgpr_spill_count: 0
    .symbol:         _ZN9rocsparseL19gebsrmvn_4xn_kernelILj128ELj1ELj32EdEEvi20rocsparse_direction_NS_24const_host_device_scalarIT2_EEPKiS6_PKS3_S8_S4_PS3_21rocsparse_index_base_b.kd
    .uniform_work_group_size: 1
    .uses_dynamic_stack: false
    .vgpr_count:     30
    .vgpr_spill_count: 0
    .wavefront_size: 32
    .workgroup_processor_mode: 1
  - .args:
      - .offset:         0
        .size:           4
        .value_kind:     by_value
      - .offset:         4
        .size:           4
        .value_kind:     by_value
      - .offset:         8
        .size:           8
        .value_kind:     by_value
      - .actual_access:  read_only
        .address_space:  global
        .offset:         16
        .size:           8
        .value_kind:     global_buffer
      - .actual_access:  read_only
        .address_space:  global
        .offset:         24
        .size:           8
        .value_kind:     global_buffer
      - .actual_access:  read_only
        .address_space:  global
        .offset:         32
        .size:           8
        .value_kind:     global_buffer
      - .actual_access:  read_only
        .address_space:  global
        .offset:         40
        .size:           8
        .value_kind:     global_buffer
      - .offset:         48
        .size:           8
        .value_kind:     by_value
      - .address_space:  global
        .offset:         56
        .size:           8
        .value_kind:     global_buffer
      - .offset:         64
        .size:           4
        .value_kind:     by_value
      - .offset:         68
        .size:           1
        .value_kind:     by_value
    .group_segment_fixed_size: 0
    .kernarg_segment_align: 8
    .kernarg_segment_size: 72
    .language:       OpenCL C
    .language_version:
      - 2
      - 0
    .max_flat_workgroup_size: 128
    .name:           _ZN9rocsparseL19gebsrmvn_4xn_kernelILj128ELj1ELj64EdEEvi20rocsparse_direction_NS_24const_host_device_scalarIT2_EEPKiS6_PKS3_S8_S4_PS3_21rocsparse_index_base_b
    .private_segment_fixed_size: 0
    .sgpr_count:     16
    .sgpr_spill_count: 0
    .symbol:         _ZN9rocsparseL19gebsrmvn_4xn_kernelILj128ELj1ELj64EdEEvi20rocsparse_direction_NS_24const_host_device_scalarIT2_EEPKiS6_PKS3_S8_S4_PS3_21rocsparse_index_base_b.kd
    .uniform_work_group_size: 1
    .uses_dynamic_stack: false
    .vgpr_count:     30
    .vgpr_spill_count: 0
    .wavefront_size: 32
    .workgroup_processor_mode: 1
  - .args:
      - .offset:         0
        .size:           4
        .value_kind:     by_value
      - .offset:         4
        .size:           4
        .value_kind:     by_value
      - .offset:         8
        .size:           8
        .value_kind:     by_value
      - .actual_access:  read_only
        .address_space:  global
        .offset:         16
        .size:           8
        .value_kind:     global_buffer
      - .actual_access:  read_only
        .address_space:  global
        .offset:         24
        .size:           8
        .value_kind:     global_buffer
      - .actual_access:  read_only
        .address_space:  global
        .offset:         32
        .size:           8
        .value_kind:     global_buffer
      - .actual_access:  read_only
        .address_space:  global
        .offset:         40
        .size:           8
        .value_kind:     global_buffer
      - .offset:         48
        .size:           8
        .value_kind:     by_value
      - .address_space:  global
        .offset:         56
        .size:           8
        .value_kind:     global_buffer
      - .offset:         64
        .size:           4
        .value_kind:     by_value
      - .offset:         68
        .size:           1
        .value_kind:     by_value
    .group_segment_fixed_size: 0
    .kernarg_segment_align: 8
    .kernarg_segment_size: 72
    .language:       OpenCL C
    .language_version:
      - 2
      - 0
    .max_flat_workgroup_size: 128
    .name:           _ZN9rocsparseL19gebsrmvn_4xn_kernelILj128ELj2ELj4EdEEvi20rocsparse_direction_NS_24const_host_device_scalarIT2_EEPKiS6_PKS3_S8_S4_PS3_21rocsparse_index_base_b
    .private_segment_fixed_size: 0
    .sgpr_count:     16
    .sgpr_spill_count: 0
    .symbol:         _ZN9rocsparseL19gebsrmvn_4xn_kernelILj128ELj2ELj4EdEEvi20rocsparse_direction_NS_24const_host_device_scalarIT2_EEPKiS6_PKS3_S8_S4_PS3_21rocsparse_index_base_b.kd
    .uniform_work_group_size: 1
    .uses_dynamic_stack: false
    .vgpr_count:     40
    .vgpr_spill_count: 0
    .wavefront_size: 32
    .workgroup_processor_mode: 1
  - .args:
      - .offset:         0
        .size:           4
        .value_kind:     by_value
      - .offset:         4
        .size:           4
        .value_kind:     by_value
      - .offset:         8
        .size:           8
        .value_kind:     by_value
      - .actual_access:  read_only
        .address_space:  global
        .offset:         16
        .size:           8
        .value_kind:     global_buffer
      - .actual_access:  read_only
        .address_space:  global
        .offset:         24
        .size:           8
        .value_kind:     global_buffer
      - .actual_access:  read_only
        .address_space:  global
        .offset:         32
        .size:           8
        .value_kind:     global_buffer
      - .actual_access:  read_only
        .address_space:  global
        .offset:         40
        .size:           8
        .value_kind:     global_buffer
      - .offset:         48
        .size:           8
        .value_kind:     by_value
      - .address_space:  global
        .offset:         56
        .size:           8
        .value_kind:     global_buffer
      - .offset:         64
        .size:           4
        .value_kind:     by_value
      - .offset:         68
        .size:           1
        .value_kind:     by_value
    .group_segment_fixed_size: 0
    .kernarg_segment_align: 8
    .kernarg_segment_size: 72
    .language:       OpenCL C
    .language_version:
      - 2
      - 0
    .max_flat_workgroup_size: 128
    .name:           _ZN9rocsparseL19gebsrmvn_4xn_kernelILj128ELj2ELj8EdEEvi20rocsparse_direction_NS_24const_host_device_scalarIT2_EEPKiS6_PKS3_S8_S4_PS3_21rocsparse_index_base_b
    .private_segment_fixed_size: 0
    .sgpr_count:     16
    .sgpr_spill_count: 0
    .symbol:         _ZN9rocsparseL19gebsrmvn_4xn_kernelILj128ELj2ELj8EdEEvi20rocsparse_direction_NS_24const_host_device_scalarIT2_EEPKiS6_PKS3_S8_S4_PS3_21rocsparse_index_base_b.kd
    .uniform_work_group_size: 1
    .uses_dynamic_stack: false
    .vgpr_count:     40
    .vgpr_spill_count: 0
    .wavefront_size: 32
    .workgroup_processor_mode: 1
  - .args:
      - .offset:         0
        .size:           4
        .value_kind:     by_value
      - .offset:         4
        .size:           4
        .value_kind:     by_value
      - .offset:         8
        .size:           8
        .value_kind:     by_value
      - .actual_access:  read_only
        .address_space:  global
        .offset:         16
        .size:           8
        .value_kind:     global_buffer
      - .actual_access:  read_only
        .address_space:  global
        .offset:         24
        .size:           8
        .value_kind:     global_buffer
      - .actual_access:  read_only
        .address_space:  global
        .offset:         32
        .size:           8
        .value_kind:     global_buffer
      - .actual_access:  read_only
        .address_space:  global
        .offset:         40
        .size:           8
        .value_kind:     global_buffer
      - .offset:         48
        .size:           8
        .value_kind:     by_value
      - .address_space:  global
        .offset:         56
        .size:           8
        .value_kind:     global_buffer
      - .offset:         64
        .size:           4
        .value_kind:     by_value
      - .offset:         68
        .size:           1
        .value_kind:     by_value
    .group_segment_fixed_size: 0
    .kernarg_segment_align: 8
    .kernarg_segment_size: 72
    .language:       OpenCL C
    .language_version:
      - 2
      - 0
    .max_flat_workgroup_size: 128
    .name:           _ZN9rocsparseL19gebsrmvn_4xn_kernelILj128ELj2ELj16EdEEvi20rocsparse_direction_NS_24const_host_device_scalarIT2_EEPKiS6_PKS3_S8_S4_PS3_21rocsparse_index_base_b
    .private_segment_fixed_size: 0
    .sgpr_count:     16
    .sgpr_spill_count: 0
    .symbol:         _ZN9rocsparseL19gebsrmvn_4xn_kernelILj128ELj2ELj16EdEEvi20rocsparse_direction_NS_24const_host_device_scalarIT2_EEPKiS6_PKS3_S8_S4_PS3_21rocsparse_index_base_b.kd
    .uniform_work_group_size: 1
    .uses_dynamic_stack: false
    .vgpr_count:     40
    .vgpr_spill_count: 0
    .wavefront_size: 32
    .workgroup_processor_mode: 1
  - .args:
      - .offset:         0
        .size:           4
        .value_kind:     by_value
      - .offset:         4
        .size:           4
        .value_kind:     by_value
      - .offset:         8
        .size:           8
        .value_kind:     by_value
      - .actual_access:  read_only
        .address_space:  global
        .offset:         16
        .size:           8
        .value_kind:     global_buffer
      - .actual_access:  read_only
        .address_space:  global
        .offset:         24
        .size:           8
        .value_kind:     global_buffer
      - .actual_access:  read_only
        .address_space:  global
        .offset:         32
        .size:           8
        .value_kind:     global_buffer
      - .actual_access:  read_only
        .address_space:  global
        .offset:         40
        .size:           8
        .value_kind:     global_buffer
      - .offset:         48
        .size:           8
        .value_kind:     by_value
      - .address_space:  global
        .offset:         56
        .size:           8
        .value_kind:     global_buffer
      - .offset:         64
        .size:           4
        .value_kind:     by_value
      - .offset:         68
        .size:           1
        .value_kind:     by_value
    .group_segment_fixed_size: 0
    .kernarg_segment_align: 8
    .kernarg_segment_size: 72
    .language:       OpenCL C
    .language_version:
      - 2
      - 0
    .max_flat_workgroup_size: 128
    .name:           _ZN9rocsparseL19gebsrmvn_4xn_kernelILj128ELj2ELj32EdEEvi20rocsparse_direction_NS_24const_host_device_scalarIT2_EEPKiS6_PKS3_S8_S4_PS3_21rocsparse_index_base_b
    .private_segment_fixed_size: 0
    .sgpr_count:     16
    .sgpr_spill_count: 0
    .symbol:         _ZN9rocsparseL19gebsrmvn_4xn_kernelILj128ELj2ELj32EdEEvi20rocsparse_direction_NS_24const_host_device_scalarIT2_EEPKiS6_PKS3_S8_S4_PS3_21rocsparse_index_base_b.kd
    .uniform_work_group_size: 1
    .uses_dynamic_stack: false
    .vgpr_count:     40
    .vgpr_spill_count: 0
    .wavefront_size: 32
    .workgroup_processor_mode: 1
  - .args:
      - .offset:         0
        .size:           4
        .value_kind:     by_value
      - .offset:         4
        .size:           4
        .value_kind:     by_value
      - .offset:         8
        .size:           8
        .value_kind:     by_value
      - .actual_access:  read_only
        .address_space:  global
        .offset:         16
        .size:           8
        .value_kind:     global_buffer
      - .actual_access:  read_only
        .address_space:  global
        .offset:         24
        .size:           8
        .value_kind:     global_buffer
      - .actual_access:  read_only
        .address_space:  global
        .offset:         32
        .size:           8
        .value_kind:     global_buffer
      - .actual_access:  read_only
        .address_space:  global
        .offset:         40
        .size:           8
        .value_kind:     global_buffer
      - .offset:         48
        .size:           8
        .value_kind:     by_value
      - .address_space:  global
        .offset:         56
        .size:           8
        .value_kind:     global_buffer
      - .offset:         64
        .size:           4
        .value_kind:     by_value
      - .offset:         68
        .size:           1
        .value_kind:     by_value
    .group_segment_fixed_size: 0
    .kernarg_segment_align: 8
    .kernarg_segment_size: 72
    .language:       OpenCL C
    .language_version:
      - 2
      - 0
    .max_flat_workgroup_size: 128
    .name:           _ZN9rocsparseL19gebsrmvn_4xn_kernelILj128ELj2ELj64EdEEvi20rocsparse_direction_NS_24const_host_device_scalarIT2_EEPKiS6_PKS3_S8_S4_PS3_21rocsparse_index_base_b
    .private_segment_fixed_size: 0
    .sgpr_count:     16
    .sgpr_spill_count: 0
    .symbol:         _ZN9rocsparseL19gebsrmvn_4xn_kernelILj128ELj2ELj64EdEEvi20rocsparse_direction_NS_24const_host_device_scalarIT2_EEPKiS6_PKS3_S8_S4_PS3_21rocsparse_index_base_b.kd
    .uniform_work_group_size: 1
    .uses_dynamic_stack: false
    .vgpr_count:     40
    .vgpr_spill_count: 0
    .wavefront_size: 32
    .workgroup_processor_mode: 1
  - .args:
      - .offset:         0
        .size:           4
        .value_kind:     by_value
      - .offset:         4
        .size:           4
        .value_kind:     by_value
      - .offset:         8
        .size:           8
        .value_kind:     by_value
      - .actual_access:  read_only
        .address_space:  global
        .offset:         16
        .size:           8
        .value_kind:     global_buffer
      - .actual_access:  read_only
        .address_space:  global
        .offset:         24
        .size:           8
        .value_kind:     global_buffer
      - .actual_access:  read_only
        .address_space:  global
        .offset:         32
        .size:           8
        .value_kind:     global_buffer
      - .actual_access:  read_only
        .address_space:  global
        .offset:         40
        .size:           8
        .value_kind:     global_buffer
      - .offset:         48
        .size:           8
        .value_kind:     by_value
      - .address_space:  global
        .offset:         56
        .size:           8
        .value_kind:     global_buffer
      - .offset:         64
        .size:           4
        .value_kind:     by_value
      - .offset:         68
        .size:           1
        .value_kind:     by_value
    .group_segment_fixed_size: 0
    .kernarg_segment_align: 8
    .kernarg_segment_size: 72
    .language:       OpenCL C
    .language_version:
      - 2
      - 0
    .max_flat_workgroup_size: 128
    .name:           _ZN9rocsparseL19gebsrmvn_4xn_kernelILj128ELj3ELj4EdEEvi20rocsparse_direction_NS_24const_host_device_scalarIT2_EEPKiS6_PKS3_S8_S4_PS3_21rocsparse_index_base_b
    .private_segment_fixed_size: 0
    .sgpr_count:     16
    .sgpr_spill_count: 0
    .symbol:         _ZN9rocsparseL19gebsrmvn_4xn_kernelILj128ELj3ELj4EdEEvi20rocsparse_direction_NS_24const_host_device_scalarIT2_EEPKiS6_PKS3_S8_S4_PS3_21rocsparse_index_base_b.kd
    .uniform_work_group_size: 1
    .uses_dynamic_stack: false
    .vgpr_count:     51
    .vgpr_spill_count: 0
    .wavefront_size: 32
    .workgroup_processor_mode: 1
  - .args:
      - .offset:         0
        .size:           4
        .value_kind:     by_value
      - .offset:         4
        .size:           4
        .value_kind:     by_value
      - .offset:         8
        .size:           8
        .value_kind:     by_value
      - .actual_access:  read_only
        .address_space:  global
        .offset:         16
        .size:           8
        .value_kind:     global_buffer
      - .actual_access:  read_only
        .address_space:  global
        .offset:         24
        .size:           8
        .value_kind:     global_buffer
      - .actual_access:  read_only
        .address_space:  global
        .offset:         32
        .size:           8
        .value_kind:     global_buffer
      - .actual_access:  read_only
        .address_space:  global
        .offset:         40
        .size:           8
        .value_kind:     global_buffer
      - .offset:         48
        .size:           8
        .value_kind:     by_value
      - .address_space:  global
        .offset:         56
        .size:           8
        .value_kind:     global_buffer
      - .offset:         64
        .size:           4
        .value_kind:     by_value
      - .offset:         68
        .size:           1
        .value_kind:     by_value
    .group_segment_fixed_size: 0
    .kernarg_segment_align: 8
    .kernarg_segment_size: 72
    .language:       OpenCL C
    .language_version:
      - 2
      - 0
    .max_flat_workgroup_size: 128
    .name:           _ZN9rocsparseL19gebsrmvn_4xn_kernelILj128ELj3ELj8EdEEvi20rocsparse_direction_NS_24const_host_device_scalarIT2_EEPKiS6_PKS3_S8_S4_PS3_21rocsparse_index_base_b
    .private_segment_fixed_size: 0
    .sgpr_count:     16
    .sgpr_spill_count: 0
    .symbol:         _ZN9rocsparseL19gebsrmvn_4xn_kernelILj128ELj3ELj8EdEEvi20rocsparse_direction_NS_24const_host_device_scalarIT2_EEPKiS6_PKS3_S8_S4_PS3_21rocsparse_index_base_b.kd
    .uniform_work_group_size: 1
    .uses_dynamic_stack: false
    .vgpr_count:     49
    .vgpr_spill_count: 0
    .wavefront_size: 32
    .workgroup_processor_mode: 1
  - .args:
      - .offset:         0
        .size:           4
        .value_kind:     by_value
      - .offset:         4
        .size:           4
        .value_kind:     by_value
      - .offset:         8
        .size:           8
        .value_kind:     by_value
      - .actual_access:  read_only
        .address_space:  global
        .offset:         16
        .size:           8
        .value_kind:     global_buffer
      - .actual_access:  read_only
        .address_space:  global
        .offset:         24
        .size:           8
        .value_kind:     global_buffer
      - .actual_access:  read_only
        .address_space:  global
        .offset:         32
        .size:           8
        .value_kind:     global_buffer
      - .actual_access:  read_only
        .address_space:  global
        .offset:         40
        .size:           8
        .value_kind:     global_buffer
      - .offset:         48
        .size:           8
        .value_kind:     by_value
      - .address_space:  global
        .offset:         56
        .size:           8
        .value_kind:     global_buffer
      - .offset:         64
        .size:           4
        .value_kind:     by_value
      - .offset:         68
        .size:           1
        .value_kind:     by_value
    .group_segment_fixed_size: 0
    .kernarg_segment_align: 8
    .kernarg_segment_size: 72
    .language:       OpenCL C
    .language_version:
      - 2
      - 0
    .max_flat_workgroup_size: 128
    .name:           _ZN9rocsparseL19gebsrmvn_4xn_kernelILj128ELj3ELj16EdEEvi20rocsparse_direction_NS_24const_host_device_scalarIT2_EEPKiS6_PKS3_S8_S4_PS3_21rocsparse_index_base_b
    .private_segment_fixed_size: 0
    .sgpr_count:     16
    .sgpr_spill_count: 0
    .symbol:         _ZN9rocsparseL19gebsrmvn_4xn_kernelILj128ELj3ELj16EdEEvi20rocsparse_direction_NS_24const_host_device_scalarIT2_EEPKiS6_PKS3_S8_S4_PS3_21rocsparse_index_base_b.kd
    .uniform_work_group_size: 1
    .uses_dynamic_stack: false
    .vgpr_count:     49
    .vgpr_spill_count: 0
    .wavefront_size: 32
    .workgroup_processor_mode: 1
  - .args:
      - .offset:         0
        .size:           4
        .value_kind:     by_value
      - .offset:         4
        .size:           4
        .value_kind:     by_value
      - .offset:         8
        .size:           8
        .value_kind:     by_value
      - .actual_access:  read_only
        .address_space:  global
        .offset:         16
        .size:           8
        .value_kind:     global_buffer
      - .actual_access:  read_only
        .address_space:  global
        .offset:         24
        .size:           8
        .value_kind:     global_buffer
      - .actual_access:  read_only
        .address_space:  global
        .offset:         32
        .size:           8
        .value_kind:     global_buffer
      - .actual_access:  read_only
        .address_space:  global
        .offset:         40
        .size:           8
        .value_kind:     global_buffer
      - .offset:         48
        .size:           8
        .value_kind:     by_value
      - .address_space:  global
        .offset:         56
        .size:           8
        .value_kind:     global_buffer
      - .offset:         64
        .size:           4
        .value_kind:     by_value
      - .offset:         68
        .size:           1
        .value_kind:     by_value
    .group_segment_fixed_size: 0
    .kernarg_segment_align: 8
    .kernarg_segment_size: 72
    .language:       OpenCL C
    .language_version:
      - 2
      - 0
    .max_flat_workgroup_size: 128
    .name:           _ZN9rocsparseL19gebsrmvn_4xn_kernelILj128ELj3ELj32EdEEvi20rocsparse_direction_NS_24const_host_device_scalarIT2_EEPKiS6_PKS3_S8_S4_PS3_21rocsparse_index_base_b
    .private_segment_fixed_size: 0
    .sgpr_count:     16
    .sgpr_spill_count: 0
    .symbol:         _ZN9rocsparseL19gebsrmvn_4xn_kernelILj128ELj3ELj32EdEEvi20rocsparse_direction_NS_24const_host_device_scalarIT2_EEPKiS6_PKS3_S8_S4_PS3_21rocsparse_index_base_b.kd
    .uniform_work_group_size: 1
    .uses_dynamic_stack: false
    .vgpr_count:     49
    .vgpr_spill_count: 0
    .wavefront_size: 32
    .workgroup_processor_mode: 1
  - .args:
      - .offset:         0
        .size:           4
        .value_kind:     by_value
      - .offset:         4
        .size:           4
        .value_kind:     by_value
      - .offset:         8
        .size:           8
        .value_kind:     by_value
      - .actual_access:  read_only
        .address_space:  global
        .offset:         16
        .size:           8
        .value_kind:     global_buffer
      - .actual_access:  read_only
        .address_space:  global
        .offset:         24
        .size:           8
        .value_kind:     global_buffer
      - .actual_access:  read_only
        .address_space:  global
        .offset:         32
        .size:           8
        .value_kind:     global_buffer
      - .actual_access:  read_only
        .address_space:  global
        .offset:         40
        .size:           8
        .value_kind:     global_buffer
      - .offset:         48
        .size:           8
        .value_kind:     by_value
      - .address_space:  global
        .offset:         56
        .size:           8
        .value_kind:     global_buffer
      - .offset:         64
        .size:           4
        .value_kind:     by_value
      - .offset:         68
        .size:           1
        .value_kind:     by_value
    .group_segment_fixed_size: 0
    .kernarg_segment_align: 8
    .kernarg_segment_size: 72
    .language:       OpenCL C
    .language_version:
      - 2
      - 0
    .max_flat_workgroup_size: 128
    .name:           _ZN9rocsparseL19gebsrmvn_4xn_kernelILj128ELj3ELj64EdEEvi20rocsparse_direction_NS_24const_host_device_scalarIT2_EEPKiS6_PKS3_S8_S4_PS3_21rocsparse_index_base_b
    .private_segment_fixed_size: 0
    .sgpr_count:     16
    .sgpr_spill_count: 0
    .symbol:         _ZN9rocsparseL19gebsrmvn_4xn_kernelILj128ELj3ELj64EdEEvi20rocsparse_direction_NS_24const_host_device_scalarIT2_EEPKiS6_PKS3_S8_S4_PS3_21rocsparse_index_base_b.kd
    .uniform_work_group_size: 1
    .uses_dynamic_stack: false
    .vgpr_count:     49
    .vgpr_spill_count: 0
    .wavefront_size: 32
    .workgroup_processor_mode: 1
  - .args:
      - .offset:         0
        .size:           4
        .value_kind:     by_value
      - .offset:         4
        .size:           4
        .value_kind:     by_value
      - .offset:         8
        .size:           8
        .value_kind:     by_value
      - .actual_access:  read_only
        .address_space:  global
        .offset:         16
        .size:           8
        .value_kind:     global_buffer
      - .actual_access:  read_only
        .address_space:  global
        .offset:         24
        .size:           8
        .value_kind:     global_buffer
      - .actual_access:  read_only
        .address_space:  global
        .offset:         32
        .size:           8
        .value_kind:     global_buffer
      - .actual_access:  read_only
        .address_space:  global
        .offset:         40
        .size:           8
        .value_kind:     global_buffer
      - .offset:         48
        .size:           8
        .value_kind:     by_value
      - .address_space:  global
        .offset:         56
        .size:           8
        .value_kind:     global_buffer
      - .offset:         64
        .size:           4
        .value_kind:     by_value
      - .offset:         68
        .size:           1
        .value_kind:     by_value
    .group_segment_fixed_size: 0
    .kernarg_segment_align: 8
    .kernarg_segment_size: 72
    .language:       OpenCL C
    .language_version:
      - 2
      - 0
    .max_flat_workgroup_size: 128
    .name:           _ZN9rocsparseL19gebsrmvn_4xn_kernelILj128ELj5ELj4EdEEvi20rocsparse_direction_NS_24const_host_device_scalarIT2_EEPKiS6_PKS3_S8_S4_PS3_21rocsparse_index_base_b
    .private_segment_fixed_size: 0
    .sgpr_count:     16
    .sgpr_spill_count: 0
    .symbol:         _ZN9rocsparseL19gebsrmvn_4xn_kernelILj128ELj5ELj4EdEEvi20rocsparse_direction_NS_24const_host_device_scalarIT2_EEPKiS6_PKS3_S8_S4_PS3_21rocsparse_index_base_b.kd
    .uniform_work_group_size: 1
    .uses_dynamic_stack: false
    .vgpr_count:     72
    .vgpr_spill_count: 0
    .wavefront_size: 32
    .workgroup_processor_mode: 1
  - .args:
      - .offset:         0
        .size:           4
        .value_kind:     by_value
      - .offset:         4
        .size:           4
        .value_kind:     by_value
      - .offset:         8
        .size:           8
        .value_kind:     by_value
      - .actual_access:  read_only
        .address_space:  global
        .offset:         16
        .size:           8
        .value_kind:     global_buffer
      - .actual_access:  read_only
        .address_space:  global
        .offset:         24
        .size:           8
        .value_kind:     global_buffer
      - .actual_access:  read_only
        .address_space:  global
        .offset:         32
        .size:           8
        .value_kind:     global_buffer
      - .actual_access:  read_only
        .address_space:  global
        .offset:         40
        .size:           8
        .value_kind:     global_buffer
      - .offset:         48
        .size:           8
        .value_kind:     by_value
      - .address_space:  global
        .offset:         56
        .size:           8
        .value_kind:     global_buffer
      - .offset:         64
        .size:           4
        .value_kind:     by_value
      - .offset:         68
        .size:           1
        .value_kind:     by_value
    .group_segment_fixed_size: 0
    .kernarg_segment_align: 8
    .kernarg_segment_size: 72
    .language:       OpenCL C
    .language_version:
      - 2
      - 0
    .max_flat_workgroup_size: 128
    .name:           _ZN9rocsparseL19gebsrmvn_4xn_kernelILj128ELj5ELj8EdEEvi20rocsparse_direction_NS_24const_host_device_scalarIT2_EEPKiS6_PKS3_S8_S4_PS3_21rocsparse_index_base_b
    .private_segment_fixed_size: 0
    .sgpr_count:     16
    .sgpr_spill_count: 0
    .symbol:         _ZN9rocsparseL19gebsrmvn_4xn_kernelILj128ELj5ELj8EdEEvi20rocsparse_direction_NS_24const_host_device_scalarIT2_EEPKiS6_PKS3_S8_S4_PS3_21rocsparse_index_base_b.kd
    .uniform_work_group_size: 1
    .uses_dynamic_stack: false
    .vgpr_count:     72
    .vgpr_spill_count: 0
    .wavefront_size: 32
    .workgroup_processor_mode: 1
  - .args:
      - .offset:         0
        .size:           4
        .value_kind:     by_value
      - .offset:         4
        .size:           4
        .value_kind:     by_value
      - .offset:         8
        .size:           8
        .value_kind:     by_value
      - .actual_access:  read_only
        .address_space:  global
        .offset:         16
        .size:           8
        .value_kind:     global_buffer
      - .actual_access:  read_only
        .address_space:  global
        .offset:         24
        .size:           8
        .value_kind:     global_buffer
      - .actual_access:  read_only
        .address_space:  global
        .offset:         32
        .size:           8
        .value_kind:     global_buffer
      - .actual_access:  read_only
        .address_space:  global
        .offset:         40
        .size:           8
        .value_kind:     global_buffer
      - .offset:         48
        .size:           8
        .value_kind:     by_value
      - .address_space:  global
        .offset:         56
        .size:           8
        .value_kind:     global_buffer
      - .offset:         64
        .size:           4
        .value_kind:     by_value
      - .offset:         68
        .size:           1
        .value_kind:     by_value
    .group_segment_fixed_size: 0
    .kernarg_segment_align: 8
    .kernarg_segment_size: 72
    .language:       OpenCL C
    .language_version:
      - 2
      - 0
    .max_flat_workgroup_size: 128
    .name:           _ZN9rocsparseL19gebsrmvn_4xn_kernelILj128ELj5ELj16EdEEvi20rocsparse_direction_NS_24const_host_device_scalarIT2_EEPKiS6_PKS3_S8_S4_PS3_21rocsparse_index_base_b
    .private_segment_fixed_size: 0
    .sgpr_count:     16
    .sgpr_spill_count: 0
    .symbol:         _ZN9rocsparseL19gebsrmvn_4xn_kernelILj128ELj5ELj16EdEEvi20rocsparse_direction_NS_24const_host_device_scalarIT2_EEPKiS6_PKS3_S8_S4_PS3_21rocsparse_index_base_b.kd
    .uniform_work_group_size: 1
    .uses_dynamic_stack: false
    .vgpr_count:     71
    .vgpr_spill_count: 0
    .wavefront_size: 32
    .workgroup_processor_mode: 1
  - .args:
      - .offset:         0
        .size:           4
        .value_kind:     by_value
      - .offset:         4
        .size:           4
        .value_kind:     by_value
      - .offset:         8
        .size:           8
        .value_kind:     by_value
      - .actual_access:  read_only
        .address_space:  global
        .offset:         16
        .size:           8
        .value_kind:     global_buffer
      - .actual_access:  read_only
        .address_space:  global
        .offset:         24
        .size:           8
        .value_kind:     global_buffer
      - .actual_access:  read_only
        .address_space:  global
        .offset:         32
        .size:           8
        .value_kind:     global_buffer
      - .actual_access:  read_only
        .address_space:  global
        .offset:         40
        .size:           8
        .value_kind:     global_buffer
      - .offset:         48
        .size:           8
        .value_kind:     by_value
      - .address_space:  global
        .offset:         56
        .size:           8
        .value_kind:     global_buffer
      - .offset:         64
        .size:           4
        .value_kind:     by_value
      - .offset:         68
        .size:           1
        .value_kind:     by_value
    .group_segment_fixed_size: 0
    .kernarg_segment_align: 8
    .kernarg_segment_size: 72
    .language:       OpenCL C
    .language_version:
      - 2
      - 0
    .max_flat_workgroup_size: 128
    .name:           _ZN9rocsparseL19gebsrmvn_4xn_kernelILj128ELj5ELj32EdEEvi20rocsparse_direction_NS_24const_host_device_scalarIT2_EEPKiS6_PKS3_S8_S4_PS3_21rocsparse_index_base_b
    .private_segment_fixed_size: 0
    .sgpr_count:     16
    .sgpr_spill_count: 0
    .symbol:         _ZN9rocsparseL19gebsrmvn_4xn_kernelILj128ELj5ELj32EdEEvi20rocsparse_direction_NS_24const_host_device_scalarIT2_EEPKiS6_PKS3_S8_S4_PS3_21rocsparse_index_base_b.kd
    .uniform_work_group_size: 1
    .uses_dynamic_stack: false
    .vgpr_count:     71
    .vgpr_spill_count: 0
    .wavefront_size: 32
    .workgroup_processor_mode: 1
  - .args:
      - .offset:         0
        .size:           4
        .value_kind:     by_value
      - .offset:         4
        .size:           4
        .value_kind:     by_value
      - .offset:         8
        .size:           8
        .value_kind:     by_value
      - .actual_access:  read_only
        .address_space:  global
        .offset:         16
        .size:           8
        .value_kind:     global_buffer
      - .actual_access:  read_only
        .address_space:  global
        .offset:         24
        .size:           8
        .value_kind:     global_buffer
      - .actual_access:  read_only
        .address_space:  global
        .offset:         32
        .size:           8
        .value_kind:     global_buffer
      - .actual_access:  read_only
        .address_space:  global
        .offset:         40
        .size:           8
        .value_kind:     global_buffer
      - .offset:         48
        .size:           8
        .value_kind:     by_value
      - .address_space:  global
        .offset:         56
        .size:           8
        .value_kind:     global_buffer
      - .offset:         64
        .size:           4
        .value_kind:     by_value
      - .offset:         68
        .size:           1
        .value_kind:     by_value
    .group_segment_fixed_size: 0
    .kernarg_segment_align: 8
    .kernarg_segment_size: 72
    .language:       OpenCL C
    .language_version:
      - 2
      - 0
    .max_flat_workgroup_size: 128
    .name:           _ZN9rocsparseL19gebsrmvn_4xn_kernelILj128ELj5ELj64EdEEvi20rocsparse_direction_NS_24const_host_device_scalarIT2_EEPKiS6_PKS3_S8_S4_PS3_21rocsparse_index_base_b
    .private_segment_fixed_size: 0
    .sgpr_count:     16
    .sgpr_spill_count: 0
    .symbol:         _ZN9rocsparseL19gebsrmvn_4xn_kernelILj128ELj5ELj64EdEEvi20rocsparse_direction_NS_24const_host_device_scalarIT2_EEPKiS6_PKS3_S8_S4_PS3_21rocsparse_index_base_b.kd
    .uniform_work_group_size: 1
    .uses_dynamic_stack: false
    .vgpr_count:     71
    .vgpr_spill_count: 0
    .wavefront_size: 32
    .workgroup_processor_mode: 1
  - .args:
      - .offset:         0
        .size:           4
        .value_kind:     by_value
      - .offset:         4
        .size:           4
        .value_kind:     by_value
      - .offset:         8
        .size:           8
        .value_kind:     by_value
      - .actual_access:  read_only
        .address_space:  global
        .offset:         16
        .size:           8
        .value_kind:     global_buffer
      - .actual_access:  read_only
        .address_space:  global
        .offset:         24
        .size:           8
        .value_kind:     global_buffer
      - .actual_access:  read_only
        .address_space:  global
        .offset:         32
        .size:           8
        .value_kind:     global_buffer
      - .actual_access:  read_only
        .address_space:  global
        .offset:         40
        .size:           8
        .value_kind:     global_buffer
      - .offset:         48
        .size:           8
        .value_kind:     by_value
      - .address_space:  global
        .offset:         56
        .size:           8
        .value_kind:     global_buffer
      - .offset:         64
        .size:           4
        .value_kind:     by_value
      - .offset:         68
        .size:           1
        .value_kind:     by_value
    .group_segment_fixed_size: 0
    .kernarg_segment_align: 8
    .kernarg_segment_size: 72
    .language:       OpenCL C
    .language_version:
      - 2
      - 0
    .max_flat_workgroup_size: 128
    .name:           _ZN9rocsparseL19gebsrmvn_4xn_kernelILj128ELj6ELj4EdEEvi20rocsparse_direction_NS_24const_host_device_scalarIT2_EEPKiS6_PKS3_S8_S4_PS3_21rocsparse_index_base_b
    .private_segment_fixed_size: 0
    .sgpr_count:     16
    .sgpr_spill_count: 0
    .symbol:         _ZN9rocsparseL19gebsrmvn_4xn_kernelILj128ELj6ELj4EdEEvi20rocsparse_direction_NS_24const_host_device_scalarIT2_EEPKiS6_PKS3_S8_S4_PS3_21rocsparse_index_base_b.kd
    .uniform_work_group_size: 1
    .uses_dynamic_stack: false
    .vgpr_count:     82
    .vgpr_spill_count: 0
    .wavefront_size: 32
    .workgroup_processor_mode: 1
  - .args:
      - .offset:         0
        .size:           4
        .value_kind:     by_value
      - .offset:         4
        .size:           4
        .value_kind:     by_value
      - .offset:         8
        .size:           8
        .value_kind:     by_value
      - .actual_access:  read_only
        .address_space:  global
        .offset:         16
        .size:           8
        .value_kind:     global_buffer
      - .actual_access:  read_only
        .address_space:  global
        .offset:         24
        .size:           8
        .value_kind:     global_buffer
      - .actual_access:  read_only
        .address_space:  global
        .offset:         32
        .size:           8
        .value_kind:     global_buffer
      - .actual_access:  read_only
        .address_space:  global
        .offset:         40
        .size:           8
        .value_kind:     global_buffer
      - .offset:         48
        .size:           8
        .value_kind:     by_value
      - .address_space:  global
        .offset:         56
        .size:           8
        .value_kind:     global_buffer
      - .offset:         64
        .size:           4
        .value_kind:     by_value
      - .offset:         68
        .size:           1
        .value_kind:     by_value
    .group_segment_fixed_size: 0
    .kernarg_segment_align: 8
    .kernarg_segment_size: 72
    .language:       OpenCL C
    .language_version:
      - 2
      - 0
    .max_flat_workgroup_size: 128
    .name:           _ZN9rocsparseL19gebsrmvn_4xn_kernelILj128ELj6ELj8EdEEvi20rocsparse_direction_NS_24const_host_device_scalarIT2_EEPKiS6_PKS3_S8_S4_PS3_21rocsparse_index_base_b
    .private_segment_fixed_size: 0
    .sgpr_count:     16
    .sgpr_spill_count: 0
    .symbol:         _ZN9rocsparseL19gebsrmvn_4xn_kernelILj128ELj6ELj8EdEEvi20rocsparse_direction_NS_24const_host_device_scalarIT2_EEPKiS6_PKS3_S8_S4_PS3_21rocsparse_index_base_b.kd
    .uniform_work_group_size: 1
    .uses_dynamic_stack: false
    .vgpr_count:     82
    .vgpr_spill_count: 0
    .wavefront_size: 32
    .workgroup_processor_mode: 1
  - .args:
      - .offset:         0
        .size:           4
        .value_kind:     by_value
      - .offset:         4
        .size:           4
        .value_kind:     by_value
      - .offset:         8
        .size:           8
        .value_kind:     by_value
      - .actual_access:  read_only
        .address_space:  global
        .offset:         16
        .size:           8
        .value_kind:     global_buffer
      - .actual_access:  read_only
        .address_space:  global
        .offset:         24
        .size:           8
        .value_kind:     global_buffer
      - .actual_access:  read_only
        .address_space:  global
        .offset:         32
        .size:           8
        .value_kind:     global_buffer
      - .actual_access:  read_only
        .address_space:  global
        .offset:         40
        .size:           8
        .value_kind:     global_buffer
      - .offset:         48
        .size:           8
        .value_kind:     by_value
      - .address_space:  global
        .offset:         56
        .size:           8
        .value_kind:     global_buffer
      - .offset:         64
        .size:           4
        .value_kind:     by_value
      - .offset:         68
        .size:           1
        .value_kind:     by_value
    .group_segment_fixed_size: 0
    .kernarg_segment_align: 8
    .kernarg_segment_size: 72
    .language:       OpenCL C
    .language_version:
      - 2
      - 0
    .max_flat_workgroup_size: 128
    .name:           _ZN9rocsparseL19gebsrmvn_4xn_kernelILj128ELj6ELj16EdEEvi20rocsparse_direction_NS_24const_host_device_scalarIT2_EEPKiS6_PKS3_S8_S4_PS3_21rocsparse_index_base_b
    .private_segment_fixed_size: 0
    .sgpr_count:     16
    .sgpr_spill_count: 0
    .symbol:         _ZN9rocsparseL19gebsrmvn_4xn_kernelILj128ELj6ELj16EdEEvi20rocsparse_direction_NS_24const_host_device_scalarIT2_EEPKiS6_PKS3_S8_S4_PS3_21rocsparse_index_base_b.kd
    .uniform_work_group_size: 1
    .uses_dynamic_stack: false
    .vgpr_count:     81
    .vgpr_spill_count: 0
    .wavefront_size: 32
    .workgroup_processor_mode: 1
  - .args:
      - .offset:         0
        .size:           4
        .value_kind:     by_value
      - .offset:         4
        .size:           4
        .value_kind:     by_value
      - .offset:         8
        .size:           8
        .value_kind:     by_value
      - .actual_access:  read_only
        .address_space:  global
        .offset:         16
        .size:           8
        .value_kind:     global_buffer
      - .actual_access:  read_only
        .address_space:  global
        .offset:         24
        .size:           8
        .value_kind:     global_buffer
      - .actual_access:  read_only
        .address_space:  global
        .offset:         32
        .size:           8
        .value_kind:     global_buffer
      - .actual_access:  read_only
        .address_space:  global
        .offset:         40
        .size:           8
        .value_kind:     global_buffer
      - .offset:         48
        .size:           8
        .value_kind:     by_value
      - .address_space:  global
        .offset:         56
        .size:           8
        .value_kind:     global_buffer
      - .offset:         64
        .size:           4
        .value_kind:     by_value
      - .offset:         68
        .size:           1
        .value_kind:     by_value
    .group_segment_fixed_size: 0
    .kernarg_segment_align: 8
    .kernarg_segment_size: 72
    .language:       OpenCL C
    .language_version:
      - 2
      - 0
    .max_flat_workgroup_size: 128
    .name:           _ZN9rocsparseL19gebsrmvn_4xn_kernelILj128ELj6ELj32EdEEvi20rocsparse_direction_NS_24const_host_device_scalarIT2_EEPKiS6_PKS3_S8_S4_PS3_21rocsparse_index_base_b
    .private_segment_fixed_size: 0
    .sgpr_count:     16
    .sgpr_spill_count: 0
    .symbol:         _ZN9rocsparseL19gebsrmvn_4xn_kernelILj128ELj6ELj32EdEEvi20rocsparse_direction_NS_24const_host_device_scalarIT2_EEPKiS6_PKS3_S8_S4_PS3_21rocsparse_index_base_b.kd
    .uniform_work_group_size: 1
    .uses_dynamic_stack: false
    .vgpr_count:     81
    .vgpr_spill_count: 0
    .wavefront_size: 32
    .workgroup_processor_mode: 1
  - .args:
      - .offset:         0
        .size:           4
        .value_kind:     by_value
      - .offset:         4
        .size:           4
        .value_kind:     by_value
      - .offset:         8
        .size:           8
        .value_kind:     by_value
      - .actual_access:  read_only
        .address_space:  global
        .offset:         16
        .size:           8
        .value_kind:     global_buffer
      - .actual_access:  read_only
        .address_space:  global
        .offset:         24
        .size:           8
        .value_kind:     global_buffer
      - .actual_access:  read_only
        .address_space:  global
        .offset:         32
        .size:           8
        .value_kind:     global_buffer
      - .actual_access:  read_only
        .address_space:  global
        .offset:         40
        .size:           8
        .value_kind:     global_buffer
      - .offset:         48
        .size:           8
        .value_kind:     by_value
      - .address_space:  global
        .offset:         56
        .size:           8
        .value_kind:     global_buffer
      - .offset:         64
        .size:           4
        .value_kind:     by_value
      - .offset:         68
        .size:           1
        .value_kind:     by_value
    .group_segment_fixed_size: 0
    .kernarg_segment_align: 8
    .kernarg_segment_size: 72
    .language:       OpenCL C
    .language_version:
      - 2
      - 0
    .max_flat_workgroup_size: 128
    .name:           _ZN9rocsparseL19gebsrmvn_4xn_kernelILj128ELj6ELj64EdEEvi20rocsparse_direction_NS_24const_host_device_scalarIT2_EEPKiS6_PKS3_S8_S4_PS3_21rocsparse_index_base_b
    .private_segment_fixed_size: 0
    .sgpr_count:     16
    .sgpr_spill_count: 0
    .symbol:         _ZN9rocsparseL19gebsrmvn_4xn_kernelILj128ELj6ELj64EdEEvi20rocsparse_direction_NS_24const_host_device_scalarIT2_EEPKiS6_PKS3_S8_S4_PS3_21rocsparse_index_base_b.kd
    .uniform_work_group_size: 1
    .uses_dynamic_stack: false
    .vgpr_count:     81
    .vgpr_spill_count: 0
    .wavefront_size: 32
    .workgroup_processor_mode: 1
  - .args:
      - .offset:         0
        .size:           4
        .value_kind:     by_value
      - .offset:         4
        .size:           4
        .value_kind:     by_value
      - .offset:         8
        .size:           8
        .value_kind:     by_value
      - .actual_access:  read_only
        .address_space:  global
        .offset:         16
        .size:           8
        .value_kind:     global_buffer
      - .actual_access:  read_only
        .address_space:  global
        .offset:         24
        .size:           8
        .value_kind:     global_buffer
      - .actual_access:  read_only
        .address_space:  global
        .offset:         32
        .size:           8
        .value_kind:     global_buffer
      - .actual_access:  read_only
        .address_space:  global
        .offset:         40
        .size:           8
        .value_kind:     global_buffer
      - .offset:         48
        .size:           8
        .value_kind:     by_value
      - .address_space:  global
        .offset:         56
        .size:           8
        .value_kind:     global_buffer
      - .offset:         64
        .size:           4
        .value_kind:     by_value
      - .offset:         68
        .size:           1
        .value_kind:     by_value
    .group_segment_fixed_size: 0
    .kernarg_segment_align: 8
    .kernarg_segment_size: 72
    .language:       OpenCL C
    .language_version:
      - 2
      - 0
    .max_flat_workgroup_size: 128
    .name:           _ZN9rocsparseL19gebsrmvn_4xn_kernelILj128ELj7ELj4EdEEvi20rocsparse_direction_NS_24const_host_device_scalarIT2_EEPKiS6_PKS3_S8_S4_PS3_21rocsparse_index_base_b
    .private_segment_fixed_size: 0
    .sgpr_count:     16
    .sgpr_spill_count: 0
    .symbol:         _ZN9rocsparseL19gebsrmvn_4xn_kernelILj128ELj7ELj4EdEEvi20rocsparse_direction_NS_24const_host_device_scalarIT2_EEPKiS6_PKS3_S8_S4_PS3_21rocsparse_index_base_b.kd
    .uniform_work_group_size: 1
    .uses_dynamic_stack: false
    .vgpr_count:     92
    .vgpr_spill_count: 0
    .wavefront_size: 32
    .workgroup_processor_mode: 1
  - .args:
      - .offset:         0
        .size:           4
        .value_kind:     by_value
      - .offset:         4
        .size:           4
        .value_kind:     by_value
      - .offset:         8
        .size:           8
        .value_kind:     by_value
      - .actual_access:  read_only
        .address_space:  global
        .offset:         16
        .size:           8
        .value_kind:     global_buffer
      - .actual_access:  read_only
        .address_space:  global
        .offset:         24
        .size:           8
        .value_kind:     global_buffer
      - .actual_access:  read_only
        .address_space:  global
        .offset:         32
        .size:           8
        .value_kind:     global_buffer
      - .actual_access:  read_only
        .address_space:  global
        .offset:         40
        .size:           8
        .value_kind:     global_buffer
      - .offset:         48
        .size:           8
        .value_kind:     by_value
      - .address_space:  global
        .offset:         56
        .size:           8
        .value_kind:     global_buffer
      - .offset:         64
        .size:           4
        .value_kind:     by_value
      - .offset:         68
        .size:           1
        .value_kind:     by_value
    .group_segment_fixed_size: 0
    .kernarg_segment_align: 8
    .kernarg_segment_size: 72
    .language:       OpenCL C
    .language_version:
      - 2
      - 0
    .max_flat_workgroup_size: 128
    .name:           _ZN9rocsparseL19gebsrmvn_4xn_kernelILj128ELj7ELj8EdEEvi20rocsparse_direction_NS_24const_host_device_scalarIT2_EEPKiS6_PKS3_S8_S4_PS3_21rocsparse_index_base_b
    .private_segment_fixed_size: 0
    .sgpr_count:     16
    .sgpr_spill_count: 0
    .symbol:         _ZN9rocsparseL19gebsrmvn_4xn_kernelILj128ELj7ELj8EdEEvi20rocsparse_direction_NS_24const_host_device_scalarIT2_EEPKiS6_PKS3_S8_S4_PS3_21rocsparse_index_base_b.kd
    .uniform_work_group_size: 1
    .uses_dynamic_stack: false
    .vgpr_count:     92
    .vgpr_spill_count: 0
    .wavefront_size: 32
    .workgroup_processor_mode: 1
  - .args:
      - .offset:         0
        .size:           4
        .value_kind:     by_value
      - .offset:         4
        .size:           4
        .value_kind:     by_value
      - .offset:         8
        .size:           8
        .value_kind:     by_value
      - .actual_access:  read_only
        .address_space:  global
        .offset:         16
        .size:           8
        .value_kind:     global_buffer
      - .actual_access:  read_only
        .address_space:  global
        .offset:         24
        .size:           8
        .value_kind:     global_buffer
      - .actual_access:  read_only
        .address_space:  global
        .offset:         32
        .size:           8
        .value_kind:     global_buffer
      - .actual_access:  read_only
        .address_space:  global
        .offset:         40
        .size:           8
        .value_kind:     global_buffer
      - .offset:         48
        .size:           8
        .value_kind:     by_value
      - .address_space:  global
        .offset:         56
        .size:           8
        .value_kind:     global_buffer
      - .offset:         64
        .size:           4
        .value_kind:     by_value
      - .offset:         68
        .size:           1
        .value_kind:     by_value
    .group_segment_fixed_size: 0
    .kernarg_segment_align: 8
    .kernarg_segment_size: 72
    .language:       OpenCL C
    .language_version:
      - 2
      - 0
    .max_flat_workgroup_size: 128
    .name:           _ZN9rocsparseL19gebsrmvn_4xn_kernelILj128ELj7ELj16EdEEvi20rocsparse_direction_NS_24const_host_device_scalarIT2_EEPKiS6_PKS3_S8_S4_PS3_21rocsparse_index_base_b
    .private_segment_fixed_size: 0
    .sgpr_count:     16
    .sgpr_spill_count: 0
    .symbol:         _ZN9rocsparseL19gebsrmvn_4xn_kernelILj128ELj7ELj16EdEEvi20rocsparse_direction_NS_24const_host_device_scalarIT2_EEPKiS6_PKS3_S8_S4_PS3_21rocsparse_index_base_b.kd
    .uniform_work_group_size: 1
    .uses_dynamic_stack: false
    .vgpr_count:     91
    .vgpr_spill_count: 0
    .wavefront_size: 32
    .workgroup_processor_mode: 1
  - .args:
      - .offset:         0
        .size:           4
        .value_kind:     by_value
      - .offset:         4
        .size:           4
        .value_kind:     by_value
      - .offset:         8
        .size:           8
        .value_kind:     by_value
      - .actual_access:  read_only
        .address_space:  global
        .offset:         16
        .size:           8
        .value_kind:     global_buffer
      - .actual_access:  read_only
        .address_space:  global
        .offset:         24
        .size:           8
        .value_kind:     global_buffer
      - .actual_access:  read_only
        .address_space:  global
        .offset:         32
        .size:           8
        .value_kind:     global_buffer
      - .actual_access:  read_only
        .address_space:  global
        .offset:         40
        .size:           8
        .value_kind:     global_buffer
      - .offset:         48
        .size:           8
        .value_kind:     by_value
      - .address_space:  global
        .offset:         56
        .size:           8
        .value_kind:     global_buffer
      - .offset:         64
        .size:           4
        .value_kind:     by_value
      - .offset:         68
        .size:           1
        .value_kind:     by_value
    .group_segment_fixed_size: 0
    .kernarg_segment_align: 8
    .kernarg_segment_size: 72
    .language:       OpenCL C
    .language_version:
      - 2
      - 0
    .max_flat_workgroup_size: 128
    .name:           _ZN9rocsparseL19gebsrmvn_4xn_kernelILj128ELj7ELj32EdEEvi20rocsparse_direction_NS_24const_host_device_scalarIT2_EEPKiS6_PKS3_S8_S4_PS3_21rocsparse_index_base_b
    .private_segment_fixed_size: 0
    .sgpr_count:     16
    .sgpr_spill_count: 0
    .symbol:         _ZN9rocsparseL19gebsrmvn_4xn_kernelILj128ELj7ELj32EdEEvi20rocsparse_direction_NS_24const_host_device_scalarIT2_EEPKiS6_PKS3_S8_S4_PS3_21rocsparse_index_base_b.kd
    .uniform_work_group_size: 1
    .uses_dynamic_stack: false
    .vgpr_count:     91
    .vgpr_spill_count: 0
    .wavefront_size: 32
    .workgroup_processor_mode: 1
  - .args:
      - .offset:         0
        .size:           4
        .value_kind:     by_value
      - .offset:         4
        .size:           4
        .value_kind:     by_value
      - .offset:         8
        .size:           8
        .value_kind:     by_value
      - .actual_access:  read_only
        .address_space:  global
        .offset:         16
        .size:           8
        .value_kind:     global_buffer
      - .actual_access:  read_only
        .address_space:  global
        .offset:         24
        .size:           8
        .value_kind:     global_buffer
      - .actual_access:  read_only
        .address_space:  global
        .offset:         32
        .size:           8
        .value_kind:     global_buffer
      - .actual_access:  read_only
        .address_space:  global
        .offset:         40
        .size:           8
        .value_kind:     global_buffer
      - .offset:         48
        .size:           8
        .value_kind:     by_value
      - .address_space:  global
        .offset:         56
        .size:           8
        .value_kind:     global_buffer
      - .offset:         64
        .size:           4
        .value_kind:     by_value
      - .offset:         68
        .size:           1
        .value_kind:     by_value
    .group_segment_fixed_size: 0
    .kernarg_segment_align: 8
    .kernarg_segment_size: 72
    .language:       OpenCL C
    .language_version:
      - 2
      - 0
    .max_flat_workgroup_size: 128
    .name:           _ZN9rocsparseL19gebsrmvn_4xn_kernelILj128ELj7ELj64EdEEvi20rocsparse_direction_NS_24const_host_device_scalarIT2_EEPKiS6_PKS3_S8_S4_PS3_21rocsparse_index_base_b
    .private_segment_fixed_size: 0
    .sgpr_count:     16
    .sgpr_spill_count: 0
    .symbol:         _ZN9rocsparseL19gebsrmvn_4xn_kernelILj128ELj7ELj64EdEEvi20rocsparse_direction_NS_24const_host_device_scalarIT2_EEPKiS6_PKS3_S8_S4_PS3_21rocsparse_index_base_b.kd
    .uniform_work_group_size: 1
    .uses_dynamic_stack: false
    .vgpr_count:     91
    .vgpr_spill_count: 0
    .wavefront_size: 32
    .workgroup_processor_mode: 1
  - .args:
      - .offset:         0
        .size:           4
        .value_kind:     by_value
      - .offset:         4
        .size:           4
        .value_kind:     by_value
      - .offset:         8
        .size:           8
        .value_kind:     by_value
      - .actual_access:  read_only
        .address_space:  global
        .offset:         16
        .size:           8
        .value_kind:     global_buffer
      - .actual_access:  read_only
        .address_space:  global
        .offset:         24
        .size:           8
        .value_kind:     global_buffer
      - .actual_access:  read_only
        .address_space:  global
        .offset:         32
        .size:           8
        .value_kind:     global_buffer
      - .actual_access:  read_only
        .address_space:  global
        .offset:         40
        .size:           8
        .value_kind:     global_buffer
      - .offset:         48
        .size:           8
        .value_kind:     by_value
      - .address_space:  global
        .offset:         56
        .size:           8
        .value_kind:     global_buffer
      - .offset:         64
        .size:           4
        .value_kind:     by_value
      - .offset:         68
        .size:           1
        .value_kind:     by_value
    .group_segment_fixed_size: 0
    .kernarg_segment_align: 8
    .kernarg_segment_size: 72
    .language:       OpenCL C
    .language_version:
      - 2
      - 0
    .max_flat_workgroup_size: 128
    .name:           _ZN9rocsparseL19gebsrmvn_4xn_kernelILj128ELj8ELj4EdEEvi20rocsparse_direction_NS_24const_host_device_scalarIT2_EEPKiS6_PKS3_S8_S4_PS3_21rocsparse_index_base_b
    .private_segment_fixed_size: 0
    .sgpr_count:     16
    .sgpr_spill_count: 0
    .symbol:         _ZN9rocsparseL19gebsrmvn_4xn_kernelILj128ELj8ELj4EdEEvi20rocsparse_direction_NS_24const_host_device_scalarIT2_EEPKiS6_PKS3_S8_S4_PS3_21rocsparse_index_base_b.kd
    .uniform_work_group_size: 1
    .uses_dynamic_stack: false
    .vgpr_count:     101
    .vgpr_spill_count: 0
    .wavefront_size: 32
    .workgroup_processor_mode: 1
  - .args:
      - .offset:         0
        .size:           4
        .value_kind:     by_value
      - .offset:         4
        .size:           4
        .value_kind:     by_value
      - .offset:         8
        .size:           8
        .value_kind:     by_value
      - .actual_access:  read_only
        .address_space:  global
        .offset:         16
        .size:           8
        .value_kind:     global_buffer
      - .actual_access:  read_only
        .address_space:  global
        .offset:         24
        .size:           8
        .value_kind:     global_buffer
      - .actual_access:  read_only
        .address_space:  global
        .offset:         32
        .size:           8
        .value_kind:     global_buffer
      - .actual_access:  read_only
        .address_space:  global
        .offset:         40
        .size:           8
        .value_kind:     global_buffer
      - .offset:         48
        .size:           8
        .value_kind:     by_value
      - .address_space:  global
        .offset:         56
        .size:           8
        .value_kind:     global_buffer
      - .offset:         64
        .size:           4
        .value_kind:     by_value
      - .offset:         68
        .size:           1
        .value_kind:     by_value
    .group_segment_fixed_size: 0
    .kernarg_segment_align: 8
    .kernarg_segment_size: 72
    .language:       OpenCL C
    .language_version:
      - 2
      - 0
    .max_flat_workgroup_size: 128
    .name:           _ZN9rocsparseL19gebsrmvn_4xn_kernelILj128ELj8ELj8EdEEvi20rocsparse_direction_NS_24const_host_device_scalarIT2_EEPKiS6_PKS3_S8_S4_PS3_21rocsparse_index_base_b
    .private_segment_fixed_size: 0
    .sgpr_count:     16
    .sgpr_spill_count: 0
    .symbol:         _ZN9rocsparseL19gebsrmvn_4xn_kernelILj128ELj8ELj8EdEEvi20rocsparse_direction_NS_24const_host_device_scalarIT2_EEPKiS6_PKS3_S8_S4_PS3_21rocsparse_index_base_b.kd
    .uniform_work_group_size: 1
    .uses_dynamic_stack: false
    .vgpr_count:     101
    .vgpr_spill_count: 0
    .wavefront_size: 32
    .workgroup_processor_mode: 1
  - .args:
      - .offset:         0
        .size:           4
        .value_kind:     by_value
      - .offset:         4
        .size:           4
        .value_kind:     by_value
      - .offset:         8
        .size:           8
        .value_kind:     by_value
      - .actual_access:  read_only
        .address_space:  global
        .offset:         16
        .size:           8
        .value_kind:     global_buffer
      - .actual_access:  read_only
        .address_space:  global
        .offset:         24
        .size:           8
        .value_kind:     global_buffer
      - .actual_access:  read_only
        .address_space:  global
        .offset:         32
        .size:           8
        .value_kind:     global_buffer
      - .actual_access:  read_only
        .address_space:  global
        .offset:         40
        .size:           8
        .value_kind:     global_buffer
      - .offset:         48
        .size:           8
        .value_kind:     by_value
      - .address_space:  global
        .offset:         56
        .size:           8
        .value_kind:     global_buffer
      - .offset:         64
        .size:           4
        .value_kind:     by_value
      - .offset:         68
        .size:           1
        .value_kind:     by_value
    .group_segment_fixed_size: 0
    .kernarg_segment_align: 8
    .kernarg_segment_size: 72
    .language:       OpenCL C
    .language_version:
      - 2
      - 0
    .max_flat_workgroup_size: 128
    .name:           _ZN9rocsparseL19gebsrmvn_4xn_kernelILj128ELj8ELj16EdEEvi20rocsparse_direction_NS_24const_host_device_scalarIT2_EEPKiS6_PKS3_S8_S4_PS3_21rocsparse_index_base_b
    .private_segment_fixed_size: 0
    .sgpr_count:     16
    .sgpr_spill_count: 0
    .symbol:         _ZN9rocsparseL19gebsrmvn_4xn_kernelILj128ELj8ELj16EdEEvi20rocsparse_direction_NS_24const_host_device_scalarIT2_EEPKiS6_PKS3_S8_S4_PS3_21rocsparse_index_base_b.kd
    .uniform_work_group_size: 1
    .uses_dynamic_stack: false
    .vgpr_count:     101
    .vgpr_spill_count: 0
    .wavefront_size: 32
    .workgroup_processor_mode: 1
  - .args:
      - .offset:         0
        .size:           4
        .value_kind:     by_value
      - .offset:         4
        .size:           4
        .value_kind:     by_value
      - .offset:         8
        .size:           8
        .value_kind:     by_value
      - .actual_access:  read_only
        .address_space:  global
        .offset:         16
        .size:           8
        .value_kind:     global_buffer
      - .actual_access:  read_only
        .address_space:  global
        .offset:         24
        .size:           8
        .value_kind:     global_buffer
      - .actual_access:  read_only
        .address_space:  global
        .offset:         32
        .size:           8
        .value_kind:     global_buffer
      - .actual_access:  read_only
        .address_space:  global
        .offset:         40
        .size:           8
        .value_kind:     global_buffer
      - .offset:         48
        .size:           8
        .value_kind:     by_value
      - .address_space:  global
        .offset:         56
        .size:           8
        .value_kind:     global_buffer
      - .offset:         64
        .size:           4
        .value_kind:     by_value
      - .offset:         68
        .size:           1
        .value_kind:     by_value
    .group_segment_fixed_size: 0
    .kernarg_segment_align: 8
    .kernarg_segment_size: 72
    .language:       OpenCL C
    .language_version:
      - 2
      - 0
    .max_flat_workgroup_size: 128
    .name:           _ZN9rocsparseL19gebsrmvn_4xn_kernelILj128ELj8ELj32EdEEvi20rocsparse_direction_NS_24const_host_device_scalarIT2_EEPKiS6_PKS3_S8_S4_PS3_21rocsparse_index_base_b
    .private_segment_fixed_size: 0
    .sgpr_count:     16
    .sgpr_spill_count: 0
    .symbol:         _ZN9rocsparseL19gebsrmvn_4xn_kernelILj128ELj8ELj32EdEEvi20rocsparse_direction_NS_24const_host_device_scalarIT2_EEPKiS6_PKS3_S8_S4_PS3_21rocsparse_index_base_b.kd
    .uniform_work_group_size: 1
    .uses_dynamic_stack: false
    .vgpr_count:     100
    .vgpr_spill_count: 0
    .wavefront_size: 32
    .workgroup_processor_mode: 1
  - .args:
      - .offset:         0
        .size:           4
        .value_kind:     by_value
      - .offset:         4
        .size:           4
        .value_kind:     by_value
      - .offset:         8
        .size:           8
        .value_kind:     by_value
      - .actual_access:  read_only
        .address_space:  global
        .offset:         16
        .size:           8
        .value_kind:     global_buffer
      - .actual_access:  read_only
        .address_space:  global
        .offset:         24
        .size:           8
        .value_kind:     global_buffer
      - .actual_access:  read_only
        .address_space:  global
        .offset:         32
        .size:           8
        .value_kind:     global_buffer
      - .actual_access:  read_only
        .address_space:  global
        .offset:         40
        .size:           8
        .value_kind:     global_buffer
      - .offset:         48
        .size:           8
        .value_kind:     by_value
      - .address_space:  global
        .offset:         56
        .size:           8
        .value_kind:     global_buffer
      - .offset:         64
        .size:           4
        .value_kind:     by_value
      - .offset:         68
        .size:           1
        .value_kind:     by_value
    .group_segment_fixed_size: 0
    .kernarg_segment_align: 8
    .kernarg_segment_size: 72
    .language:       OpenCL C
    .language_version:
      - 2
      - 0
    .max_flat_workgroup_size: 128
    .name:           _ZN9rocsparseL19gebsrmvn_4xn_kernelILj128ELj8ELj64EdEEvi20rocsparse_direction_NS_24const_host_device_scalarIT2_EEPKiS6_PKS3_S8_S4_PS3_21rocsparse_index_base_b
    .private_segment_fixed_size: 0
    .sgpr_count:     16
    .sgpr_spill_count: 0
    .symbol:         _ZN9rocsparseL19gebsrmvn_4xn_kernelILj128ELj8ELj64EdEEvi20rocsparse_direction_NS_24const_host_device_scalarIT2_EEPKiS6_PKS3_S8_S4_PS3_21rocsparse_index_base_b.kd
    .uniform_work_group_size: 1
    .uses_dynamic_stack: false
    .vgpr_count:     100
    .vgpr_spill_count: 0
    .wavefront_size: 32
    .workgroup_processor_mode: 1
  - .args:
      - .offset:         0
        .size:           4
        .value_kind:     by_value
      - .offset:         4
        .size:           4
        .value_kind:     by_value
      - .offset:         8
        .size:           8
        .value_kind:     by_value
      - .actual_access:  read_only
        .address_space:  global
        .offset:         16
        .size:           8
        .value_kind:     global_buffer
      - .actual_access:  read_only
        .address_space:  global
        .offset:         24
        .size:           8
        .value_kind:     global_buffer
      - .actual_access:  read_only
        .address_space:  global
        .offset:         32
        .size:           8
        .value_kind:     global_buffer
      - .offset:         40
        .size:           4
        .value_kind:     by_value
      - .offset:         44
        .size:           4
        .value_kind:     by_value
      - .actual_access:  read_only
        .address_space:  global
        .offset:         48
        .size:           8
        .value_kind:     global_buffer
      - .offset:         56
        .size:           8
        .value_kind:     by_value
      - .address_space:  global
        .offset:         64
        .size:           8
        .value_kind:     global_buffer
      - .offset:         72
        .size:           4
        .value_kind:     by_value
      - .offset:         76
        .size:           1
        .value_kind:     by_value
    .group_segment_fixed_size: 0
    .kernarg_segment_align: 8
    .kernarg_segment_size: 80
    .language:       OpenCL C
    .language_version:
      - 2
      - 0
    .max_flat_workgroup_size: 64
    .name:           _ZN9rocsparseL23gebsrmvn_general_kernelILj64ELj16EdEEvi20rocsparse_direction_NS_24const_host_device_scalarIT1_EEPKiS6_PKS3_iiS8_S4_PS3_21rocsparse_index_base_b
    .private_segment_fixed_size: 0
    .sgpr_count:     30
    .sgpr_spill_count: 0
    .symbol:         _ZN9rocsparseL23gebsrmvn_general_kernelILj64ELj16EdEEvi20rocsparse_direction_NS_24const_host_device_scalarIT1_EEPKiS6_PKS3_iiS8_S4_PS3_21rocsparse_index_base_b.kd
    .uniform_work_group_size: 1
    .uses_dynamic_stack: false
    .vgpr_count:     19
    .vgpr_spill_count: 0
    .wavefront_size: 32
    .workgroup_processor_mode: 1
  - .args:
      - .offset:         0
        .size:           4
        .value_kind:     by_value
      - .offset:         4
        .size:           4
        .value_kind:     by_value
      - .offset:         8
        .size:           8
        .value_kind:     by_value
      - .actual_access:  read_only
        .address_space:  global
        .offset:         16
        .size:           8
        .value_kind:     global_buffer
      - .actual_access:  read_only
        .address_space:  global
        .offset:         24
        .size:           8
        .value_kind:     global_buffer
      - .actual_access:  read_only
        .address_space:  global
        .offset:         32
        .size:           8
        .value_kind:     global_buffer
      - .offset:         40
        .size:           4
        .value_kind:     by_value
      - .offset:         44
        .size:           4
        .value_kind:     by_value
      - .actual_access:  read_only
        .address_space:  global
        .offset:         48
        .size:           8
        .value_kind:     global_buffer
      - .offset:         56
        .size:           8
        .value_kind:     by_value
      - .address_space:  global
        .offset:         64
        .size:           8
        .value_kind:     global_buffer
      - .offset:         72
        .size:           4
        .value_kind:     by_value
      - .offset:         76
        .size:           1
        .value_kind:     by_value
    .group_segment_fixed_size: 0
    .kernarg_segment_align: 8
    .kernarg_segment_size: 80
    .language:       OpenCL C
    .language_version:
      - 2
      - 0
    .max_flat_workgroup_size: 128
    .name:           _ZN9rocsparseL23gebsrmvn_general_kernelILj128ELj32EdEEvi20rocsparse_direction_NS_24const_host_device_scalarIT1_EEPKiS6_PKS3_iiS8_S4_PS3_21rocsparse_index_base_b
    .private_segment_fixed_size: 0
    .sgpr_count:     30
    .sgpr_spill_count: 0
    .symbol:         _ZN9rocsparseL23gebsrmvn_general_kernelILj128ELj32EdEEvi20rocsparse_direction_NS_24const_host_device_scalarIT1_EEPKiS6_PKS3_iiS8_S4_PS3_21rocsparse_index_base_b.kd
    .uniform_work_group_size: 1
    .uses_dynamic_stack: false
    .vgpr_count:     20
    .vgpr_spill_count: 0
    .wavefront_size: 32
    .workgroup_processor_mode: 1
  - .args:
      - .offset:         0
        .size:           4
        .value_kind:     by_value
      - .offset:         4
        .size:           4
        .value_kind:     by_value
      - .offset:         8
        .size:           8
        .value_kind:     by_value
      - .actual_access:  read_only
        .address_space:  global
        .offset:         16
        .size:           8
        .value_kind:     global_buffer
      - .actual_access:  read_only
        .address_space:  global
        .offset:         24
        .size:           8
        .value_kind:     global_buffer
      - .actual_access:  read_only
        .address_space:  global
        .offset:         32
        .size:           8
        .value_kind:     global_buffer
      - .actual_access:  read_only
        .address_space:  global
        .offset:         40
        .size:           8
        .value_kind:     global_buffer
      - .offset:         48
        .size:           8
        .value_kind:     by_value
      - .address_space:  global
        .offset:         56
        .size:           8
        .value_kind:     global_buffer
      - .offset:         64
        .size:           4
        .value_kind:     by_value
      - .offset:         68
        .size:           1
        .value_kind:     by_value
    .group_segment_fixed_size: 0
    .kernarg_segment_align: 8
    .kernarg_segment_size: 72
    .language:       OpenCL C
    .language_version:
      - 2
      - 0
    .max_flat_workgroup_size: 128
    .name:           _ZN9rocsparseL19gebsrmvn_4xn_kernelILj128ELj1ELj4E21rocsparse_complex_numIfEEEvi20rocsparse_direction_NS_24const_host_device_scalarIT2_EEPKiS8_PKS5_SA_S6_PS5_21rocsparse_index_base_b
    .private_segment_fixed_size: 0
    .sgpr_count:     16
    .sgpr_spill_count: 0
    .symbol:         _ZN9rocsparseL19gebsrmvn_4xn_kernelILj128ELj1ELj4E21rocsparse_complex_numIfEEEvi20rocsparse_direction_NS_24const_host_device_scalarIT2_EEPKiS8_PKS5_SA_S6_PS5_21rocsparse_index_base_b.kd
    .uniform_work_group_size: 1
    .uses_dynamic_stack: false
    .vgpr_count:     30
    .vgpr_spill_count: 0
    .wavefront_size: 32
    .workgroup_processor_mode: 1
  - .args:
      - .offset:         0
        .size:           4
        .value_kind:     by_value
      - .offset:         4
        .size:           4
        .value_kind:     by_value
      - .offset:         8
        .size:           8
        .value_kind:     by_value
      - .actual_access:  read_only
        .address_space:  global
        .offset:         16
        .size:           8
        .value_kind:     global_buffer
      - .actual_access:  read_only
        .address_space:  global
        .offset:         24
        .size:           8
        .value_kind:     global_buffer
      - .actual_access:  read_only
        .address_space:  global
        .offset:         32
        .size:           8
        .value_kind:     global_buffer
      - .actual_access:  read_only
        .address_space:  global
        .offset:         40
        .size:           8
        .value_kind:     global_buffer
      - .offset:         48
        .size:           8
        .value_kind:     by_value
      - .address_space:  global
        .offset:         56
        .size:           8
        .value_kind:     global_buffer
      - .offset:         64
        .size:           4
        .value_kind:     by_value
      - .offset:         68
        .size:           1
        .value_kind:     by_value
    .group_segment_fixed_size: 0
    .kernarg_segment_align: 8
    .kernarg_segment_size: 72
    .language:       OpenCL C
    .language_version:
      - 2
      - 0
    .max_flat_workgroup_size: 128
    .name:           _ZN9rocsparseL19gebsrmvn_4xn_kernelILj128ELj1ELj8E21rocsparse_complex_numIfEEEvi20rocsparse_direction_NS_24const_host_device_scalarIT2_EEPKiS8_PKS5_SA_S6_PS5_21rocsparse_index_base_b
    .private_segment_fixed_size: 0
    .sgpr_count:     16
    .sgpr_spill_count: 0
    .symbol:         _ZN9rocsparseL19gebsrmvn_4xn_kernelILj128ELj1ELj8E21rocsparse_complex_numIfEEEvi20rocsparse_direction_NS_24const_host_device_scalarIT2_EEPKiS8_PKS5_SA_S6_PS5_21rocsparse_index_base_b.kd
    .uniform_work_group_size: 1
    .uses_dynamic_stack: false
    .vgpr_count:     30
    .vgpr_spill_count: 0
    .wavefront_size: 32
    .workgroup_processor_mode: 1
  - .args:
      - .offset:         0
        .size:           4
        .value_kind:     by_value
      - .offset:         4
        .size:           4
        .value_kind:     by_value
      - .offset:         8
        .size:           8
        .value_kind:     by_value
      - .actual_access:  read_only
        .address_space:  global
        .offset:         16
        .size:           8
        .value_kind:     global_buffer
      - .actual_access:  read_only
        .address_space:  global
        .offset:         24
        .size:           8
        .value_kind:     global_buffer
      - .actual_access:  read_only
        .address_space:  global
        .offset:         32
        .size:           8
        .value_kind:     global_buffer
      - .actual_access:  read_only
        .address_space:  global
        .offset:         40
        .size:           8
        .value_kind:     global_buffer
      - .offset:         48
        .size:           8
        .value_kind:     by_value
      - .address_space:  global
        .offset:         56
        .size:           8
        .value_kind:     global_buffer
      - .offset:         64
        .size:           4
        .value_kind:     by_value
      - .offset:         68
        .size:           1
        .value_kind:     by_value
    .group_segment_fixed_size: 0
    .kernarg_segment_align: 8
    .kernarg_segment_size: 72
    .language:       OpenCL C
    .language_version:
      - 2
      - 0
    .max_flat_workgroup_size: 128
    .name:           _ZN9rocsparseL19gebsrmvn_4xn_kernelILj128ELj1ELj16E21rocsparse_complex_numIfEEEvi20rocsparse_direction_NS_24const_host_device_scalarIT2_EEPKiS8_PKS5_SA_S6_PS5_21rocsparse_index_base_b
    .private_segment_fixed_size: 0
    .sgpr_count:     16
    .sgpr_spill_count: 0
    .symbol:         _ZN9rocsparseL19gebsrmvn_4xn_kernelILj128ELj1ELj16E21rocsparse_complex_numIfEEEvi20rocsparse_direction_NS_24const_host_device_scalarIT2_EEPKiS8_PKS5_SA_S6_PS5_21rocsparse_index_base_b.kd
    .uniform_work_group_size: 1
    .uses_dynamic_stack: false
    .vgpr_count:     30
    .vgpr_spill_count: 0
    .wavefront_size: 32
    .workgroup_processor_mode: 1
  - .args:
      - .offset:         0
        .size:           4
        .value_kind:     by_value
      - .offset:         4
        .size:           4
        .value_kind:     by_value
      - .offset:         8
        .size:           8
        .value_kind:     by_value
      - .actual_access:  read_only
        .address_space:  global
        .offset:         16
        .size:           8
        .value_kind:     global_buffer
      - .actual_access:  read_only
        .address_space:  global
        .offset:         24
        .size:           8
        .value_kind:     global_buffer
      - .actual_access:  read_only
        .address_space:  global
        .offset:         32
        .size:           8
        .value_kind:     global_buffer
      - .actual_access:  read_only
        .address_space:  global
        .offset:         40
        .size:           8
        .value_kind:     global_buffer
      - .offset:         48
        .size:           8
        .value_kind:     by_value
      - .address_space:  global
        .offset:         56
        .size:           8
        .value_kind:     global_buffer
      - .offset:         64
        .size:           4
        .value_kind:     by_value
      - .offset:         68
        .size:           1
        .value_kind:     by_value
    .group_segment_fixed_size: 0
    .kernarg_segment_align: 8
    .kernarg_segment_size: 72
    .language:       OpenCL C
    .language_version:
      - 2
      - 0
    .max_flat_workgroup_size: 128
    .name:           _ZN9rocsparseL19gebsrmvn_4xn_kernelILj128ELj1ELj32E21rocsparse_complex_numIfEEEvi20rocsparse_direction_NS_24const_host_device_scalarIT2_EEPKiS8_PKS5_SA_S6_PS5_21rocsparse_index_base_b
    .private_segment_fixed_size: 0
    .sgpr_count:     16
    .sgpr_spill_count: 0
    .symbol:         _ZN9rocsparseL19gebsrmvn_4xn_kernelILj128ELj1ELj32E21rocsparse_complex_numIfEEEvi20rocsparse_direction_NS_24const_host_device_scalarIT2_EEPKiS8_PKS5_SA_S6_PS5_21rocsparse_index_base_b.kd
    .uniform_work_group_size: 1
    .uses_dynamic_stack: false
    .vgpr_count:     30
    .vgpr_spill_count: 0
    .wavefront_size: 32
    .workgroup_processor_mode: 1
  - .args:
      - .offset:         0
        .size:           4
        .value_kind:     by_value
      - .offset:         4
        .size:           4
        .value_kind:     by_value
      - .offset:         8
        .size:           8
        .value_kind:     by_value
      - .actual_access:  read_only
        .address_space:  global
        .offset:         16
        .size:           8
        .value_kind:     global_buffer
      - .actual_access:  read_only
        .address_space:  global
        .offset:         24
        .size:           8
        .value_kind:     global_buffer
      - .actual_access:  read_only
        .address_space:  global
        .offset:         32
        .size:           8
        .value_kind:     global_buffer
      - .actual_access:  read_only
        .address_space:  global
        .offset:         40
        .size:           8
        .value_kind:     global_buffer
      - .offset:         48
        .size:           8
        .value_kind:     by_value
      - .address_space:  global
        .offset:         56
        .size:           8
        .value_kind:     global_buffer
      - .offset:         64
        .size:           4
        .value_kind:     by_value
      - .offset:         68
        .size:           1
        .value_kind:     by_value
    .group_segment_fixed_size: 0
    .kernarg_segment_align: 8
    .kernarg_segment_size: 72
    .language:       OpenCL C
    .language_version:
      - 2
      - 0
    .max_flat_workgroup_size: 128
    .name:           _ZN9rocsparseL19gebsrmvn_4xn_kernelILj128ELj1ELj64E21rocsparse_complex_numIfEEEvi20rocsparse_direction_NS_24const_host_device_scalarIT2_EEPKiS8_PKS5_SA_S6_PS5_21rocsparse_index_base_b
    .private_segment_fixed_size: 0
    .sgpr_count:     16
    .sgpr_spill_count: 0
    .symbol:         _ZN9rocsparseL19gebsrmvn_4xn_kernelILj128ELj1ELj64E21rocsparse_complex_numIfEEEvi20rocsparse_direction_NS_24const_host_device_scalarIT2_EEPKiS8_PKS5_SA_S6_PS5_21rocsparse_index_base_b.kd
    .uniform_work_group_size: 1
    .uses_dynamic_stack: false
    .vgpr_count:     30
    .vgpr_spill_count: 0
    .wavefront_size: 32
    .workgroup_processor_mode: 1
  - .args:
      - .offset:         0
        .size:           4
        .value_kind:     by_value
      - .offset:         4
        .size:           4
        .value_kind:     by_value
      - .offset:         8
        .size:           8
        .value_kind:     by_value
      - .actual_access:  read_only
        .address_space:  global
        .offset:         16
        .size:           8
        .value_kind:     global_buffer
      - .actual_access:  read_only
        .address_space:  global
        .offset:         24
        .size:           8
        .value_kind:     global_buffer
      - .actual_access:  read_only
        .address_space:  global
        .offset:         32
        .size:           8
        .value_kind:     global_buffer
      - .actual_access:  read_only
        .address_space:  global
        .offset:         40
        .size:           8
        .value_kind:     global_buffer
      - .offset:         48
        .size:           8
        .value_kind:     by_value
      - .address_space:  global
        .offset:         56
        .size:           8
        .value_kind:     global_buffer
      - .offset:         64
        .size:           4
        .value_kind:     by_value
      - .offset:         68
        .size:           1
        .value_kind:     by_value
    .group_segment_fixed_size: 0
    .kernarg_segment_align: 8
    .kernarg_segment_size: 72
    .language:       OpenCL C
    .language_version:
      - 2
      - 0
    .max_flat_workgroup_size: 128
    .name:           _ZN9rocsparseL19gebsrmvn_4xn_kernelILj128ELj2ELj4E21rocsparse_complex_numIfEEEvi20rocsparse_direction_NS_24const_host_device_scalarIT2_EEPKiS8_PKS5_SA_S6_PS5_21rocsparse_index_base_b
    .private_segment_fixed_size: 0
    .sgpr_count:     16
    .sgpr_spill_count: 0
    .symbol:         _ZN9rocsparseL19gebsrmvn_4xn_kernelILj128ELj2ELj4E21rocsparse_complex_numIfEEEvi20rocsparse_direction_NS_24const_host_device_scalarIT2_EEPKiS8_PKS5_SA_S6_PS5_21rocsparse_index_base_b.kd
    .uniform_work_group_size: 1
    .uses_dynamic_stack: false
    .vgpr_count:     40
    .vgpr_spill_count: 0
    .wavefront_size: 32
    .workgroup_processor_mode: 1
  - .args:
      - .offset:         0
        .size:           4
        .value_kind:     by_value
      - .offset:         4
        .size:           4
        .value_kind:     by_value
      - .offset:         8
        .size:           8
        .value_kind:     by_value
      - .actual_access:  read_only
        .address_space:  global
        .offset:         16
        .size:           8
        .value_kind:     global_buffer
      - .actual_access:  read_only
        .address_space:  global
        .offset:         24
        .size:           8
        .value_kind:     global_buffer
      - .actual_access:  read_only
        .address_space:  global
        .offset:         32
        .size:           8
        .value_kind:     global_buffer
      - .actual_access:  read_only
        .address_space:  global
        .offset:         40
        .size:           8
        .value_kind:     global_buffer
      - .offset:         48
        .size:           8
        .value_kind:     by_value
      - .address_space:  global
        .offset:         56
        .size:           8
        .value_kind:     global_buffer
      - .offset:         64
        .size:           4
        .value_kind:     by_value
      - .offset:         68
        .size:           1
        .value_kind:     by_value
    .group_segment_fixed_size: 0
    .kernarg_segment_align: 8
    .kernarg_segment_size: 72
    .language:       OpenCL C
    .language_version:
      - 2
      - 0
    .max_flat_workgroup_size: 128
    .name:           _ZN9rocsparseL19gebsrmvn_4xn_kernelILj128ELj2ELj8E21rocsparse_complex_numIfEEEvi20rocsparse_direction_NS_24const_host_device_scalarIT2_EEPKiS8_PKS5_SA_S6_PS5_21rocsparse_index_base_b
    .private_segment_fixed_size: 0
    .sgpr_count:     16
    .sgpr_spill_count: 0
    .symbol:         _ZN9rocsparseL19gebsrmvn_4xn_kernelILj128ELj2ELj8E21rocsparse_complex_numIfEEEvi20rocsparse_direction_NS_24const_host_device_scalarIT2_EEPKiS8_PKS5_SA_S6_PS5_21rocsparse_index_base_b.kd
    .uniform_work_group_size: 1
    .uses_dynamic_stack: false
    .vgpr_count:     40
    .vgpr_spill_count: 0
    .wavefront_size: 32
    .workgroup_processor_mode: 1
  - .args:
      - .offset:         0
        .size:           4
        .value_kind:     by_value
      - .offset:         4
        .size:           4
        .value_kind:     by_value
      - .offset:         8
        .size:           8
        .value_kind:     by_value
      - .actual_access:  read_only
        .address_space:  global
        .offset:         16
        .size:           8
        .value_kind:     global_buffer
      - .actual_access:  read_only
        .address_space:  global
        .offset:         24
        .size:           8
        .value_kind:     global_buffer
      - .actual_access:  read_only
        .address_space:  global
        .offset:         32
        .size:           8
        .value_kind:     global_buffer
      - .actual_access:  read_only
        .address_space:  global
        .offset:         40
        .size:           8
        .value_kind:     global_buffer
      - .offset:         48
        .size:           8
        .value_kind:     by_value
      - .address_space:  global
        .offset:         56
        .size:           8
        .value_kind:     global_buffer
      - .offset:         64
        .size:           4
        .value_kind:     by_value
      - .offset:         68
        .size:           1
        .value_kind:     by_value
    .group_segment_fixed_size: 0
    .kernarg_segment_align: 8
    .kernarg_segment_size: 72
    .language:       OpenCL C
    .language_version:
      - 2
      - 0
    .max_flat_workgroup_size: 128
    .name:           _ZN9rocsparseL19gebsrmvn_4xn_kernelILj128ELj2ELj16E21rocsparse_complex_numIfEEEvi20rocsparse_direction_NS_24const_host_device_scalarIT2_EEPKiS8_PKS5_SA_S6_PS5_21rocsparse_index_base_b
    .private_segment_fixed_size: 0
    .sgpr_count:     16
    .sgpr_spill_count: 0
    .symbol:         _ZN9rocsparseL19gebsrmvn_4xn_kernelILj128ELj2ELj16E21rocsparse_complex_numIfEEEvi20rocsparse_direction_NS_24const_host_device_scalarIT2_EEPKiS8_PKS5_SA_S6_PS5_21rocsparse_index_base_b.kd
    .uniform_work_group_size: 1
    .uses_dynamic_stack: false
    .vgpr_count:     40
    .vgpr_spill_count: 0
    .wavefront_size: 32
    .workgroup_processor_mode: 1
  - .args:
      - .offset:         0
        .size:           4
        .value_kind:     by_value
      - .offset:         4
        .size:           4
        .value_kind:     by_value
      - .offset:         8
        .size:           8
        .value_kind:     by_value
      - .actual_access:  read_only
        .address_space:  global
        .offset:         16
        .size:           8
        .value_kind:     global_buffer
      - .actual_access:  read_only
        .address_space:  global
        .offset:         24
        .size:           8
        .value_kind:     global_buffer
      - .actual_access:  read_only
        .address_space:  global
        .offset:         32
        .size:           8
        .value_kind:     global_buffer
      - .actual_access:  read_only
        .address_space:  global
        .offset:         40
        .size:           8
        .value_kind:     global_buffer
      - .offset:         48
        .size:           8
        .value_kind:     by_value
      - .address_space:  global
        .offset:         56
        .size:           8
        .value_kind:     global_buffer
      - .offset:         64
        .size:           4
        .value_kind:     by_value
      - .offset:         68
        .size:           1
        .value_kind:     by_value
    .group_segment_fixed_size: 0
    .kernarg_segment_align: 8
    .kernarg_segment_size: 72
    .language:       OpenCL C
    .language_version:
      - 2
      - 0
    .max_flat_workgroup_size: 128
    .name:           _ZN9rocsparseL19gebsrmvn_4xn_kernelILj128ELj2ELj32E21rocsparse_complex_numIfEEEvi20rocsparse_direction_NS_24const_host_device_scalarIT2_EEPKiS8_PKS5_SA_S6_PS5_21rocsparse_index_base_b
    .private_segment_fixed_size: 0
    .sgpr_count:     16
    .sgpr_spill_count: 0
    .symbol:         _ZN9rocsparseL19gebsrmvn_4xn_kernelILj128ELj2ELj32E21rocsparse_complex_numIfEEEvi20rocsparse_direction_NS_24const_host_device_scalarIT2_EEPKiS8_PKS5_SA_S6_PS5_21rocsparse_index_base_b.kd
    .uniform_work_group_size: 1
    .uses_dynamic_stack: false
    .vgpr_count:     40
    .vgpr_spill_count: 0
    .wavefront_size: 32
    .workgroup_processor_mode: 1
  - .args:
      - .offset:         0
        .size:           4
        .value_kind:     by_value
      - .offset:         4
        .size:           4
        .value_kind:     by_value
      - .offset:         8
        .size:           8
        .value_kind:     by_value
      - .actual_access:  read_only
        .address_space:  global
        .offset:         16
        .size:           8
        .value_kind:     global_buffer
      - .actual_access:  read_only
        .address_space:  global
        .offset:         24
        .size:           8
        .value_kind:     global_buffer
      - .actual_access:  read_only
        .address_space:  global
        .offset:         32
        .size:           8
        .value_kind:     global_buffer
      - .actual_access:  read_only
        .address_space:  global
        .offset:         40
        .size:           8
        .value_kind:     global_buffer
      - .offset:         48
        .size:           8
        .value_kind:     by_value
      - .address_space:  global
        .offset:         56
        .size:           8
        .value_kind:     global_buffer
      - .offset:         64
        .size:           4
        .value_kind:     by_value
      - .offset:         68
        .size:           1
        .value_kind:     by_value
    .group_segment_fixed_size: 0
    .kernarg_segment_align: 8
    .kernarg_segment_size: 72
    .language:       OpenCL C
    .language_version:
      - 2
      - 0
    .max_flat_workgroup_size: 128
    .name:           _ZN9rocsparseL19gebsrmvn_4xn_kernelILj128ELj2ELj64E21rocsparse_complex_numIfEEEvi20rocsparse_direction_NS_24const_host_device_scalarIT2_EEPKiS8_PKS5_SA_S6_PS5_21rocsparse_index_base_b
    .private_segment_fixed_size: 0
    .sgpr_count:     16
    .sgpr_spill_count: 0
    .symbol:         _ZN9rocsparseL19gebsrmvn_4xn_kernelILj128ELj2ELj64E21rocsparse_complex_numIfEEEvi20rocsparse_direction_NS_24const_host_device_scalarIT2_EEPKiS8_PKS5_SA_S6_PS5_21rocsparse_index_base_b.kd
    .uniform_work_group_size: 1
    .uses_dynamic_stack: false
    .vgpr_count:     40
    .vgpr_spill_count: 0
    .wavefront_size: 32
    .workgroup_processor_mode: 1
  - .args:
      - .offset:         0
        .size:           4
        .value_kind:     by_value
      - .offset:         4
        .size:           4
        .value_kind:     by_value
      - .offset:         8
        .size:           8
        .value_kind:     by_value
      - .actual_access:  read_only
        .address_space:  global
        .offset:         16
        .size:           8
        .value_kind:     global_buffer
      - .actual_access:  read_only
        .address_space:  global
        .offset:         24
        .size:           8
        .value_kind:     global_buffer
      - .actual_access:  read_only
        .address_space:  global
        .offset:         32
        .size:           8
        .value_kind:     global_buffer
      - .actual_access:  read_only
        .address_space:  global
        .offset:         40
        .size:           8
        .value_kind:     global_buffer
      - .offset:         48
        .size:           8
        .value_kind:     by_value
      - .address_space:  global
        .offset:         56
        .size:           8
        .value_kind:     global_buffer
      - .offset:         64
        .size:           4
        .value_kind:     by_value
      - .offset:         68
        .size:           1
        .value_kind:     by_value
    .group_segment_fixed_size: 0
    .kernarg_segment_align: 8
    .kernarg_segment_size: 72
    .language:       OpenCL C
    .language_version:
      - 2
      - 0
    .max_flat_workgroup_size: 128
    .name:           _ZN9rocsparseL19gebsrmvn_4xn_kernelILj128ELj3ELj4E21rocsparse_complex_numIfEEEvi20rocsparse_direction_NS_24const_host_device_scalarIT2_EEPKiS8_PKS5_SA_S6_PS5_21rocsparse_index_base_b
    .private_segment_fixed_size: 0
    .sgpr_count:     16
    .sgpr_spill_count: 0
    .symbol:         _ZN9rocsparseL19gebsrmvn_4xn_kernelILj128ELj3ELj4E21rocsparse_complex_numIfEEEvi20rocsparse_direction_NS_24const_host_device_scalarIT2_EEPKiS8_PKS5_SA_S6_PS5_21rocsparse_index_base_b.kd
    .uniform_work_group_size: 1
    .uses_dynamic_stack: false
    .vgpr_count:     51
    .vgpr_spill_count: 0
    .wavefront_size: 32
    .workgroup_processor_mode: 1
  - .args:
      - .offset:         0
        .size:           4
        .value_kind:     by_value
      - .offset:         4
        .size:           4
        .value_kind:     by_value
      - .offset:         8
        .size:           8
        .value_kind:     by_value
      - .actual_access:  read_only
        .address_space:  global
        .offset:         16
        .size:           8
        .value_kind:     global_buffer
      - .actual_access:  read_only
        .address_space:  global
        .offset:         24
        .size:           8
        .value_kind:     global_buffer
      - .actual_access:  read_only
        .address_space:  global
        .offset:         32
        .size:           8
        .value_kind:     global_buffer
      - .actual_access:  read_only
        .address_space:  global
        .offset:         40
        .size:           8
        .value_kind:     global_buffer
      - .offset:         48
        .size:           8
        .value_kind:     by_value
      - .address_space:  global
        .offset:         56
        .size:           8
        .value_kind:     global_buffer
      - .offset:         64
        .size:           4
        .value_kind:     by_value
      - .offset:         68
        .size:           1
        .value_kind:     by_value
    .group_segment_fixed_size: 0
    .kernarg_segment_align: 8
    .kernarg_segment_size: 72
    .language:       OpenCL C
    .language_version:
      - 2
      - 0
    .max_flat_workgroup_size: 128
    .name:           _ZN9rocsparseL19gebsrmvn_4xn_kernelILj128ELj3ELj8E21rocsparse_complex_numIfEEEvi20rocsparse_direction_NS_24const_host_device_scalarIT2_EEPKiS8_PKS5_SA_S6_PS5_21rocsparse_index_base_b
    .private_segment_fixed_size: 0
    .sgpr_count:     16
    .sgpr_spill_count: 0
    .symbol:         _ZN9rocsparseL19gebsrmvn_4xn_kernelILj128ELj3ELj8E21rocsparse_complex_numIfEEEvi20rocsparse_direction_NS_24const_host_device_scalarIT2_EEPKiS8_PKS5_SA_S6_PS5_21rocsparse_index_base_b.kd
    .uniform_work_group_size: 1
    .uses_dynamic_stack: false
    .vgpr_count:     51
    .vgpr_spill_count: 0
    .wavefront_size: 32
    .workgroup_processor_mode: 1
  - .args:
      - .offset:         0
        .size:           4
        .value_kind:     by_value
      - .offset:         4
        .size:           4
        .value_kind:     by_value
      - .offset:         8
        .size:           8
        .value_kind:     by_value
      - .actual_access:  read_only
        .address_space:  global
        .offset:         16
        .size:           8
        .value_kind:     global_buffer
      - .actual_access:  read_only
        .address_space:  global
        .offset:         24
        .size:           8
        .value_kind:     global_buffer
      - .actual_access:  read_only
        .address_space:  global
        .offset:         32
        .size:           8
        .value_kind:     global_buffer
      - .actual_access:  read_only
        .address_space:  global
        .offset:         40
        .size:           8
        .value_kind:     global_buffer
      - .offset:         48
        .size:           8
        .value_kind:     by_value
      - .address_space:  global
        .offset:         56
        .size:           8
        .value_kind:     global_buffer
      - .offset:         64
        .size:           4
        .value_kind:     by_value
      - .offset:         68
        .size:           1
        .value_kind:     by_value
    .group_segment_fixed_size: 0
    .kernarg_segment_align: 8
    .kernarg_segment_size: 72
    .language:       OpenCL C
    .language_version:
      - 2
      - 0
    .max_flat_workgroup_size: 128
    .name:           _ZN9rocsparseL19gebsrmvn_4xn_kernelILj128ELj3ELj16E21rocsparse_complex_numIfEEEvi20rocsparse_direction_NS_24const_host_device_scalarIT2_EEPKiS8_PKS5_SA_S6_PS5_21rocsparse_index_base_b
    .private_segment_fixed_size: 0
    .sgpr_count:     16
    .sgpr_spill_count: 0
    .symbol:         _ZN9rocsparseL19gebsrmvn_4xn_kernelILj128ELj3ELj16E21rocsparse_complex_numIfEEEvi20rocsparse_direction_NS_24const_host_device_scalarIT2_EEPKiS8_PKS5_SA_S6_PS5_21rocsparse_index_base_b.kd
    .uniform_work_group_size: 1
    .uses_dynamic_stack: false
    .vgpr_count:     51
    .vgpr_spill_count: 0
    .wavefront_size: 32
    .workgroup_processor_mode: 1
  - .args:
      - .offset:         0
        .size:           4
        .value_kind:     by_value
      - .offset:         4
        .size:           4
        .value_kind:     by_value
      - .offset:         8
        .size:           8
        .value_kind:     by_value
      - .actual_access:  read_only
        .address_space:  global
        .offset:         16
        .size:           8
        .value_kind:     global_buffer
      - .actual_access:  read_only
        .address_space:  global
        .offset:         24
        .size:           8
        .value_kind:     global_buffer
      - .actual_access:  read_only
        .address_space:  global
        .offset:         32
        .size:           8
        .value_kind:     global_buffer
      - .actual_access:  read_only
        .address_space:  global
        .offset:         40
        .size:           8
        .value_kind:     global_buffer
      - .offset:         48
        .size:           8
        .value_kind:     by_value
      - .address_space:  global
        .offset:         56
        .size:           8
        .value_kind:     global_buffer
      - .offset:         64
        .size:           4
        .value_kind:     by_value
      - .offset:         68
        .size:           1
        .value_kind:     by_value
    .group_segment_fixed_size: 0
    .kernarg_segment_align: 8
    .kernarg_segment_size: 72
    .language:       OpenCL C
    .language_version:
      - 2
      - 0
    .max_flat_workgroup_size: 128
    .name:           _ZN9rocsparseL19gebsrmvn_4xn_kernelILj128ELj3ELj32E21rocsparse_complex_numIfEEEvi20rocsparse_direction_NS_24const_host_device_scalarIT2_EEPKiS8_PKS5_SA_S6_PS5_21rocsparse_index_base_b
    .private_segment_fixed_size: 0
    .sgpr_count:     16
    .sgpr_spill_count: 0
    .symbol:         _ZN9rocsparseL19gebsrmvn_4xn_kernelILj128ELj3ELj32E21rocsparse_complex_numIfEEEvi20rocsparse_direction_NS_24const_host_device_scalarIT2_EEPKiS8_PKS5_SA_S6_PS5_21rocsparse_index_base_b.kd
    .uniform_work_group_size: 1
    .uses_dynamic_stack: false
    .vgpr_count:     51
    .vgpr_spill_count: 0
    .wavefront_size: 32
    .workgroup_processor_mode: 1
  - .args:
      - .offset:         0
        .size:           4
        .value_kind:     by_value
      - .offset:         4
        .size:           4
        .value_kind:     by_value
      - .offset:         8
        .size:           8
        .value_kind:     by_value
      - .actual_access:  read_only
        .address_space:  global
        .offset:         16
        .size:           8
        .value_kind:     global_buffer
      - .actual_access:  read_only
        .address_space:  global
        .offset:         24
        .size:           8
        .value_kind:     global_buffer
      - .actual_access:  read_only
        .address_space:  global
        .offset:         32
        .size:           8
        .value_kind:     global_buffer
      - .actual_access:  read_only
        .address_space:  global
        .offset:         40
        .size:           8
        .value_kind:     global_buffer
      - .offset:         48
        .size:           8
        .value_kind:     by_value
      - .address_space:  global
        .offset:         56
        .size:           8
        .value_kind:     global_buffer
      - .offset:         64
        .size:           4
        .value_kind:     by_value
      - .offset:         68
        .size:           1
        .value_kind:     by_value
    .group_segment_fixed_size: 0
    .kernarg_segment_align: 8
    .kernarg_segment_size: 72
    .language:       OpenCL C
    .language_version:
      - 2
      - 0
    .max_flat_workgroup_size: 128
    .name:           _ZN9rocsparseL19gebsrmvn_4xn_kernelILj128ELj3ELj64E21rocsparse_complex_numIfEEEvi20rocsparse_direction_NS_24const_host_device_scalarIT2_EEPKiS8_PKS5_SA_S6_PS5_21rocsparse_index_base_b
    .private_segment_fixed_size: 0
    .sgpr_count:     16
    .sgpr_spill_count: 0
    .symbol:         _ZN9rocsparseL19gebsrmvn_4xn_kernelILj128ELj3ELj64E21rocsparse_complex_numIfEEEvi20rocsparse_direction_NS_24const_host_device_scalarIT2_EEPKiS8_PKS5_SA_S6_PS5_21rocsparse_index_base_b.kd
    .uniform_work_group_size: 1
    .uses_dynamic_stack: false
    .vgpr_count:     51
    .vgpr_spill_count: 0
    .wavefront_size: 32
    .workgroup_processor_mode: 1
  - .args:
      - .offset:         0
        .size:           4
        .value_kind:     by_value
      - .offset:         4
        .size:           4
        .value_kind:     by_value
      - .offset:         8
        .size:           8
        .value_kind:     by_value
      - .actual_access:  read_only
        .address_space:  global
        .offset:         16
        .size:           8
        .value_kind:     global_buffer
      - .actual_access:  read_only
        .address_space:  global
        .offset:         24
        .size:           8
        .value_kind:     global_buffer
      - .actual_access:  read_only
        .address_space:  global
        .offset:         32
        .size:           8
        .value_kind:     global_buffer
      - .actual_access:  read_only
        .address_space:  global
        .offset:         40
        .size:           8
        .value_kind:     global_buffer
      - .offset:         48
        .size:           8
        .value_kind:     by_value
      - .address_space:  global
        .offset:         56
        .size:           8
        .value_kind:     global_buffer
      - .offset:         64
        .size:           4
        .value_kind:     by_value
      - .offset:         68
        .size:           1
        .value_kind:     by_value
    .group_segment_fixed_size: 0
    .kernarg_segment_align: 8
    .kernarg_segment_size: 72
    .language:       OpenCL C
    .language_version:
      - 2
      - 0
    .max_flat_workgroup_size: 128
    .name:           _ZN9rocsparseL19gebsrmvn_4xn_kernelILj128ELj5ELj4E21rocsparse_complex_numIfEEEvi20rocsparse_direction_NS_24const_host_device_scalarIT2_EEPKiS8_PKS5_SA_S6_PS5_21rocsparse_index_base_b
    .private_segment_fixed_size: 0
    .sgpr_count:     16
    .sgpr_spill_count: 0
    .symbol:         _ZN9rocsparseL19gebsrmvn_4xn_kernelILj128ELj5ELj4E21rocsparse_complex_numIfEEEvi20rocsparse_direction_NS_24const_host_device_scalarIT2_EEPKiS8_PKS5_SA_S6_PS5_21rocsparse_index_base_b.kd
    .uniform_work_group_size: 1
    .uses_dynamic_stack: false
    .vgpr_count:     72
    .vgpr_spill_count: 0
    .wavefront_size: 32
    .workgroup_processor_mode: 1
  - .args:
      - .offset:         0
        .size:           4
        .value_kind:     by_value
      - .offset:         4
        .size:           4
        .value_kind:     by_value
      - .offset:         8
        .size:           8
        .value_kind:     by_value
      - .actual_access:  read_only
        .address_space:  global
        .offset:         16
        .size:           8
        .value_kind:     global_buffer
      - .actual_access:  read_only
        .address_space:  global
        .offset:         24
        .size:           8
        .value_kind:     global_buffer
      - .actual_access:  read_only
        .address_space:  global
        .offset:         32
        .size:           8
        .value_kind:     global_buffer
      - .actual_access:  read_only
        .address_space:  global
        .offset:         40
        .size:           8
        .value_kind:     global_buffer
      - .offset:         48
        .size:           8
        .value_kind:     by_value
      - .address_space:  global
        .offset:         56
        .size:           8
        .value_kind:     global_buffer
      - .offset:         64
        .size:           4
        .value_kind:     by_value
      - .offset:         68
        .size:           1
        .value_kind:     by_value
    .group_segment_fixed_size: 0
    .kernarg_segment_align: 8
    .kernarg_segment_size: 72
    .language:       OpenCL C
    .language_version:
      - 2
      - 0
    .max_flat_workgroup_size: 128
    .name:           _ZN9rocsparseL19gebsrmvn_4xn_kernelILj128ELj5ELj8E21rocsparse_complex_numIfEEEvi20rocsparse_direction_NS_24const_host_device_scalarIT2_EEPKiS8_PKS5_SA_S6_PS5_21rocsparse_index_base_b
    .private_segment_fixed_size: 0
    .sgpr_count:     16
    .sgpr_spill_count: 0
    .symbol:         _ZN9rocsparseL19gebsrmvn_4xn_kernelILj128ELj5ELj8E21rocsparse_complex_numIfEEEvi20rocsparse_direction_NS_24const_host_device_scalarIT2_EEPKiS8_PKS5_SA_S6_PS5_21rocsparse_index_base_b.kd
    .uniform_work_group_size: 1
    .uses_dynamic_stack: false
    .vgpr_count:     72
    .vgpr_spill_count: 0
    .wavefront_size: 32
    .workgroup_processor_mode: 1
  - .args:
      - .offset:         0
        .size:           4
        .value_kind:     by_value
      - .offset:         4
        .size:           4
        .value_kind:     by_value
      - .offset:         8
        .size:           8
        .value_kind:     by_value
      - .actual_access:  read_only
        .address_space:  global
        .offset:         16
        .size:           8
        .value_kind:     global_buffer
      - .actual_access:  read_only
        .address_space:  global
        .offset:         24
        .size:           8
        .value_kind:     global_buffer
      - .actual_access:  read_only
        .address_space:  global
        .offset:         32
        .size:           8
        .value_kind:     global_buffer
      - .actual_access:  read_only
        .address_space:  global
        .offset:         40
        .size:           8
        .value_kind:     global_buffer
      - .offset:         48
        .size:           8
        .value_kind:     by_value
      - .address_space:  global
        .offset:         56
        .size:           8
        .value_kind:     global_buffer
      - .offset:         64
        .size:           4
        .value_kind:     by_value
      - .offset:         68
        .size:           1
        .value_kind:     by_value
    .group_segment_fixed_size: 0
    .kernarg_segment_align: 8
    .kernarg_segment_size: 72
    .language:       OpenCL C
    .language_version:
      - 2
      - 0
    .max_flat_workgroup_size: 128
    .name:           _ZN9rocsparseL19gebsrmvn_4xn_kernelILj128ELj5ELj16E21rocsparse_complex_numIfEEEvi20rocsparse_direction_NS_24const_host_device_scalarIT2_EEPKiS8_PKS5_SA_S6_PS5_21rocsparse_index_base_b
    .private_segment_fixed_size: 0
    .sgpr_count:     16
    .sgpr_spill_count: 0
    .symbol:         _ZN9rocsparseL19gebsrmvn_4xn_kernelILj128ELj5ELj16E21rocsparse_complex_numIfEEEvi20rocsparse_direction_NS_24const_host_device_scalarIT2_EEPKiS8_PKS5_SA_S6_PS5_21rocsparse_index_base_b.kd
    .uniform_work_group_size: 1
    .uses_dynamic_stack: false
    .vgpr_count:     72
    .vgpr_spill_count: 0
    .wavefront_size: 32
    .workgroup_processor_mode: 1
  - .args:
      - .offset:         0
        .size:           4
        .value_kind:     by_value
      - .offset:         4
        .size:           4
        .value_kind:     by_value
      - .offset:         8
        .size:           8
        .value_kind:     by_value
      - .actual_access:  read_only
        .address_space:  global
        .offset:         16
        .size:           8
        .value_kind:     global_buffer
      - .actual_access:  read_only
        .address_space:  global
        .offset:         24
        .size:           8
        .value_kind:     global_buffer
      - .actual_access:  read_only
        .address_space:  global
        .offset:         32
        .size:           8
        .value_kind:     global_buffer
      - .actual_access:  read_only
        .address_space:  global
        .offset:         40
        .size:           8
        .value_kind:     global_buffer
      - .offset:         48
        .size:           8
        .value_kind:     by_value
      - .address_space:  global
        .offset:         56
        .size:           8
        .value_kind:     global_buffer
      - .offset:         64
        .size:           4
        .value_kind:     by_value
      - .offset:         68
        .size:           1
        .value_kind:     by_value
    .group_segment_fixed_size: 0
    .kernarg_segment_align: 8
    .kernarg_segment_size: 72
    .language:       OpenCL C
    .language_version:
      - 2
      - 0
    .max_flat_workgroup_size: 128
    .name:           _ZN9rocsparseL19gebsrmvn_4xn_kernelILj128ELj5ELj32E21rocsparse_complex_numIfEEEvi20rocsparse_direction_NS_24const_host_device_scalarIT2_EEPKiS8_PKS5_SA_S6_PS5_21rocsparse_index_base_b
    .private_segment_fixed_size: 0
    .sgpr_count:     16
    .sgpr_spill_count: 0
    .symbol:         _ZN9rocsparseL19gebsrmvn_4xn_kernelILj128ELj5ELj32E21rocsparse_complex_numIfEEEvi20rocsparse_direction_NS_24const_host_device_scalarIT2_EEPKiS8_PKS5_SA_S6_PS5_21rocsparse_index_base_b.kd
    .uniform_work_group_size: 1
    .uses_dynamic_stack: false
    .vgpr_count:     72
    .vgpr_spill_count: 0
    .wavefront_size: 32
    .workgroup_processor_mode: 1
  - .args:
      - .offset:         0
        .size:           4
        .value_kind:     by_value
      - .offset:         4
        .size:           4
        .value_kind:     by_value
      - .offset:         8
        .size:           8
        .value_kind:     by_value
      - .actual_access:  read_only
        .address_space:  global
        .offset:         16
        .size:           8
        .value_kind:     global_buffer
      - .actual_access:  read_only
        .address_space:  global
        .offset:         24
        .size:           8
        .value_kind:     global_buffer
      - .actual_access:  read_only
        .address_space:  global
        .offset:         32
        .size:           8
        .value_kind:     global_buffer
      - .actual_access:  read_only
        .address_space:  global
        .offset:         40
        .size:           8
        .value_kind:     global_buffer
      - .offset:         48
        .size:           8
        .value_kind:     by_value
      - .address_space:  global
        .offset:         56
        .size:           8
        .value_kind:     global_buffer
      - .offset:         64
        .size:           4
        .value_kind:     by_value
      - .offset:         68
        .size:           1
        .value_kind:     by_value
    .group_segment_fixed_size: 0
    .kernarg_segment_align: 8
    .kernarg_segment_size: 72
    .language:       OpenCL C
    .language_version:
      - 2
      - 0
    .max_flat_workgroup_size: 128
    .name:           _ZN9rocsparseL19gebsrmvn_4xn_kernelILj128ELj5ELj64E21rocsparse_complex_numIfEEEvi20rocsparse_direction_NS_24const_host_device_scalarIT2_EEPKiS8_PKS5_SA_S6_PS5_21rocsparse_index_base_b
    .private_segment_fixed_size: 0
    .sgpr_count:     16
    .sgpr_spill_count: 0
    .symbol:         _ZN9rocsparseL19gebsrmvn_4xn_kernelILj128ELj5ELj64E21rocsparse_complex_numIfEEEvi20rocsparse_direction_NS_24const_host_device_scalarIT2_EEPKiS8_PKS5_SA_S6_PS5_21rocsparse_index_base_b.kd
    .uniform_work_group_size: 1
    .uses_dynamic_stack: false
    .vgpr_count:     72
    .vgpr_spill_count: 0
    .wavefront_size: 32
    .workgroup_processor_mode: 1
  - .args:
      - .offset:         0
        .size:           4
        .value_kind:     by_value
      - .offset:         4
        .size:           4
        .value_kind:     by_value
      - .offset:         8
        .size:           8
        .value_kind:     by_value
      - .actual_access:  read_only
        .address_space:  global
        .offset:         16
        .size:           8
        .value_kind:     global_buffer
      - .actual_access:  read_only
        .address_space:  global
        .offset:         24
        .size:           8
        .value_kind:     global_buffer
      - .actual_access:  read_only
        .address_space:  global
        .offset:         32
        .size:           8
        .value_kind:     global_buffer
      - .actual_access:  read_only
        .address_space:  global
        .offset:         40
        .size:           8
        .value_kind:     global_buffer
      - .offset:         48
        .size:           8
        .value_kind:     by_value
      - .address_space:  global
        .offset:         56
        .size:           8
        .value_kind:     global_buffer
      - .offset:         64
        .size:           4
        .value_kind:     by_value
      - .offset:         68
        .size:           1
        .value_kind:     by_value
    .group_segment_fixed_size: 0
    .kernarg_segment_align: 8
    .kernarg_segment_size: 72
    .language:       OpenCL C
    .language_version:
      - 2
      - 0
    .max_flat_workgroup_size: 128
    .name:           _ZN9rocsparseL19gebsrmvn_4xn_kernelILj128ELj6ELj4E21rocsparse_complex_numIfEEEvi20rocsparse_direction_NS_24const_host_device_scalarIT2_EEPKiS8_PKS5_SA_S6_PS5_21rocsparse_index_base_b
    .private_segment_fixed_size: 0
    .sgpr_count:     16
    .sgpr_spill_count: 0
    .symbol:         _ZN9rocsparseL19gebsrmvn_4xn_kernelILj128ELj6ELj4E21rocsparse_complex_numIfEEEvi20rocsparse_direction_NS_24const_host_device_scalarIT2_EEPKiS8_PKS5_SA_S6_PS5_21rocsparse_index_base_b.kd
    .uniform_work_group_size: 1
    .uses_dynamic_stack: false
    .vgpr_count:     82
    .vgpr_spill_count: 0
    .wavefront_size: 32
    .workgroup_processor_mode: 1
  - .args:
      - .offset:         0
        .size:           4
        .value_kind:     by_value
      - .offset:         4
        .size:           4
        .value_kind:     by_value
      - .offset:         8
        .size:           8
        .value_kind:     by_value
      - .actual_access:  read_only
        .address_space:  global
        .offset:         16
        .size:           8
        .value_kind:     global_buffer
      - .actual_access:  read_only
        .address_space:  global
        .offset:         24
        .size:           8
        .value_kind:     global_buffer
      - .actual_access:  read_only
        .address_space:  global
        .offset:         32
        .size:           8
        .value_kind:     global_buffer
      - .actual_access:  read_only
        .address_space:  global
        .offset:         40
        .size:           8
        .value_kind:     global_buffer
      - .offset:         48
        .size:           8
        .value_kind:     by_value
      - .address_space:  global
        .offset:         56
        .size:           8
        .value_kind:     global_buffer
      - .offset:         64
        .size:           4
        .value_kind:     by_value
      - .offset:         68
        .size:           1
        .value_kind:     by_value
    .group_segment_fixed_size: 0
    .kernarg_segment_align: 8
    .kernarg_segment_size: 72
    .language:       OpenCL C
    .language_version:
      - 2
      - 0
    .max_flat_workgroup_size: 128
    .name:           _ZN9rocsparseL19gebsrmvn_4xn_kernelILj128ELj6ELj8E21rocsparse_complex_numIfEEEvi20rocsparse_direction_NS_24const_host_device_scalarIT2_EEPKiS8_PKS5_SA_S6_PS5_21rocsparse_index_base_b
    .private_segment_fixed_size: 0
    .sgpr_count:     16
    .sgpr_spill_count: 0
    .symbol:         _ZN9rocsparseL19gebsrmvn_4xn_kernelILj128ELj6ELj8E21rocsparse_complex_numIfEEEvi20rocsparse_direction_NS_24const_host_device_scalarIT2_EEPKiS8_PKS5_SA_S6_PS5_21rocsparse_index_base_b.kd
    .uniform_work_group_size: 1
    .uses_dynamic_stack: false
    .vgpr_count:     82
    .vgpr_spill_count: 0
    .wavefront_size: 32
    .workgroup_processor_mode: 1
  - .args:
      - .offset:         0
        .size:           4
        .value_kind:     by_value
      - .offset:         4
        .size:           4
        .value_kind:     by_value
      - .offset:         8
        .size:           8
        .value_kind:     by_value
      - .actual_access:  read_only
        .address_space:  global
        .offset:         16
        .size:           8
        .value_kind:     global_buffer
      - .actual_access:  read_only
        .address_space:  global
        .offset:         24
        .size:           8
        .value_kind:     global_buffer
      - .actual_access:  read_only
        .address_space:  global
        .offset:         32
        .size:           8
        .value_kind:     global_buffer
      - .actual_access:  read_only
        .address_space:  global
        .offset:         40
        .size:           8
        .value_kind:     global_buffer
      - .offset:         48
        .size:           8
        .value_kind:     by_value
      - .address_space:  global
        .offset:         56
        .size:           8
        .value_kind:     global_buffer
      - .offset:         64
        .size:           4
        .value_kind:     by_value
      - .offset:         68
        .size:           1
        .value_kind:     by_value
    .group_segment_fixed_size: 0
    .kernarg_segment_align: 8
    .kernarg_segment_size: 72
    .language:       OpenCL C
    .language_version:
      - 2
      - 0
    .max_flat_workgroup_size: 128
    .name:           _ZN9rocsparseL19gebsrmvn_4xn_kernelILj128ELj6ELj16E21rocsparse_complex_numIfEEEvi20rocsparse_direction_NS_24const_host_device_scalarIT2_EEPKiS8_PKS5_SA_S6_PS5_21rocsparse_index_base_b
    .private_segment_fixed_size: 0
    .sgpr_count:     16
    .sgpr_spill_count: 0
    .symbol:         _ZN9rocsparseL19gebsrmvn_4xn_kernelILj128ELj6ELj16E21rocsparse_complex_numIfEEEvi20rocsparse_direction_NS_24const_host_device_scalarIT2_EEPKiS8_PKS5_SA_S6_PS5_21rocsparse_index_base_b.kd
    .uniform_work_group_size: 1
    .uses_dynamic_stack: false
    .vgpr_count:     82
    .vgpr_spill_count: 0
    .wavefront_size: 32
    .workgroup_processor_mode: 1
  - .args:
      - .offset:         0
        .size:           4
        .value_kind:     by_value
      - .offset:         4
        .size:           4
        .value_kind:     by_value
      - .offset:         8
        .size:           8
        .value_kind:     by_value
      - .actual_access:  read_only
        .address_space:  global
        .offset:         16
        .size:           8
        .value_kind:     global_buffer
      - .actual_access:  read_only
        .address_space:  global
        .offset:         24
        .size:           8
        .value_kind:     global_buffer
      - .actual_access:  read_only
        .address_space:  global
        .offset:         32
        .size:           8
        .value_kind:     global_buffer
      - .actual_access:  read_only
        .address_space:  global
        .offset:         40
        .size:           8
        .value_kind:     global_buffer
      - .offset:         48
        .size:           8
        .value_kind:     by_value
      - .address_space:  global
        .offset:         56
        .size:           8
        .value_kind:     global_buffer
      - .offset:         64
        .size:           4
        .value_kind:     by_value
      - .offset:         68
        .size:           1
        .value_kind:     by_value
    .group_segment_fixed_size: 0
    .kernarg_segment_align: 8
    .kernarg_segment_size: 72
    .language:       OpenCL C
    .language_version:
      - 2
      - 0
    .max_flat_workgroup_size: 128
    .name:           _ZN9rocsparseL19gebsrmvn_4xn_kernelILj128ELj6ELj32E21rocsparse_complex_numIfEEEvi20rocsparse_direction_NS_24const_host_device_scalarIT2_EEPKiS8_PKS5_SA_S6_PS5_21rocsparse_index_base_b
    .private_segment_fixed_size: 0
    .sgpr_count:     16
    .sgpr_spill_count: 0
    .symbol:         _ZN9rocsparseL19gebsrmvn_4xn_kernelILj128ELj6ELj32E21rocsparse_complex_numIfEEEvi20rocsparse_direction_NS_24const_host_device_scalarIT2_EEPKiS8_PKS5_SA_S6_PS5_21rocsparse_index_base_b.kd
    .uniform_work_group_size: 1
    .uses_dynamic_stack: false
    .vgpr_count:     82
    .vgpr_spill_count: 0
    .wavefront_size: 32
    .workgroup_processor_mode: 1
  - .args:
      - .offset:         0
        .size:           4
        .value_kind:     by_value
      - .offset:         4
        .size:           4
        .value_kind:     by_value
      - .offset:         8
        .size:           8
        .value_kind:     by_value
      - .actual_access:  read_only
        .address_space:  global
        .offset:         16
        .size:           8
        .value_kind:     global_buffer
      - .actual_access:  read_only
        .address_space:  global
        .offset:         24
        .size:           8
        .value_kind:     global_buffer
      - .actual_access:  read_only
        .address_space:  global
        .offset:         32
        .size:           8
        .value_kind:     global_buffer
      - .actual_access:  read_only
        .address_space:  global
        .offset:         40
        .size:           8
        .value_kind:     global_buffer
      - .offset:         48
        .size:           8
        .value_kind:     by_value
      - .address_space:  global
        .offset:         56
        .size:           8
        .value_kind:     global_buffer
      - .offset:         64
        .size:           4
        .value_kind:     by_value
      - .offset:         68
        .size:           1
        .value_kind:     by_value
    .group_segment_fixed_size: 0
    .kernarg_segment_align: 8
    .kernarg_segment_size: 72
    .language:       OpenCL C
    .language_version:
      - 2
      - 0
    .max_flat_workgroup_size: 128
    .name:           _ZN9rocsparseL19gebsrmvn_4xn_kernelILj128ELj6ELj64E21rocsparse_complex_numIfEEEvi20rocsparse_direction_NS_24const_host_device_scalarIT2_EEPKiS8_PKS5_SA_S6_PS5_21rocsparse_index_base_b
    .private_segment_fixed_size: 0
    .sgpr_count:     16
    .sgpr_spill_count: 0
    .symbol:         _ZN9rocsparseL19gebsrmvn_4xn_kernelILj128ELj6ELj64E21rocsparse_complex_numIfEEEvi20rocsparse_direction_NS_24const_host_device_scalarIT2_EEPKiS8_PKS5_SA_S6_PS5_21rocsparse_index_base_b.kd
    .uniform_work_group_size: 1
    .uses_dynamic_stack: false
    .vgpr_count:     82
    .vgpr_spill_count: 0
    .wavefront_size: 32
    .workgroup_processor_mode: 1
  - .args:
      - .offset:         0
        .size:           4
        .value_kind:     by_value
      - .offset:         4
        .size:           4
        .value_kind:     by_value
      - .offset:         8
        .size:           8
        .value_kind:     by_value
      - .actual_access:  read_only
        .address_space:  global
        .offset:         16
        .size:           8
        .value_kind:     global_buffer
      - .actual_access:  read_only
        .address_space:  global
        .offset:         24
        .size:           8
        .value_kind:     global_buffer
      - .actual_access:  read_only
        .address_space:  global
        .offset:         32
        .size:           8
        .value_kind:     global_buffer
      - .actual_access:  read_only
        .address_space:  global
        .offset:         40
        .size:           8
        .value_kind:     global_buffer
      - .offset:         48
        .size:           8
        .value_kind:     by_value
      - .address_space:  global
        .offset:         56
        .size:           8
        .value_kind:     global_buffer
      - .offset:         64
        .size:           4
        .value_kind:     by_value
      - .offset:         68
        .size:           1
        .value_kind:     by_value
    .group_segment_fixed_size: 0
    .kernarg_segment_align: 8
    .kernarg_segment_size: 72
    .language:       OpenCL C
    .language_version:
      - 2
      - 0
    .max_flat_workgroup_size: 128
    .name:           _ZN9rocsparseL19gebsrmvn_4xn_kernelILj128ELj7ELj4E21rocsparse_complex_numIfEEEvi20rocsparse_direction_NS_24const_host_device_scalarIT2_EEPKiS8_PKS5_SA_S6_PS5_21rocsparse_index_base_b
    .private_segment_fixed_size: 0
    .sgpr_count:     16
    .sgpr_spill_count: 0
    .symbol:         _ZN9rocsparseL19gebsrmvn_4xn_kernelILj128ELj7ELj4E21rocsparse_complex_numIfEEEvi20rocsparse_direction_NS_24const_host_device_scalarIT2_EEPKiS8_PKS5_SA_S6_PS5_21rocsparse_index_base_b.kd
    .uniform_work_group_size: 1
    .uses_dynamic_stack: false
    .vgpr_count:     89
    .vgpr_spill_count: 0
    .wavefront_size: 32
    .workgroup_processor_mode: 1
  - .args:
      - .offset:         0
        .size:           4
        .value_kind:     by_value
      - .offset:         4
        .size:           4
        .value_kind:     by_value
      - .offset:         8
        .size:           8
        .value_kind:     by_value
      - .actual_access:  read_only
        .address_space:  global
        .offset:         16
        .size:           8
        .value_kind:     global_buffer
      - .actual_access:  read_only
        .address_space:  global
        .offset:         24
        .size:           8
        .value_kind:     global_buffer
      - .actual_access:  read_only
        .address_space:  global
        .offset:         32
        .size:           8
        .value_kind:     global_buffer
      - .actual_access:  read_only
        .address_space:  global
        .offset:         40
        .size:           8
        .value_kind:     global_buffer
      - .offset:         48
        .size:           8
        .value_kind:     by_value
      - .address_space:  global
        .offset:         56
        .size:           8
        .value_kind:     global_buffer
      - .offset:         64
        .size:           4
        .value_kind:     by_value
      - .offset:         68
        .size:           1
        .value_kind:     by_value
    .group_segment_fixed_size: 0
    .kernarg_segment_align: 8
    .kernarg_segment_size: 72
    .language:       OpenCL C
    .language_version:
      - 2
      - 0
    .max_flat_workgroup_size: 128
    .name:           _ZN9rocsparseL19gebsrmvn_4xn_kernelILj128ELj7ELj8E21rocsparse_complex_numIfEEEvi20rocsparse_direction_NS_24const_host_device_scalarIT2_EEPKiS8_PKS5_SA_S6_PS5_21rocsparse_index_base_b
    .private_segment_fixed_size: 0
    .sgpr_count:     16
    .sgpr_spill_count: 0
    .symbol:         _ZN9rocsparseL19gebsrmvn_4xn_kernelILj128ELj7ELj8E21rocsparse_complex_numIfEEEvi20rocsparse_direction_NS_24const_host_device_scalarIT2_EEPKiS8_PKS5_SA_S6_PS5_21rocsparse_index_base_b.kd
    .uniform_work_group_size: 1
    .uses_dynamic_stack: false
    .vgpr_count:     89
    .vgpr_spill_count: 0
    .wavefront_size: 32
    .workgroup_processor_mode: 1
  - .args:
      - .offset:         0
        .size:           4
        .value_kind:     by_value
      - .offset:         4
        .size:           4
        .value_kind:     by_value
      - .offset:         8
        .size:           8
        .value_kind:     by_value
      - .actual_access:  read_only
        .address_space:  global
        .offset:         16
        .size:           8
        .value_kind:     global_buffer
      - .actual_access:  read_only
        .address_space:  global
        .offset:         24
        .size:           8
        .value_kind:     global_buffer
      - .actual_access:  read_only
        .address_space:  global
        .offset:         32
        .size:           8
        .value_kind:     global_buffer
      - .actual_access:  read_only
        .address_space:  global
        .offset:         40
        .size:           8
        .value_kind:     global_buffer
      - .offset:         48
        .size:           8
        .value_kind:     by_value
      - .address_space:  global
        .offset:         56
        .size:           8
        .value_kind:     global_buffer
      - .offset:         64
        .size:           4
        .value_kind:     by_value
      - .offset:         68
        .size:           1
        .value_kind:     by_value
    .group_segment_fixed_size: 0
    .kernarg_segment_align: 8
    .kernarg_segment_size: 72
    .language:       OpenCL C
    .language_version:
      - 2
      - 0
    .max_flat_workgroup_size: 128
    .name:           _ZN9rocsparseL19gebsrmvn_4xn_kernelILj128ELj7ELj16E21rocsparse_complex_numIfEEEvi20rocsparse_direction_NS_24const_host_device_scalarIT2_EEPKiS8_PKS5_SA_S6_PS5_21rocsparse_index_base_b
    .private_segment_fixed_size: 0
    .sgpr_count:     16
    .sgpr_spill_count: 0
    .symbol:         _ZN9rocsparseL19gebsrmvn_4xn_kernelILj128ELj7ELj16E21rocsparse_complex_numIfEEEvi20rocsparse_direction_NS_24const_host_device_scalarIT2_EEPKiS8_PKS5_SA_S6_PS5_21rocsparse_index_base_b.kd
    .uniform_work_group_size: 1
    .uses_dynamic_stack: false
    .vgpr_count:     89
    .vgpr_spill_count: 0
    .wavefront_size: 32
    .workgroup_processor_mode: 1
  - .args:
      - .offset:         0
        .size:           4
        .value_kind:     by_value
      - .offset:         4
        .size:           4
        .value_kind:     by_value
      - .offset:         8
        .size:           8
        .value_kind:     by_value
      - .actual_access:  read_only
        .address_space:  global
        .offset:         16
        .size:           8
        .value_kind:     global_buffer
      - .actual_access:  read_only
        .address_space:  global
        .offset:         24
        .size:           8
        .value_kind:     global_buffer
      - .actual_access:  read_only
        .address_space:  global
        .offset:         32
        .size:           8
        .value_kind:     global_buffer
      - .actual_access:  read_only
        .address_space:  global
        .offset:         40
        .size:           8
        .value_kind:     global_buffer
      - .offset:         48
        .size:           8
        .value_kind:     by_value
      - .address_space:  global
        .offset:         56
        .size:           8
        .value_kind:     global_buffer
      - .offset:         64
        .size:           4
        .value_kind:     by_value
      - .offset:         68
        .size:           1
        .value_kind:     by_value
    .group_segment_fixed_size: 0
    .kernarg_segment_align: 8
    .kernarg_segment_size: 72
    .language:       OpenCL C
    .language_version:
      - 2
      - 0
    .max_flat_workgroup_size: 128
    .name:           _ZN9rocsparseL19gebsrmvn_4xn_kernelILj128ELj7ELj32E21rocsparse_complex_numIfEEEvi20rocsparse_direction_NS_24const_host_device_scalarIT2_EEPKiS8_PKS5_SA_S6_PS5_21rocsparse_index_base_b
    .private_segment_fixed_size: 0
    .sgpr_count:     16
    .sgpr_spill_count: 0
    .symbol:         _ZN9rocsparseL19gebsrmvn_4xn_kernelILj128ELj7ELj32E21rocsparse_complex_numIfEEEvi20rocsparse_direction_NS_24const_host_device_scalarIT2_EEPKiS8_PKS5_SA_S6_PS5_21rocsparse_index_base_b.kd
    .uniform_work_group_size: 1
    .uses_dynamic_stack: false
    .vgpr_count:     89
    .vgpr_spill_count: 0
    .wavefront_size: 32
    .workgroup_processor_mode: 1
  - .args:
      - .offset:         0
        .size:           4
        .value_kind:     by_value
      - .offset:         4
        .size:           4
        .value_kind:     by_value
      - .offset:         8
        .size:           8
        .value_kind:     by_value
      - .actual_access:  read_only
        .address_space:  global
        .offset:         16
        .size:           8
        .value_kind:     global_buffer
      - .actual_access:  read_only
        .address_space:  global
        .offset:         24
        .size:           8
        .value_kind:     global_buffer
      - .actual_access:  read_only
        .address_space:  global
        .offset:         32
        .size:           8
        .value_kind:     global_buffer
      - .actual_access:  read_only
        .address_space:  global
        .offset:         40
        .size:           8
        .value_kind:     global_buffer
      - .offset:         48
        .size:           8
        .value_kind:     by_value
      - .address_space:  global
        .offset:         56
        .size:           8
        .value_kind:     global_buffer
      - .offset:         64
        .size:           4
        .value_kind:     by_value
      - .offset:         68
        .size:           1
        .value_kind:     by_value
    .group_segment_fixed_size: 0
    .kernarg_segment_align: 8
    .kernarg_segment_size: 72
    .language:       OpenCL C
    .language_version:
      - 2
      - 0
    .max_flat_workgroup_size: 128
    .name:           _ZN9rocsparseL19gebsrmvn_4xn_kernelILj128ELj7ELj64E21rocsparse_complex_numIfEEEvi20rocsparse_direction_NS_24const_host_device_scalarIT2_EEPKiS8_PKS5_SA_S6_PS5_21rocsparse_index_base_b
    .private_segment_fixed_size: 0
    .sgpr_count:     16
    .sgpr_spill_count: 0
    .symbol:         _ZN9rocsparseL19gebsrmvn_4xn_kernelILj128ELj7ELj64E21rocsparse_complex_numIfEEEvi20rocsparse_direction_NS_24const_host_device_scalarIT2_EEPKiS8_PKS5_SA_S6_PS5_21rocsparse_index_base_b.kd
    .uniform_work_group_size: 1
    .uses_dynamic_stack: false
    .vgpr_count:     89
    .vgpr_spill_count: 0
    .wavefront_size: 32
    .workgroup_processor_mode: 1
  - .args:
      - .offset:         0
        .size:           4
        .value_kind:     by_value
      - .offset:         4
        .size:           4
        .value_kind:     by_value
      - .offset:         8
        .size:           8
        .value_kind:     by_value
      - .actual_access:  read_only
        .address_space:  global
        .offset:         16
        .size:           8
        .value_kind:     global_buffer
      - .actual_access:  read_only
        .address_space:  global
        .offset:         24
        .size:           8
        .value_kind:     global_buffer
      - .actual_access:  read_only
        .address_space:  global
        .offset:         32
        .size:           8
        .value_kind:     global_buffer
      - .actual_access:  read_only
        .address_space:  global
        .offset:         40
        .size:           8
        .value_kind:     global_buffer
      - .offset:         48
        .size:           8
        .value_kind:     by_value
      - .address_space:  global
        .offset:         56
        .size:           8
        .value_kind:     global_buffer
      - .offset:         64
        .size:           4
        .value_kind:     by_value
      - .offset:         68
        .size:           1
        .value_kind:     by_value
    .group_segment_fixed_size: 0
    .kernarg_segment_align: 8
    .kernarg_segment_size: 72
    .language:       OpenCL C
    .language_version:
      - 2
      - 0
    .max_flat_workgroup_size: 128
    .name:           _ZN9rocsparseL19gebsrmvn_4xn_kernelILj128ELj8ELj4E21rocsparse_complex_numIfEEEvi20rocsparse_direction_NS_24const_host_device_scalarIT2_EEPKiS8_PKS5_SA_S6_PS5_21rocsparse_index_base_b
    .private_segment_fixed_size: 0
    .sgpr_count:     16
    .sgpr_spill_count: 0
    .symbol:         _ZN9rocsparseL19gebsrmvn_4xn_kernelILj128ELj8ELj4E21rocsparse_complex_numIfEEEvi20rocsparse_direction_NS_24const_host_device_scalarIT2_EEPKiS8_PKS5_SA_S6_PS5_21rocsparse_index_base_b.kd
    .uniform_work_group_size: 1
    .uses_dynamic_stack: false
    .vgpr_count:     100
    .vgpr_spill_count: 0
    .wavefront_size: 32
    .workgroup_processor_mode: 1
  - .args:
      - .offset:         0
        .size:           4
        .value_kind:     by_value
      - .offset:         4
        .size:           4
        .value_kind:     by_value
      - .offset:         8
        .size:           8
        .value_kind:     by_value
      - .actual_access:  read_only
        .address_space:  global
        .offset:         16
        .size:           8
        .value_kind:     global_buffer
      - .actual_access:  read_only
        .address_space:  global
        .offset:         24
        .size:           8
        .value_kind:     global_buffer
      - .actual_access:  read_only
        .address_space:  global
        .offset:         32
        .size:           8
        .value_kind:     global_buffer
      - .actual_access:  read_only
        .address_space:  global
        .offset:         40
        .size:           8
        .value_kind:     global_buffer
      - .offset:         48
        .size:           8
        .value_kind:     by_value
      - .address_space:  global
        .offset:         56
        .size:           8
        .value_kind:     global_buffer
      - .offset:         64
        .size:           4
        .value_kind:     by_value
      - .offset:         68
        .size:           1
        .value_kind:     by_value
    .group_segment_fixed_size: 0
    .kernarg_segment_align: 8
    .kernarg_segment_size: 72
    .language:       OpenCL C
    .language_version:
      - 2
      - 0
    .max_flat_workgroup_size: 128
    .name:           _ZN9rocsparseL19gebsrmvn_4xn_kernelILj128ELj8ELj8E21rocsparse_complex_numIfEEEvi20rocsparse_direction_NS_24const_host_device_scalarIT2_EEPKiS8_PKS5_SA_S6_PS5_21rocsparse_index_base_b
    .private_segment_fixed_size: 0
    .sgpr_count:     16
    .sgpr_spill_count: 0
    .symbol:         _ZN9rocsparseL19gebsrmvn_4xn_kernelILj128ELj8ELj8E21rocsparse_complex_numIfEEEvi20rocsparse_direction_NS_24const_host_device_scalarIT2_EEPKiS8_PKS5_SA_S6_PS5_21rocsparse_index_base_b.kd
    .uniform_work_group_size: 1
    .uses_dynamic_stack: false
    .vgpr_count:     100
    .vgpr_spill_count: 0
    .wavefront_size: 32
    .workgroup_processor_mode: 1
  - .args:
      - .offset:         0
        .size:           4
        .value_kind:     by_value
      - .offset:         4
        .size:           4
        .value_kind:     by_value
      - .offset:         8
        .size:           8
        .value_kind:     by_value
      - .actual_access:  read_only
        .address_space:  global
        .offset:         16
        .size:           8
        .value_kind:     global_buffer
      - .actual_access:  read_only
        .address_space:  global
        .offset:         24
        .size:           8
        .value_kind:     global_buffer
      - .actual_access:  read_only
        .address_space:  global
        .offset:         32
        .size:           8
        .value_kind:     global_buffer
      - .actual_access:  read_only
        .address_space:  global
        .offset:         40
        .size:           8
        .value_kind:     global_buffer
      - .offset:         48
        .size:           8
        .value_kind:     by_value
      - .address_space:  global
        .offset:         56
        .size:           8
        .value_kind:     global_buffer
      - .offset:         64
        .size:           4
        .value_kind:     by_value
      - .offset:         68
        .size:           1
        .value_kind:     by_value
    .group_segment_fixed_size: 0
    .kernarg_segment_align: 8
    .kernarg_segment_size: 72
    .language:       OpenCL C
    .language_version:
      - 2
      - 0
    .max_flat_workgroup_size: 128
    .name:           _ZN9rocsparseL19gebsrmvn_4xn_kernelILj128ELj8ELj16E21rocsparse_complex_numIfEEEvi20rocsparse_direction_NS_24const_host_device_scalarIT2_EEPKiS8_PKS5_SA_S6_PS5_21rocsparse_index_base_b
    .private_segment_fixed_size: 0
    .sgpr_count:     16
    .sgpr_spill_count: 0
    .symbol:         _ZN9rocsparseL19gebsrmvn_4xn_kernelILj128ELj8ELj16E21rocsparse_complex_numIfEEEvi20rocsparse_direction_NS_24const_host_device_scalarIT2_EEPKiS8_PKS5_SA_S6_PS5_21rocsparse_index_base_b.kd
    .uniform_work_group_size: 1
    .uses_dynamic_stack: false
    .vgpr_count:     100
    .vgpr_spill_count: 0
    .wavefront_size: 32
    .workgroup_processor_mode: 1
  - .args:
      - .offset:         0
        .size:           4
        .value_kind:     by_value
      - .offset:         4
        .size:           4
        .value_kind:     by_value
      - .offset:         8
        .size:           8
        .value_kind:     by_value
      - .actual_access:  read_only
        .address_space:  global
        .offset:         16
        .size:           8
        .value_kind:     global_buffer
      - .actual_access:  read_only
        .address_space:  global
        .offset:         24
        .size:           8
        .value_kind:     global_buffer
      - .actual_access:  read_only
        .address_space:  global
        .offset:         32
        .size:           8
        .value_kind:     global_buffer
      - .actual_access:  read_only
        .address_space:  global
        .offset:         40
        .size:           8
        .value_kind:     global_buffer
      - .offset:         48
        .size:           8
        .value_kind:     by_value
      - .address_space:  global
        .offset:         56
        .size:           8
        .value_kind:     global_buffer
      - .offset:         64
        .size:           4
        .value_kind:     by_value
      - .offset:         68
        .size:           1
        .value_kind:     by_value
    .group_segment_fixed_size: 0
    .kernarg_segment_align: 8
    .kernarg_segment_size: 72
    .language:       OpenCL C
    .language_version:
      - 2
      - 0
    .max_flat_workgroup_size: 128
    .name:           _ZN9rocsparseL19gebsrmvn_4xn_kernelILj128ELj8ELj32E21rocsparse_complex_numIfEEEvi20rocsparse_direction_NS_24const_host_device_scalarIT2_EEPKiS8_PKS5_SA_S6_PS5_21rocsparse_index_base_b
    .private_segment_fixed_size: 0
    .sgpr_count:     16
    .sgpr_spill_count: 0
    .symbol:         _ZN9rocsparseL19gebsrmvn_4xn_kernelILj128ELj8ELj32E21rocsparse_complex_numIfEEEvi20rocsparse_direction_NS_24const_host_device_scalarIT2_EEPKiS8_PKS5_SA_S6_PS5_21rocsparse_index_base_b.kd
    .uniform_work_group_size: 1
    .uses_dynamic_stack: false
    .vgpr_count:     100
    .vgpr_spill_count: 0
    .wavefront_size: 32
    .workgroup_processor_mode: 1
  - .args:
      - .offset:         0
        .size:           4
        .value_kind:     by_value
      - .offset:         4
        .size:           4
        .value_kind:     by_value
      - .offset:         8
        .size:           8
        .value_kind:     by_value
      - .actual_access:  read_only
        .address_space:  global
        .offset:         16
        .size:           8
        .value_kind:     global_buffer
      - .actual_access:  read_only
        .address_space:  global
        .offset:         24
        .size:           8
        .value_kind:     global_buffer
      - .actual_access:  read_only
        .address_space:  global
        .offset:         32
        .size:           8
        .value_kind:     global_buffer
      - .actual_access:  read_only
        .address_space:  global
        .offset:         40
        .size:           8
        .value_kind:     global_buffer
      - .offset:         48
        .size:           8
        .value_kind:     by_value
      - .address_space:  global
        .offset:         56
        .size:           8
        .value_kind:     global_buffer
      - .offset:         64
        .size:           4
        .value_kind:     by_value
      - .offset:         68
        .size:           1
        .value_kind:     by_value
    .group_segment_fixed_size: 0
    .kernarg_segment_align: 8
    .kernarg_segment_size: 72
    .language:       OpenCL C
    .language_version:
      - 2
      - 0
    .max_flat_workgroup_size: 128
    .name:           _ZN9rocsparseL19gebsrmvn_4xn_kernelILj128ELj8ELj64E21rocsparse_complex_numIfEEEvi20rocsparse_direction_NS_24const_host_device_scalarIT2_EEPKiS8_PKS5_SA_S6_PS5_21rocsparse_index_base_b
    .private_segment_fixed_size: 0
    .sgpr_count:     16
    .sgpr_spill_count: 0
    .symbol:         _ZN9rocsparseL19gebsrmvn_4xn_kernelILj128ELj8ELj64E21rocsparse_complex_numIfEEEvi20rocsparse_direction_NS_24const_host_device_scalarIT2_EEPKiS8_PKS5_SA_S6_PS5_21rocsparse_index_base_b.kd
    .uniform_work_group_size: 1
    .uses_dynamic_stack: false
    .vgpr_count:     100
    .vgpr_spill_count: 0
    .wavefront_size: 32
    .workgroup_processor_mode: 1
  - .args:
      - .offset:         0
        .size:           4
        .value_kind:     by_value
      - .offset:         4
        .size:           4
        .value_kind:     by_value
      - .offset:         8
        .size:           8
        .value_kind:     by_value
      - .actual_access:  read_only
        .address_space:  global
        .offset:         16
        .size:           8
        .value_kind:     global_buffer
      - .actual_access:  read_only
        .address_space:  global
        .offset:         24
        .size:           8
        .value_kind:     global_buffer
      - .actual_access:  read_only
        .address_space:  global
        .offset:         32
        .size:           8
        .value_kind:     global_buffer
      - .offset:         40
        .size:           4
        .value_kind:     by_value
      - .offset:         44
        .size:           4
        .value_kind:     by_value
      - .actual_access:  read_only
        .address_space:  global
        .offset:         48
        .size:           8
        .value_kind:     global_buffer
      - .offset:         56
        .size:           8
        .value_kind:     by_value
      - .address_space:  global
        .offset:         64
        .size:           8
        .value_kind:     global_buffer
      - .offset:         72
        .size:           4
        .value_kind:     by_value
      - .offset:         76
        .size:           1
        .value_kind:     by_value
    .group_segment_fixed_size: 0
    .kernarg_segment_align: 8
    .kernarg_segment_size: 80
    .language:       OpenCL C
    .language_version:
      - 2
      - 0
    .max_flat_workgroup_size: 64
    .name:           _ZN9rocsparseL23gebsrmvn_general_kernelILj64ELj16E21rocsparse_complex_numIfEEEvi20rocsparse_direction_NS_24const_host_device_scalarIT1_EEPKiS8_PKS5_iiSA_S6_PS5_21rocsparse_index_base_b
    .private_segment_fixed_size: 0
    .sgpr_count:     30
    .sgpr_spill_count: 0
    .symbol:         _ZN9rocsparseL23gebsrmvn_general_kernelILj64ELj16E21rocsparse_complex_numIfEEEvi20rocsparse_direction_NS_24const_host_device_scalarIT1_EEPKiS8_PKS5_iiSA_S6_PS5_21rocsparse_index_base_b.kd
    .uniform_work_group_size: 1
    .uses_dynamic_stack: false
    .vgpr_count:     19
    .vgpr_spill_count: 0
    .wavefront_size: 32
    .workgroup_processor_mode: 1
  - .args:
      - .offset:         0
        .size:           4
        .value_kind:     by_value
      - .offset:         4
        .size:           4
        .value_kind:     by_value
      - .offset:         8
        .size:           8
        .value_kind:     by_value
      - .actual_access:  read_only
        .address_space:  global
        .offset:         16
        .size:           8
        .value_kind:     global_buffer
      - .actual_access:  read_only
        .address_space:  global
        .offset:         24
        .size:           8
        .value_kind:     global_buffer
      - .actual_access:  read_only
        .address_space:  global
        .offset:         32
        .size:           8
        .value_kind:     global_buffer
      - .offset:         40
        .size:           4
        .value_kind:     by_value
      - .offset:         44
        .size:           4
        .value_kind:     by_value
      - .actual_access:  read_only
        .address_space:  global
        .offset:         48
        .size:           8
        .value_kind:     global_buffer
      - .offset:         56
        .size:           8
        .value_kind:     by_value
      - .address_space:  global
        .offset:         64
        .size:           8
        .value_kind:     global_buffer
      - .offset:         72
        .size:           4
        .value_kind:     by_value
      - .offset:         76
        .size:           1
        .value_kind:     by_value
    .group_segment_fixed_size: 0
    .kernarg_segment_align: 8
    .kernarg_segment_size: 80
    .language:       OpenCL C
    .language_version:
      - 2
      - 0
    .max_flat_workgroup_size: 128
    .name:           _ZN9rocsparseL23gebsrmvn_general_kernelILj128ELj32E21rocsparse_complex_numIfEEEvi20rocsparse_direction_NS_24const_host_device_scalarIT1_EEPKiS8_PKS5_iiSA_S6_PS5_21rocsparse_index_base_b
    .private_segment_fixed_size: 0
    .sgpr_count:     30
    .sgpr_spill_count: 0
    .symbol:         _ZN9rocsparseL23gebsrmvn_general_kernelILj128ELj32E21rocsparse_complex_numIfEEEvi20rocsparse_direction_NS_24const_host_device_scalarIT1_EEPKiS8_PKS5_iiSA_S6_PS5_21rocsparse_index_base_b.kd
    .uniform_work_group_size: 1
    .uses_dynamic_stack: false
    .vgpr_count:     20
    .vgpr_spill_count: 0
    .wavefront_size: 32
    .workgroup_processor_mode: 1
  - .args:
      - .offset:         0
        .size:           4
        .value_kind:     by_value
      - .offset:         4
        .size:           4
        .value_kind:     by_value
      - .offset:         8
        .size:           16
        .value_kind:     by_value
      - .actual_access:  read_only
        .address_space:  global
        .offset:         24
        .size:           8
        .value_kind:     global_buffer
      - .actual_access:  read_only
        .address_space:  global
        .offset:         32
        .size:           8
        .value_kind:     global_buffer
      - .actual_access:  read_only
        .address_space:  global
        .offset:         40
        .size:           8
        .value_kind:     global_buffer
      - .actual_access:  read_only
        .address_space:  global
        .offset:         48
        .size:           8
        .value_kind:     global_buffer
      - .offset:         56
        .size:           16
        .value_kind:     by_value
      - .address_space:  global
        .offset:         72
        .size:           8
        .value_kind:     global_buffer
      - .offset:         80
        .size:           4
        .value_kind:     by_value
      - .offset:         84
        .size:           1
        .value_kind:     by_value
    .group_segment_fixed_size: 0
    .kernarg_segment_align: 8
    .kernarg_segment_size: 88
    .language:       OpenCL C
    .language_version:
      - 2
      - 0
    .max_flat_workgroup_size: 128
    .name:           _ZN9rocsparseL19gebsrmvn_4xn_kernelILj128ELj1ELj4E21rocsparse_complex_numIdEEEvi20rocsparse_direction_NS_24const_host_device_scalarIT2_EEPKiS8_PKS5_SA_S6_PS5_21rocsparse_index_base_b
    .private_segment_fixed_size: 0
    .sgpr_count:     16
    .sgpr_spill_count: 0
    .symbol:         _ZN9rocsparseL19gebsrmvn_4xn_kernelILj128ELj1ELj4E21rocsparse_complex_numIdEEEvi20rocsparse_direction_NS_24const_host_device_scalarIT2_EEPKiS8_PKS5_SA_S6_PS5_21rocsparse_index_base_b.kd
    .uniform_work_group_size: 1
    .uses_dynamic_stack: false
    .vgpr_count:     52
    .vgpr_spill_count: 0
    .wavefront_size: 32
    .workgroup_processor_mode: 1
  - .args:
      - .offset:         0
        .size:           4
        .value_kind:     by_value
      - .offset:         4
        .size:           4
        .value_kind:     by_value
      - .offset:         8
        .size:           16
        .value_kind:     by_value
      - .actual_access:  read_only
        .address_space:  global
        .offset:         24
        .size:           8
        .value_kind:     global_buffer
      - .actual_access:  read_only
        .address_space:  global
        .offset:         32
        .size:           8
        .value_kind:     global_buffer
      - .actual_access:  read_only
        .address_space:  global
        .offset:         40
        .size:           8
        .value_kind:     global_buffer
      - .actual_access:  read_only
        .address_space:  global
        .offset:         48
        .size:           8
        .value_kind:     global_buffer
      - .offset:         56
        .size:           16
        .value_kind:     by_value
      - .address_space:  global
        .offset:         72
        .size:           8
        .value_kind:     global_buffer
      - .offset:         80
        .size:           4
        .value_kind:     by_value
      - .offset:         84
        .size:           1
        .value_kind:     by_value
    .group_segment_fixed_size: 0
    .kernarg_segment_align: 8
    .kernarg_segment_size: 88
    .language:       OpenCL C
    .language_version:
      - 2
      - 0
    .max_flat_workgroup_size: 128
    .name:           _ZN9rocsparseL19gebsrmvn_4xn_kernelILj128ELj1ELj8E21rocsparse_complex_numIdEEEvi20rocsparse_direction_NS_24const_host_device_scalarIT2_EEPKiS8_PKS5_SA_S6_PS5_21rocsparse_index_base_b
    .private_segment_fixed_size: 0
    .sgpr_count:     16
    .sgpr_spill_count: 0
    .symbol:         _ZN9rocsparseL19gebsrmvn_4xn_kernelILj128ELj1ELj8E21rocsparse_complex_numIdEEEvi20rocsparse_direction_NS_24const_host_device_scalarIT2_EEPKiS8_PKS5_SA_S6_PS5_21rocsparse_index_base_b.kd
    .uniform_work_group_size: 1
    .uses_dynamic_stack: false
    .vgpr_count:     52
    .vgpr_spill_count: 0
    .wavefront_size: 32
    .workgroup_processor_mode: 1
  - .args:
      - .offset:         0
        .size:           4
        .value_kind:     by_value
      - .offset:         4
        .size:           4
        .value_kind:     by_value
      - .offset:         8
        .size:           16
        .value_kind:     by_value
      - .actual_access:  read_only
        .address_space:  global
        .offset:         24
        .size:           8
        .value_kind:     global_buffer
      - .actual_access:  read_only
        .address_space:  global
        .offset:         32
        .size:           8
        .value_kind:     global_buffer
      - .actual_access:  read_only
        .address_space:  global
        .offset:         40
        .size:           8
        .value_kind:     global_buffer
      - .actual_access:  read_only
        .address_space:  global
        .offset:         48
        .size:           8
        .value_kind:     global_buffer
      - .offset:         56
        .size:           16
        .value_kind:     by_value
      - .address_space:  global
        .offset:         72
        .size:           8
        .value_kind:     global_buffer
      - .offset:         80
        .size:           4
        .value_kind:     by_value
      - .offset:         84
        .size:           1
        .value_kind:     by_value
    .group_segment_fixed_size: 0
    .kernarg_segment_align: 8
    .kernarg_segment_size: 88
    .language:       OpenCL C
    .language_version:
      - 2
      - 0
    .max_flat_workgroup_size: 128
    .name:           _ZN9rocsparseL19gebsrmvn_4xn_kernelILj128ELj1ELj16E21rocsparse_complex_numIdEEEvi20rocsparse_direction_NS_24const_host_device_scalarIT2_EEPKiS8_PKS5_SA_S6_PS5_21rocsparse_index_base_b
    .private_segment_fixed_size: 0
    .sgpr_count:     16
    .sgpr_spill_count: 0
    .symbol:         _ZN9rocsparseL19gebsrmvn_4xn_kernelILj128ELj1ELj16E21rocsparse_complex_numIdEEEvi20rocsparse_direction_NS_24const_host_device_scalarIT2_EEPKiS8_PKS5_SA_S6_PS5_21rocsparse_index_base_b.kd
    .uniform_work_group_size: 1
    .uses_dynamic_stack: false
    .vgpr_count:     52
    .vgpr_spill_count: 0
    .wavefront_size: 32
    .workgroup_processor_mode: 1
  - .args:
      - .offset:         0
        .size:           4
        .value_kind:     by_value
      - .offset:         4
        .size:           4
        .value_kind:     by_value
      - .offset:         8
        .size:           16
        .value_kind:     by_value
      - .actual_access:  read_only
        .address_space:  global
        .offset:         24
        .size:           8
        .value_kind:     global_buffer
      - .actual_access:  read_only
        .address_space:  global
        .offset:         32
        .size:           8
        .value_kind:     global_buffer
      - .actual_access:  read_only
        .address_space:  global
        .offset:         40
        .size:           8
        .value_kind:     global_buffer
      - .actual_access:  read_only
        .address_space:  global
        .offset:         48
        .size:           8
        .value_kind:     global_buffer
      - .offset:         56
        .size:           16
        .value_kind:     by_value
      - .address_space:  global
        .offset:         72
        .size:           8
        .value_kind:     global_buffer
      - .offset:         80
        .size:           4
        .value_kind:     by_value
      - .offset:         84
        .size:           1
        .value_kind:     by_value
    .group_segment_fixed_size: 0
    .kernarg_segment_align: 8
    .kernarg_segment_size: 88
    .language:       OpenCL C
    .language_version:
      - 2
      - 0
    .max_flat_workgroup_size: 128
    .name:           _ZN9rocsparseL19gebsrmvn_4xn_kernelILj128ELj1ELj32E21rocsparse_complex_numIdEEEvi20rocsparse_direction_NS_24const_host_device_scalarIT2_EEPKiS8_PKS5_SA_S6_PS5_21rocsparse_index_base_b
    .private_segment_fixed_size: 0
    .sgpr_count:     16
    .sgpr_spill_count: 0
    .symbol:         _ZN9rocsparseL19gebsrmvn_4xn_kernelILj128ELj1ELj32E21rocsparse_complex_numIdEEEvi20rocsparse_direction_NS_24const_host_device_scalarIT2_EEPKiS8_PKS5_SA_S6_PS5_21rocsparse_index_base_b.kd
    .uniform_work_group_size: 1
    .uses_dynamic_stack: false
    .vgpr_count:     52
    .vgpr_spill_count: 0
    .wavefront_size: 32
    .workgroup_processor_mode: 1
  - .args:
      - .offset:         0
        .size:           4
        .value_kind:     by_value
      - .offset:         4
        .size:           4
        .value_kind:     by_value
      - .offset:         8
        .size:           16
        .value_kind:     by_value
      - .actual_access:  read_only
        .address_space:  global
        .offset:         24
        .size:           8
        .value_kind:     global_buffer
      - .actual_access:  read_only
        .address_space:  global
        .offset:         32
        .size:           8
        .value_kind:     global_buffer
      - .actual_access:  read_only
        .address_space:  global
        .offset:         40
        .size:           8
        .value_kind:     global_buffer
      - .actual_access:  read_only
        .address_space:  global
        .offset:         48
        .size:           8
        .value_kind:     global_buffer
      - .offset:         56
        .size:           16
        .value_kind:     by_value
      - .address_space:  global
        .offset:         72
        .size:           8
        .value_kind:     global_buffer
      - .offset:         80
        .size:           4
        .value_kind:     by_value
      - .offset:         84
        .size:           1
        .value_kind:     by_value
    .group_segment_fixed_size: 0
    .kernarg_segment_align: 8
    .kernarg_segment_size: 88
    .language:       OpenCL C
    .language_version:
      - 2
      - 0
    .max_flat_workgroup_size: 128
    .name:           _ZN9rocsparseL19gebsrmvn_4xn_kernelILj128ELj1ELj64E21rocsparse_complex_numIdEEEvi20rocsparse_direction_NS_24const_host_device_scalarIT2_EEPKiS8_PKS5_SA_S6_PS5_21rocsparse_index_base_b
    .private_segment_fixed_size: 0
    .sgpr_count:     16
    .sgpr_spill_count: 0
    .symbol:         _ZN9rocsparseL19gebsrmvn_4xn_kernelILj128ELj1ELj64E21rocsparse_complex_numIdEEEvi20rocsparse_direction_NS_24const_host_device_scalarIT2_EEPKiS8_PKS5_SA_S6_PS5_21rocsparse_index_base_b.kd
    .uniform_work_group_size: 1
    .uses_dynamic_stack: false
    .vgpr_count:     52
    .vgpr_spill_count: 0
    .wavefront_size: 32
    .workgroup_processor_mode: 1
  - .args:
      - .offset:         0
        .size:           4
        .value_kind:     by_value
      - .offset:         4
        .size:           4
        .value_kind:     by_value
      - .offset:         8
        .size:           16
        .value_kind:     by_value
      - .actual_access:  read_only
        .address_space:  global
        .offset:         24
        .size:           8
        .value_kind:     global_buffer
      - .actual_access:  read_only
        .address_space:  global
        .offset:         32
        .size:           8
        .value_kind:     global_buffer
      - .actual_access:  read_only
        .address_space:  global
        .offset:         40
        .size:           8
        .value_kind:     global_buffer
      - .actual_access:  read_only
        .address_space:  global
        .offset:         48
        .size:           8
        .value_kind:     global_buffer
      - .offset:         56
        .size:           16
        .value_kind:     by_value
      - .address_space:  global
        .offset:         72
        .size:           8
        .value_kind:     global_buffer
      - .offset:         80
        .size:           4
        .value_kind:     by_value
      - .offset:         84
        .size:           1
        .value_kind:     by_value
    .group_segment_fixed_size: 0
    .kernarg_segment_align: 8
    .kernarg_segment_size: 88
    .language:       OpenCL C
    .language_version:
      - 2
      - 0
    .max_flat_workgroup_size: 128
    .name:           _ZN9rocsparseL19gebsrmvn_4xn_kernelILj128ELj2ELj4E21rocsparse_complex_numIdEEEvi20rocsparse_direction_NS_24const_host_device_scalarIT2_EEPKiS8_PKS5_SA_S6_PS5_21rocsparse_index_base_b
    .private_segment_fixed_size: 0
    .sgpr_count:     16
    .sgpr_spill_count: 0
    .symbol:         _ZN9rocsparseL19gebsrmvn_4xn_kernelILj128ELj2ELj4E21rocsparse_complex_numIdEEEvi20rocsparse_direction_NS_24const_host_device_scalarIT2_EEPKiS8_PKS5_SA_S6_PS5_21rocsparse_index_base_b.kd
    .uniform_work_group_size: 1
    .uses_dynamic_stack: false
    .vgpr_count:     73
    .vgpr_spill_count: 0
    .wavefront_size: 32
    .workgroup_processor_mode: 1
  - .args:
      - .offset:         0
        .size:           4
        .value_kind:     by_value
      - .offset:         4
        .size:           4
        .value_kind:     by_value
      - .offset:         8
        .size:           16
        .value_kind:     by_value
      - .actual_access:  read_only
        .address_space:  global
        .offset:         24
        .size:           8
        .value_kind:     global_buffer
      - .actual_access:  read_only
        .address_space:  global
        .offset:         32
        .size:           8
        .value_kind:     global_buffer
      - .actual_access:  read_only
        .address_space:  global
        .offset:         40
        .size:           8
        .value_kind:     global_buffer
      - .actual_access:  read_only
        .address_space:  global
        .offset:         48
        .size:           8
        .value_kind:     global_buffer
      - .offset:         56
        .size:           16
        .value_kind:     by_value
      - .address_space:  global
        .offset:         72
        .size:           8
        .value_kind:     global_buffer
      - .offset:         80
        .size:           4
        .value_kind:     by_value
      - .offset:         84
        .size:           1
        .value_kind:     by_value
    .group_segment_fixed_size: 0
    .kernarg_segment_align: 8
    .kernarg_segment_size: 88
    .language:       OpenCL C
    .language_version:
      - 2
      - 0
    .max_flat_workgroup_size: 128
    .name:           _ZN9rocsparseL19gebsrmvn_4xn_kernelILj128ELj2ELj8E21rocsparse_complex_numIdEEEvi20rocsparse_direction_NS_24const_host_device_scalarIT2_EEPKiS8_PKS5_SA_S6_PS5_21rocsparse_index_base_b
    .private_segment_fixed_size: 0
    .sgpr_count:     16
    .sgpr_spill_count: 0
    .symbol:         _ZN9rocsparseL19gebsrmvn_4xn_kernelILj128ELj2ELj8E21rocsparse_complex_numIdEEEvi20rocsparse_direction_NS_24const_host_device_scalarIT2_EEPKiS8_PKS5_SA_S6_PS5_21rocsparse_index_base_b.kd
    .uniform_work_group_size: 1
    .uses_dynamic_stack: false
    .vgpr_count:     73
    .vgpr_spill_count: 0
    .wavefront_size: 32
    .workgroup_processor_mode: 1
  - .args:
      - .offset:         0
        .size:           4
        .value_kind:     by_value
      - .offset:         4
        .size:           4
        .value_kind:     by_value
      - .offset:         8
        .size:           16
        .value_kind:     by_value
      - .actual_access:  read_only
        .address_space:  global
        .offset:         24
        .size:           8
        .value_kind:     global_buffer
      - .actual_access:  read_only
        .address_space:  global
        .offset:         32
        .size:           8
        .value_kind:     global_buffer
      - .actual_access:  read_only
        .address_space:  global
        .offset:         40
        .size:           8
        .value_kind:     global_buffer
      - .actual_access:  read_only
        .address_space:  global
        .offset:         48
        .size:           8
        .value_kind:     global_buffer
      - .offset:         56
        .size:           16
        .value_kind:     by_value
      - .address_space:  global
        .offset:         72
        .size:           8
        .value_kind:     global_buffer
      - .offset:         80
        .size:           4
        .value_kind:     by_value
      - .offset:         84
        .size:           1
        .value_kind:     by_value
    .group_segment_fixed_size: 0
    .kernarg_segment_align: 8
    .kernarg_segment_size: 88
    .language:       OpenCL C
    .language_version:
      - 2
      - 0
    .max_flat_workgroup_size: 128
    .name:           _ZN9rocsparseL19gebsrmvn_4xn_kernelILj128ELj2ELj16E21rocsparse_complex_numIdEEEvi20rocsparse_direction_NS_24const_host_device_scalarIT2_EEPKiS8_PKS5_SA_S6_PS5_21rocsparse_index_base_b
    .private_segment_fixed_size: 0
    .sgpr_count:     16
    .sgpr_spill_count: 0
    .symbol:         _ZN9rocsparseL19gebsrmvn_4xn_kernelILj128ELj2ELj16E21rocsparse_complex_numIdEEEvi20rocsparse_direction_NS_24const_host_device_scalarIT2_EEPKiS8_PKS5_SA_S6_PS5_21rocsparse_index_base_b.kd
    .uniform_work_group_size: 1
    .uses_dynamic_stack: false
    .vgpr_count:     72
    .vgpr_spill_count: 0
    .wavefront_size: 32
    .workgroup_processor_mode: 1
  - .args:
      - .offset:         0
        .size:           4
        .value_kind:     by_value
      - .offset:         4
        .size:           4
        .value_kind:     by_value
      - .offset:         8
        .size:           16
        .value_kind:     by_value
      - .actual_access:  read_only
        .address_space:  global
        .offset:         24
        .size:           8
        .value_kind:     global_buffer
      - .actual_access:  read_only
        .address_space:  global
        .offset:         32
        .size:           8
        .value_kind:     global_buffer
      - .actual_access:  read_only
        .address_space:  global
        .offset:         40
        .size:           8
        .value_kind:     global_buffer
      - .actual_access:  read_only
        .address_space:  global
        .offset:         48
        .size:           8
        .value_kind:     global_buffer
      - .offset:         56
        .size:           16
        .value_kind:     by_value
      - .address_space:  global
        .offset:         72
        .size:           8
        .value_kind:     global_buffer
      - .offset:         80
        .size:           4
        .value_kind:     by_value
      - .offset:         84
        .size:           1
        .value_kind:     by_value
    .group_segment_fixed_size: 0
    .kernarg_segment_align: 8
    .kernarg_segment_size: 88
    .language:       OpenCL C
    .language_version:
      - 2
      - 0
    .max_flat_workgroup_size: 128
    .name:           _ZN9rocsparseL19gebsrmvn_4xn_kernelILj128ELj2ELj32E21rocsparse_complex_numIdEEEvi20rocsparse_direction_NS_24const_host_device_scalarIT2_EEPKiS8_PKS5_SA_S6_PS5_21rocsparse_index_base_b
    .private_segment_fixed_size: 0
    .sgpr_count:     16
    .sgpr_spill_count: 0
    .symbol:         _ZN9rocsparseL19gebsrmvn_4xn_kernelILj128ELj2ELj32E21rocsparse_complex_numIdEEEvi20rocsparse_direction_NS_24const_host_device_scalarIT2_EEPKiS8_PKS5_SA_S6_PS5_21rocsparse_index_base_b.kd
    .uniform_work_group_size: 1
    .uses_dynamic_stack: false
    .vgpr_count:     72
    .vgpr_spill_count: 0
    .wavefront_size: 32
    .workgroup_processor_mode: 1
  - .args:
      - .offset:         0
        .size:           4
        .value_kind:     by_value
      - .offset:         4
        .size:           4
        .value_kind:     by_value
      - .offset:         8
        .size:           16
        .value_kind:     by_value
      - .actual_access:  read_only
        .address_space:  global
        .offset:         24
        .size:           8
        .value_kind:     global_buffer
      - .actual_access:  read_only
        .address_space:  global
        .offset:         32
        .size:           8
        .value_kind:     global_buffer
      - .actual_access:  read_only
        .address_space:  global
        .offset:         40
        .size:           8
        .value_kind:     global_buffer
      - .actual_access:  read_only
        .address_space:  global
        .offset:         48
        .size:           8
        .value_kind:     global_buffer
      - .offset:         56
        .size:           16
        .value_kind:     by_value
      - .address_space:  global
        .offset:         72
        .size:           8
        .value_kind:     global_buffer
      - .offset:         80
        .size:           4
        .value_kind:     by_value
      - .offset:         84
        .size:           1
        .value_kind:     by_value
    .group_segment_fixed_size: 0
    .kernarg_segment_align: 8
    .kernarg_segment_size: 88
    .language:       OpenCL C
    .language_version:
      - 2
      - 0
    .max_flat_workgroup_size: 128
    .name:           _ZN9rocsparseL19gebsrmvn_4xn_kernelILj128ELj2ELj64E21rocsparse_complex_numIdEEEvi20rocsparse_direction_NS_24const_host_device_scalarIT2_EEPKiS8_PKS5_SA_S6_PS5_21rocsparse_index_base_b
    .private_segment_fixed_size: 0
    .sgpr_count:     16
    .sgpr_spill_count: 0
    .symbol:         _ZN9rocsparseL19gebsrmvn_4xn_kernelILj128ELj2ELj64E21rocsparse_complex_numIdEEEvi20rocsparse_direction_NS_24const_host_device_scalarIT2_EEPKiS8_PKS5_SA_S6_PS5_21rocsparse_index_base_b.kd
    .uniform_work_group_size: 1
    .uses_dynamic_stack: false
    .vgpr_count:     72
    .vgpr_spill_count: 0
    .wavefront_size: 32
    .workgroup_processor_mode: 1
  - .args:
      - .offset:         0
        .size:           4
        .value_kind:     by_value
      - .offset:         4
        .size:           4
        .value_kind:     by_value
      - .offset:         8
        .size:           16
        .value_kind:     by_value
      - .actual_access:  read_only
        .address_space:  global
        .offset:         24
        .size:           8
        .value_kind:     global_buffer
      - .actual_access:  read_only
        .address_space:  global
        .offset:         32
        .size:           8
        .value_kind:     global_buffer
      - .actual_access:  read_only
        .address_space:  global
        .offset:         40
        .size:           8
        .value_kind:     global_buffer
      - .actual_access:  read_only
        .address_space:  global
        .offset:         48
        .size:           8
        .value_kind:     global_buffer
      - .offset:         56
        .size:           16
        .value_kind:     by_value
      - .address_space:  global
        .offset:         72
        .size:           8
        .value_kind:     global_buffer
      - .offset:         80
        .size:           4
        .value_kind:     by_value
      - .offset:         84
        .size:           1
        .value_kind:     by_value
    .group_segment_fixed_size: 0
    .kernarg_segment_align: 8
    .kernarg_segment_size: 88
    .language:       OpenCL C
    .language_version:
      - 2
      - 0
    .max_flat_workgroup_size: 128
    .name:           _ZN9rocsparseL19gebsrmvn_4xn_kernelILj128ELj3ELj4E21rocsparse_complex_numIdEEEvi20rocsparse_direction_NS_24const_host_device_scalarIT2_EEPKiS8_PKS5_SA_S6_PS5_21rocsparse_index_base_b
    .private_segment_fixed_size: 0
    .sgpr_count:     16
    .sgpr_spill_count: 0
    .symbol:         _ZN9rocsparseL19gebsrmvn_4xn_kernelILj128ELj3ELj4E21rocsparse_complex_numIdEEEvi20rocsparse_direction_NS_24const_host_device_scalarIT2_EEPKiS8_PKS5_SA_S6_PS5_21rocsparse_index_base_b.kd
    .uniform_work_group_size: 1
    .uses_dynamic_stack: false
    .vgpr_count:     93
    .vgpr_spill_count: 0
    .wavefront_size: 32
    .workgroup_processor_mode: 1
  - .args:
      - .offset:         0
        .size:           4
        .value_kind:     by_value
      - .offset:         4
        .size:           4
        .value_kind:     by_value
      - .offset:         8
        .size:           16
        .value_kind:     by_value
      - .actual_access:  read_only
        .address_space:  global
        .offset:         24
        .size:           8
        .value_kind:     global_buffer
      - .actual_access:  read_only
        .address_space:  global
        .offset:         32
        .size:           8
        .value_kind:     global_buffer
      - .actual_access:  read_only
        .address_space:  global
        .offset:         40
        .size:           8
        .value_kind:     global_buffer
      - .actual_access:  read_only
        .address_space:  global
        .offset:         48
        .size:           8
        .value_kind:     global_buffer
      - .offset:         56
        .size:           16
        .value_kind:     by_value
      - .address_space:  global
        .offset:         72
        .size:           8
        .value_kind:     global_buffer
      - .offset:         80
        .size:           4
        .value_kind:     by_value
      - .offset:         84
        .size:           1
        .value_kind:     by_value
    .group_segment_fixed_size: 0
    .kernarg_segment_align: 8
    .kernarg_segment_size: 88
    .language:       OpenCL C
    .language_version:
      - 2
      - 0
    .max_flat_workgroup_size: 128
    .name:           _ZN9rocsparseL19gebsrmvn_4xn_kernelILj128ELj3ELj8E21rocsparse_complex_numIdEEEvi20rocsparse_direction_NS_24const_host_device_scalarIT2_EEPKiS8_PKS5_SA_S6_PS5_21rocsparse_index_base_b
    .private_segment_fixed_size: 0
    .sgpr_count:     16
    .sgpr_spill_count: 0
    .symbol:         _ZN9rocsparseL19gebsrmvn_4xn_kernelILj128ELj3ELj8E21rocsparse_complex_numIdEEEvi20rocsparse_direction_NS_24const_host_device_scalarIT2_EEPKiS8_PKS5_SA_S6_PS5_21rocsparse_index_base_b.kd
    .uniform_work_group_size: 1
    .uses_dynamic_stack: false
    .vgpr_count:     93
    .vgpr_spill_count: 0
    .wavefront_size: 32
    .workgroup_processor_mode: 1
  - .args:
      - .offset:         0
        .size:           4
        .value_kind:     by_value
      - .offset:         4
        .size:           4
        .value_kind:     by_value
      - .offset:         8
        .size:           16
        .value_kind:     by_value
      - .actual_access:  read_only
        .address_space:  global
        .offset:         24
        .size:           8
        .value_kind:     global_buffer
      - .actual_access:  read_only
        .address_space:  global
        .offset:         32
        .size:           8
        .value_kind:     global_buffer
      - .actual_access:  read_only
        .address_space:  global
        .offset:         40
        .size:           8
        .value_kind:     global_buffer
      - .actual_access:  read_only
        .address_space:  global
        .offset:         48
        .size:           8
        .value_kind:     global_buffer
      - .offset:         56
        .size:           16
        .value_kind:     by_value
      - .address_space:  global
        .offset:         72
        .size:           8
        .value_kind:     global_buffer
      - .offset:         80
        .size:           4
        .value_kind:     by_value
      - .offset:         84
        .size:           1
        .value_kind:     by_value
    .group_segment_fixed_size: 0
    .kernarg_segment_align: 8
    .kernarg_segment_size: 88
    .language:       OpenCL C
    .language_version:
      - 2
      - 0
    .max_flat_workgroup_size: 128
    .name:           _ZN9rocsparseL19gebsrmvn_4xn_kernelILj128ELj3ELj16E21rocsparse_complex_numIdEEEvi20rocsparse_direction_NS_24const_host_device_scalarIT2_EEPKiS8_PKS5_SA_S6_PS5_21rocsparse_index_base_b
    .private_segment_fixed_size: 0
    .sgpr_count:     16
    .sgpr_spill_count: 0
    .symbol:         _ZN9rocsparseL19gebsrmvn_4xn_kernelILj128ELj3ELj16E21rocsparse_complex_numIdEEEvi20rocsparse_direction_NS_24const_host_device_scalarIT2_EEPKiS8_PKS5_SA_S6_PS5_21rocsparse_index_base_b.kd
    .uniform_work_group_size: 1
    .uses_dynamic_stack: false
    .vgpr_count:     92
    .vgpr_spill_count: 0
    .wavefront_size: 32
    .workgroup_processor_mode: 1
  - .args:
      - .offset:         0
        .size:           4
        .value_kind:     by_value
      - .offset:         4
        .size:           4
        .value_kind:     by_value
      - .offset:         8
        .size:           16
        .value_kind:     by_value
      - .actual_access:  read_only
        .address_space:  global
        .offset:         24
        .size:           8
        .value_kind:     global_buffer
      - .actual_access:  read_only
        .address_space:  global
        .offset:         32
        .size:           8
        .value_kind:     global_buffer
      - .actual_access:  read_only
        .address_space:  global
        .offset:         40
        .size:           8
        .value_kind:     global_buffer
      - .actual_access:  read_only
        .address_space:  global
        .offset:         48
        .size:           8
        .value_kind:     global_buffer
      - .offset:         56
        .size:           16
        .value_kind:     by_value
      - .address_space:  global
        .offset:         72
        .size:           8
        .value_kind:     global_buffer
      - .offset:         80
        .size:           4
        .value_kind:     by_value
      - .offset:         84
        .size:           1
        .value_kind:     by_value
    .group_segment_fixed_size: 0
    .kernarg_segment_align: 8
    .kernarg_segment_size: 88
    .language:       OpenCL C
    .language_version:
      - 2
      - 0
    .max_flat_workgroup_size: 128
    .name:           _ZN9rocsparseL19gebsrmvn_4xn_kernelILj128ELj3ELj32E21rocsparse_complex_numIdEEEvi20rocsparse_direction_NS_24const_host_device_scalarIT2_EEPKiS8_PKS5_SA_S6_PS5_21rocsparse_index_base_b
    .private_segment_fixed_size: 0
    .sgpr_count:     16
    .sgpr_spill_count: 0
    .symbol:         _ZN9rocsparseL19gebsrmvn_4xn_kernelILj128ELj3ELj32E21rocsparse_complex_numIdEEEvi20rocsparse_direction_NS_24const_host_device_scalarIT2_EEPKiS8_PKS5_SA_S6_PS5_21rocsparse_index_base_b.kd
    .uniform_work_group_size: 1
    .uses_dynamic_stack: false
    .vgpr_count:     92
    .vgpr_spill_count: 0
    .wavefront_size: 32
    .workgroup_processor_mode: 1
  - .args:
      - .offset:         0
        .size:           4
        .value_kind:     by_value
      - .offset:         4
        .size:           4
        .value_kind:     by_value
      - .offset:         8
        .size:           16
        .value_kind:     by_value
      - .actual_access:  read_only
        .address_space:  global
        .offset:         24
        .size:           8
        .value_kind:     global_buffer
      - .actual_access:  read_only
        .address_space:  global
        .offset:         32
        .size:           8
        .value_kind:     global_buffer
      - .actual_access:  read_only
        .address_space:  global
        .offset:         40
        .size:           8
        .value_kind:     global_buffer
      - .actual_access:  read_only
        .address_space:  global
        .offset:         48
        .size:           8
        .value_kind:     global_buffer
      - .offset:         56
        .size:           16
        .value_kind:     by_value
      - .address_space:  global
        .offset:         72
        .size:           8
        .value_kind:     global_buffer
      - .offset:         80
        .size:           4
        .value_kind:     by_value
      - .offset:         84
        .size:           1
        .value_kind:     by_value
    .group_segment_fixed_size: 0
    .kernarg_segment_align: 8
    .kernarg_segment_size: 88
    .language:       OpenCL C
    .language_version:
      - 2
      - 0
    .max_flat_workgroup_size: 128
    .name:           _ZN9rocsparseL19gebsrmvn_4xn_kernelILj128ELj3ELj64E21rocsparse_complex_numIdEEEvi20rocsparse_direction_NS_24const_host_device_scalarIT2_EEPKiS8_PKS5_SA_S6_PS5_21rocsparse_index_base_b
    .private_segment_fixed_size: 0
    .sgpr_count:     16
    .sgpr_spill_count: 0
    .symbol:         _ZN9rocsparseL19gebsrmvn_4xn_kernelILj128ELj3ELj64E21rocsparse_complex_numIdEEEvi20rocsparse_direction_NS_24const_host_device_scalarIT2_EEPKiS8_PKS5_SA_S6_PS5_21rocsparse_index_base_b.kd
    .uniform_work_group_size: 1
    .uses_dynamic_stack: false
    .vgpr_count:     92
    .vgpr_spill_count: 0
    .wavefront_size: 32
    .workgroup_processor_mode: 1
  - .args:
      - .offset:         0
        .size:           4
        .value_kind:     by_value
      - .offset:         4
        .size:           4
        .value_kind:     by_value
      - .offset:         8
        .size:           16
        .value_kind:     by_value
      - .actual_access:  read_only
        .address_space:  global
        .offset:         24
        .size:           8
        .value_kind:     global_buffer
      - .actual_access:  read_only
        .address_space:  global
        .offset:         32
        .size:           8
        .value_kind:     global_buffer
      - .actual_access:  read_only
        .address_space:  global
        .offset:         40
        .size:           8
        .value_kind:     global_buffer
      - .actual_access:  read_only
        .address_space:  global
        .offset:         48
        .size:           8
        .value_kind:     global_buffer
      - .offset:         56
        .size:           16
        .value_kind:     by_value
      - .address_space:  global
        .offset:         72
        .size:           8
        .value_kind:     global_buffer
      - .offset:         80
        .size:           4
        .value_kind:     by_value
      - .offset:         84
        .size:           1
        .value_kind:     by_value
    .group_segment_fixed_size: 0
    .kernarg_segment_align: 8
    .kernarg_segment_size: 88
    .language:       OpenCL C
    .language_version:
      - 2
      - 0
    .max_flat_workgroup_size: 128
    .name:           _ZN9rocsparseL19gebsrmvn_4xn_kernelILj128ELj5ELj4E21rocsparse_complex_numIdEEEvi20rocsparse_direction_NS_24const_host_device_scalarIT2_EEPKiS8_PKS5_SA_S6_PS5_21rocsparse_index_base_b
    .private_segment_fixed_size: 0
    .sgpr_count:     16
    .sgpr_spill_count: 0
    .symbol:         _ZN9rocsparseL19gebsrmvn_4xn_kernelILj128ELj5ELj4E21rocsparse_complex_numIdEEEvi20rocsparse_direction_NS_24const_host_device_scalarIT2_EEPKiS8_PKS5_SA_S6_PS5_21rocsparse_index_base_b.kd
    .uniform_work_group_size: 1
    .uses_dynamic_stack: false
    .vgpr_count:     134
    .vgpr_spill_count: 0
    .wavefront_size: 32
    .workgroup_processor_mode: 1
  - .args:
      - .offset:         0
        .size:           4
        .value_kind:     by_value
      - .offset:         4
        .size:           4
        .value_kind:     by_value
      - .offset:         8
        .size:           16
        .value_kind:     by_value
      - .actual_access:  read_only
        .address_space:  global
        .offset:         24
        .size:           8
        .value_kind:     global_buffer
      - .actual_access:  read_only
        .address_space:  global
        .offset:         32
        .size:           8
        .value_kind:     global_buffer
      - .actual_access:  read_only
        .address_space:  global
        .offset:         40
        .size:           8
        .value_kind:     global_buffer
      - .actual_access:  read_only
        .address_space:  global
        .offset:         48
        .size:           8
        .value_kind:     global_buffer
      - .offset:         56
        .size:           16
        .value_kind:     by_value
      - .address_space:  global
        .offset:         72
        .size:           8
        .value_kind:     global_buffer
      - .offset:         80
        .size:           4
        .value_kind:     by_value
      - .offset:         84
        .size:           1
        .value_kind:     by_value
    .group_segment_fixed_size: 0
    .kernarg_segment_align: 8
    .kernarg_segment_size: 88
    .language:       OpenCL C
    .language_version:
      - 2
      - 0
    .max_flat_workgroup_size: 128
    .name:           _ZN9rocsparseL19gebsrmvn_4xn_kernelILj128ELj5ELj8E21rocsparse_complex_numIdEEEvi20rocsparse_direction_NS_24const_host_device_scalarIT2_EEPKiS8_PKS5_SA_S6_PS5_21rocsparse_index_base_b
    .private_segment_fixed_size: 0
    .sgpr_count:     16
    .sgpr_spill_count: 0
    .symbol:         _ZN9rocsparseL19gebsrmvn_4xn_kernelILj128ELj5ELj8E21rocsparse_complex_numIdEEEvi20rocsparse_direction_NS_24const_host_device_scalarIT2_EEPKiS8_PKS5_SA_S6_PS5_21rocsparse_index_base_b.kd
    .uniform_work_group_size: 1
    .uses_dynamic_stack: false
    .vgpr_count:     134
    .vgpr_spill_count: 0
    .wavefront_size: 32
    .workgroup_processor_mode: 1
  - .args:
      - .offset:         0
        .size:           4
        .value_kind:     by_value
      - .offset:         4
        .size:           4
        .value_kind:     by_value
      - .offset:         8
        .size:           16
        .value_kind:     by_value
      - .actual_access:  read_only
        .address_space:  global
        .offset:         24
        .size:           8
        .value_kind:     global_buffer
      - .actual_access:  read_only
        .address_space:  global
        .offset:         32
        .size:           8
        .value_kind:     global_buffer
      - .actual_access:  read_only
        .address_space:  global
        .offset:         40
        .size:           8
        .value_kind:     global_buffer
      - .actual_access:  read_only
        .address_space:  global
        .offset:         48
        .size:           8
        .value_kind:     global_buffer
      - .offset:         56
        .size:           16
        .value_kind:     by_value
      - .address_space:  global
        .offset:         72
        .size:           8
        .value_kind:     global_buffer
      - .offset:         80
        .size:           4
        .value_kind:     by_value
      - .offset:         84
        .size:           1
        .value_kind:     by_value
    .group_segment_fixed_size: 0
    .kernarg_segment_align: 8
    .kernarg_segment_size: 88
    .language:       OpenCL C
    .language_version:
      - 2
      - 0
    .max_flat_workgroup_size: 128
    .name:           _ZN9rocsparseL19gebsrmvn_4xn_kernelILj128ELj5ELj16E21rocsparse_complex_numIdEEEvi20rocsparse_direction_NS_24const_host_device_scalarIT2_EEPKiS8_PKS5_SA_S6_PS5_21rocsparse_index_base_b
    .private_segment_fixed_size: 0
    .sgpr_count:     16
    .sgpr_spill_count: 0
    .symbol:         _ZN9rocsparseL19gebsrmvn_4xn_kernelILj128ELj5ELj16E21rocsparse_complex_numIdEEEvi20rocsparse_direction_NS_24const_host_device_scalarIT2_EEPKiS8_PKS5_SA_S6_PS5_21rocsparse_index_base_b.kd
    .uniform_work_group_size: 1
    .uses_dynamic_stack: false
    .vgpr_count:     134
    .vgpr_spill_count: 0
    .wavefront_size: 32
    .workgroup_processor_mode: 1
  - .args:
      - .offset:         0
        .size:           4
        .value_kind:     by_value
      - .offset:         4
        .size:           4
        .value_kind:     by_value
      - .offset:         8
        .size:           16
        .value_kind:     by_value
      - .actual_access:  read_only
        .address_space:  global
        .offset:         24
        .size:           8
        .value_kind:     global_buffer
      - .actual_access:  read_only
        .address_space:  global
        .offset:         32
        .size:           8
        .value_kind:     global_buffer
      - .actual_access:  read_only
        .address_space:  global
        .offset:         40
        .size:           8
        .value_kind:     global_buffer
      - .actual_access:  read_only
        .address_space:  global
        .offset:         48
        .size:           8
        .value_kind:     global_buffer
      - .offset:         56
        .size:           16
        .value_kind:     by_value
      - .address_space:  global
        .offset:         72
        .size:           8
        .value_kind:     global_buffer
      - .offset:         80
        .size:           4
        .value_kind:     by_value
      - .offset:         84
        .size:           1
        .value_kind:     by_value
    .group_segment_fixed_size: 0
    .kernarg_segment_align: 8
    .kernarg_segment_size: 88
    .language:       OpenCL C
    .language_version:
      - 2
      - 0
    .max_flat_workgroup_size: 128
    .name:           _ZN9rocsparseL19gebsrmvn_4xn_kernelILj128ELj5ELj32E21rocsparse_complex_numIdEEEvi20rocsparse_direction_NS_24const_host_device_scalarIT2_EEPKiS8_PKS5_SA_S6_PS5_21rocsparse_index_base_b
    .private_segment_fixed_size: 0
    .sgpr_count:     16
    .sgpr_spill_count: 0
    .symbol:         _ZN9rocsparseL19gebsrmvn_4xn_kernelILj128ELj5ELj32E21rocsparse_complex_numIdEEEvi20rocsparse_direction_NS_24const_host_device_scalarIT2_EEPKiS8_PKS5_SA_S6_PS5_21rocsparse_index_base_b.kd
    .uniform_work_group_size: 1
    .uses_dynamic_stack: false
    .vgpr_count:     134
    .vgpr_spill_count: 0
    .wavefront_size: 32
    .workgroup_processor_mode: 1
  - .args:
      - .offset:         0
        .size:           4
        .value_kind:     by_value
      - .offset:         4
        .size:           4
        .value_kind:     by_value
      - .offset:         8
        .size:           16
        .value_kind:     by_value
      - .actual_access:  read_only
        .address_space:  global
        .offset:         24
        .size:           8
        .value_kind:     global_buffer
      - .actual_access:  read_only
        .address_space:  global
        .offset:         32
        .size:           8
        .value_kind:     global_buffer
      - .actual_access:  read_only
        .address_space:  global
        .offset:         40
        .size:           8
        .value_kind:     global_buffer
      - .actual_access:  read_only
        .address_space:  global
        .offset:         48
        .size:           8
        .value_kind:     global_buffer
      - .offset:         56
        .size:           16
        .value_kind:     by_value
      - .address_space:  global
        .offset:         72
        .size:           8
        .value_kind:     global_buffer
      - .offset:         80
        .size:           4
        .value_kind:     by_value
      - .offset:         84
        .size:           1
        .value_kind:     by_value
    .group_segment_fixed_size: 0
    .kernarg_segment_align: 8
    .kernarg_segment_size: 88
    .language:       OpenCL C
    .language_version:
      - 2
      - 0
    .max_flat_workgroup_size: 128
    .name:           _ZN9rocsparseL19gebsrmvn_4xn_kernelILj128ELj5ELj64E21rocsparse_complex_numIdEEEvi20rocsparse_direction_NS_24const_host_device_scalarIT2_EEPKiS8_PKS5_SA_S6_PS5_21rocsparse_index_base_b
    .private_segment_fixed_size: 0
    .sgpr_count:     16
    .sgpr_spill_count: 0
    .symbol:         _ZN9rocsparseL19gebsrmvn_4xn_kernelILj128ELj5ELj64E21rocsparse_complex_numIdEEEvi20rocsparse_direction_NS_24const_host_device_scalarIT2_EEPKiS8_PKS5_SA_S6_PS5_21rocsparse_index_base_b.kd
    .uniform_work_group_size: 1
    .uses_dynamic_stack: false
    .vgpr_count:     133
    .vgpr_spill_count: 0
    .wavefront_size: 32
    .workgroup_processor_mode: 1
  - .args:
      - .offset:         0
        .size:           4
        .value_kind:     by_value
      - .offset:         4
        .size:           4
        .value_kind:     by_value
      - .offset:         8
        .size:           16
        .value_kind:     by_value
      - .actual_access:  read_only
        .address_space:  global
        .offset:         24
        .size:           8
        .value_kind:     global_buffer
      - .actual_access:  read_only
        .address_space:  global
        .offset:         32
        .size:           8
        .value_kind:     global_buffer
      - .actual_access:  read_only
        .address_space:  global
        .offset:         40
        .size:           8
        .value_kind:     global_buffer
      - .actual_access:  read_only
        .address_space:  global
        .offset:         48
        .size:           8
        .value_kind:     global_buffer
      - .offset:         56
        .size:           16
        .value_kind:     by_value
      - .address_space:  global
        .offset:         72
        .size:           8
        .value_kind:     global_buffer
      - .offset:         80
        .size:           4
        .value_kind:     by_value
      - .offset:         84
        .size:           1
        .value_kind:     by_value
    .group_segment_fixed_size: 0
    .kernarg_segment_align: 8
    .kernarg_segment_size: 88
    .language:       OpenCL C
    .language_version:
      - 2
      - 0
    .max_flat_workgroup_size: 128
    .name:           _ZN9rocsparseL19gebsrmvn_4xn_kernelILj128ELj6ELj4E21rocsparse_complex_numIdEEEvi20rocsparse_direction_NS_24const_host_device_scalarIT2_EEPKiS8_PKS5_SA_S6_PS5_21rocsparse_index_base_b
    .private_segment_fixed_size: 0
    .sgpr_count:     16
    .sgpr_spill_count: 0
    .symbol:         _ZN9rocsparseL19gebsrmvn_4xn_kernelILj128ELj6ELj4E21rocsparse_complex_numIdEEEvi20rocsparse_direction_NS_24const_host_device_scalarIT2_EEPKiS8_PKS5_SA_S6_PS5_21rocsparse_index_base_b.kd
    .uniform_work_group_size: 1
    .uses_dynamic_stack: false
    .vgpr_count:     74
    .vgpr_spill_count: 0
    .wavefront_size: 32
    .workgroup_processor_mode: 1
  - .args:
      - .offset:         0
        .size:           4
        .value_kind:     by_value
      - .offset:         4
        .size:           4
        .value_kind:     by_value
      - .offset:         8
        .size:           16
        .value_kind:     by_value
      - .actual_access:  read_only
        .address_space:  global
        .offset:         24
        .size:           8
        .value_kind:     global_buffer
      - .actual_access:  read_only
        .address_space:  global
        .offset:         32
        .size:           8
        .value_kind:     global_buffer
      - .actual_access:  read_only
        .address_space:  global
        .offset:         40
        .size:           8
        .value_kind:     global_buffer
      - .actual_access:  read_only
        .address_space:  global
        .offset:         48
        .size:           8
        .value_kind:     global_buffer
      - .offset:         56
        .size:           16
        .value_kind:     by_value
      - .address_space:  global
        .offset:         72
        .size:           8
        .value_kind:     global_buffer
      - .offset:         80
        .size:           4
        .value_kind:     by_value
      - .offset:         84
        .size:           1
        .value_kind:     by_value
    .group_segment_fixed_size: 0
    .kernarg_segment_align: 8
    .kernarg_segment_size: 88
    .language:       OpenCL C
    .language_version:
      - 2
      - 0
    .max_flat_workgroup_size: 128
    .name:           _ZN9rocsparseL19gebsrmvn_4xn_kernelILj128ELj6ELj8E21rocsparse_complex_numIdEEEvi20rocsparse_direction_NS_24const_host_device_scalarIT2_EEPKiS8_PKS5_SA_S6_PS5_21rocsparse_index_base_b
    .private_segment_fixed_size: 0
    .sgpr_count:     16
    .sgpr_spill_count: 0
    .symbol:         _ZN9rocsparseL19gebsrmvn_4xn_kernelILj128ELj6ELj8E21rocsparse_complex_numIdEEEvi20rocsparse_direction_NS_24const_host_device_scalarIT2_EEPKiS8_PKS5_SA_S6_PS5_21rocsparse_index_base_b.kd
    .uniform_work_group_size: 1
    .uses_dynamic_stack: false
    .vgpr_count:     74
    .vgpr_spill_count: 0
    .wavefront_size: 32
    .workgroup_processor_mode: 1
  - .args:
      - .offset:         0
        .size:           4
        .value_kind:     by_value
      - .offset:         4
        .size:           4
        .value_kind:     by_value
      - .offset:         8
        .size:           16
        .value_kind:     by_value
      - .actual_access:  read_only
        .address_space:  global
        .offset:         24
        .size:           8
        .value_kind:     global_buffer
      - .actual_access:  read_only
        .address_space:  global
        .offset:         32
        .size:           8
        .value_kind:     global_buffer
      - .actual_access:  read_only
        .address_space:  global
        .offset:         40
        .size:           8
        .value_kind:     global_buffer
      - .actual_access:  read_only
        .address_space:  global
        .offset:         48
        .size:           8
        .value_kind:     global_buffer
      - .offset:         56
        .size:           16
        .value_kind:     by_value
      - .address_space:  global
        .offset:         72
        .size:           8
        .value_kind:     global_buffer
      - .offset:         80
        .size:           4
        .value_kind:     by_value
      - .offset:         84
        .size:           1
        .value_kind:     by_value
    .group_segment_fixed_size: 0
    .kernarg_segment_align: 8
    .kernarg_segment_size: 88
    .language:       OpenCL C
    .language_version:
      - 2
      - 0
    .max_flat_workgroup_size: 128
    .name:           _ZN9rocsparseL19gebsrmvn_4xn_kernelILj128ELj6ELj16E21rocsparse_complex_numIdEEEvi20rocsparse_direction_NS_24const_host_device_scalarIT2_EEPKiS8_PKS5_SA_S6_PS5_21rocsparse_index_base_b
    .private_segment_fixed_size: 0
    .sgpr_count:     16
    .sgpr_spill_count: 0
    .symbol:         _ZN9rocsparseL19gebsrmvn_4xn_kernelILj128ELj6ELj16E21rocsparse_complex_numIdEEEvi20rocsparse_direction_NS_24const_host_device_scalarIT2_EEPKiS8_PKS5_SA_S6_PS5_21rocsparse_index_base_b.kd
    .uniform_work_group_size: 1
    .uses_dynamic_stack: false
    .vgpr_count:     74
    .vgpr_spill_count: 0
    .wavefront_size: 32
    .workgroup_processor_mode: 1
  - .args:
      - .offset:         0
        .size:           4
        .value_kind:     by_value
      - .offset:         4
        .size:           4
        .value_kind:     by_value
      - .offset:         8
        .size:           16
        .value_kind:     by_value
      - .actual_access:  read_only
        .address_space:  global
        .offset:         24
        .size:           8
        .value_kind:     global_buffer
      - .actual_access:  read_only
        .address_space:  global
        .offset:         32
        .size:           8
        .value_kind:     global_buffer
      - .actual_access:  read_only
        .address_space:  global
        .offset:         40
        .size:           8
        .value_kind:     global_buffer
      - .actual_access:  read_only
        .address_space:  global
        .offset:         48
        .size:           8
        .value_kind:     global_buffer
      - .offset:         56
        .size:           16
        .value_kind:     by_value
      - .address_space:  global
        .offset:         72
        .size:           8
        .value_kind:     global_buffer
      - .offset:         80
        .size:           4
        .value_kind:     by_value
      - .offset:         84
        .size:           1
        .value_kind:     by_value
    .group_segment_fixed_size: 0
    .kernarg_segment_align: 8
    .kernarg_segment_size: 88
    .language:       OpenCL C
    .language_version:
      - 2
      - 0
    .max_flat_workgroup_size: 128
    .name:           _ZN9rocsparseL19gebsrmvn_4xn_kernelILj128ELj6ELj32E21rocsparse_complex_numIdEEEvi20rocsparse_direction_NS_24const_host_device_scalarIT2_EEPKiS8_PKS5_SA_S6_PS5_21rocsparse_index_base_b
    .private_segment_fixed_size: 0
    .sgpr_count:     16
    .sgpr_spill_count: 0
    .symbol:         _ZN9rocsparseL19gebsrmvn_4xn_kernelILj128ELj6ELj32E21rocsparse_complex_numIdEEEvi20rocsparse_direction_NS_24const_host_device_scalarIT2_EEPKiS8_PKS5_SA_S6_PS5_21rocsparse_index_base_b.kd
    .uniform_work_group_size: 1
    .uses_dynamic_stack: false
    .vgpr_count:     74
    .vgpr_spill_count: 0
    .wavefront_size: 32
    .workgroup_processor_mode: 1
  - .args:
      - .offset:         0
        .size:           4
        .value_kind:     by_value
      - .offset:         4
        .size:           4
        .value_kind:     by_value
      - .offset:         8
        .size:           16
        .value_kind:     by_value
      - .actual_access:  read_only
        .address_space:  global
        .offset:         24
        .size:           8
        .value_kind:     global_buffer
      - .actual_access:  read_only
        .address_space:  global
        .offset:         32
        .size:           8
        .value_kind:     global_buffer
      - .actual_access:  read_only
        .address_space:  global
        .offset:         40
        .size:           8
        .value_kind:     global_buffer
      - .actual_access:  read_only
        .address_space:  global
        .offset:         48
        .size:           8
        .value_kind:     global_buffer
      - .offset:         56
        .size:           16
        .value_kind:     by_value
      - .address_space:  global
        .offset:         72
        .size:           8
        .value_kind:     global_buffer
      - .offset:         80
        .size:           4
        .value_kind:     by_value
      - .offset:         84
        .size:           1
        .value_kind:     by_value
    .group_segment_fixed_size: 0
    .kernarg_segment_align: 8
    .kernarg_segment_size: 88
    .language:       OpenCL C
    .language_version:
      - 2
      - 0
    .max_flat_workgroup_size: 128
    .name:           _ZN9rocsparseL19gebsrmvn_4xn_kernelILj128ELj6ELj64E21rocsparse_complex_numIdEEEvi20rocsparse_direction_NS_24const_host_device_scalarIT2_EEPKiS8_PKS5_SA_S6_PS5_21rocsparse_index_base_b
    .private_segment_fixed_size: 0
    .sgpr_count:     16
    .sgpr_spill_count: 0
    .symbol:         _ZN9rocsparseL19gebsrmvn_4xn_kernelILj128ELj6ELj64E21rocsparse_complex_numIdEEEvi20rocsparse_direction_NS_24const_host_device_scalarIT2_EEPKiS8_PKS5_SA_S6_PS5_21rocsparse_index_base_b.kd
    .uniform_work_group_size: 1
    .uses_dynamic_stack: false
    .vgpr_count:     74
    .vgpr_spill_count: 0
    .wavefront_size: 32
    .workgroup_processor_mode: 1
  - .args:
      - .offset:         0
        .size:           4
        .value_kind:     by_value
      - .offset:         4
        .size:           4
        .value_kind:     by_value
      - .offset:         8
        .size:           16
        .value_kind:     by_value
      - .actual_access:  read_only
        .address_space:  global
        .offset:         24
        .size:           8
        .value_kind:     global_buffer
      - .actual_access:  read_only
        .address_space:  global
        .offset:         32
        .size:           8
        .value_kind:     global_buffer
      - .actual_access:  read_only
        .address_space:  global
        .offset:         40
        .size:           8
        .value_kind:     global_buffer
      - .actual_access:  read_only
        .address_space:  global
        .offset:         48
        .size:           8
        .value_kind:     global_buffer
      - .offset:         56
        .size:           16
        .value_kind:     by_value
      - .address_space:  global
        .offset:         72
        .size:           8
        .value_kind:     global_buffer
      - .offset:         80
        .size:           4
        .value_kind:     by_value
      - .offset:         84
        .size:           1
        .value_kind:     by_value
    .group_segment_fixed_size: 0
    .kernarg_segment_align: 8
    .kernarg_segment_size: 88
    .language:       OpenCL C
    .language_version:
      - 2
      - 0
    .max_flat_workgroup_size: 128
    .name:           _ZN9rocsparseL19gebsrmvn_4xn_kernelILj128ELj7ELj4E21rocsparse_complex_numIdEEEvi20rocsparse_direction_NS_24const_host_device_scalarIT2_EEPKiS8_PKS5_SA_S6_PS5_21rocsparse_index_base_b
    .private_segment_fixed_size: 0
    .sgpr_count:     16
    .sgpr_spill_count: 0
    .symbol:         _ZN9rocsparseL19gebsrmvn_4xn_kernelILj128ELj7ELj4E21rocsparse_complex_numIdEEEvi20rocsparse_direction_NS_24const_host_device_scalarIT2_EEPKiS8_PKS5_SA_S6_PS5_21rocsparse_index_base_b.kd
    .uniform_work_group_size: 1
    .uses_dynamic_stack: false
    .vgpr_count:     70
    .vgpr_spill_count: 0
    .wavefront_size: 32
    .workgroup_processor_mode: 1
  - .args:
      - .offset:         0
        .size:           4
        .value_kind:     by_value
      - .offset:         4
        .size:           4
        .value_kind:     by_value
      - .offset:         8
        .size:           16
        .value_kind:     by_value
      - .actual_access:  read_only
        .address_space:  global
        .offset:         24
        .size:           8
        .value_kind:     global_buffer
      - .actual_access:  read_only
        .address_space:  global
        .offset:         32
        .size:           8
        .value_kind:     global_buffer
      - .actual_access:  read_only
        .address_space:  global
        .offset:         40
        .size:           8
        .value_kind:     global_buffer
      - .actual_access:  read_only
        .address_space:  global
        .offset:         48
        .size:           8
        .value_kind:     global_buffer
      - .offset:         56
        .size:           16
        .value_kind:     by_value
      - .address_space:  global
        .offset:         72
        .size:           8
        .value_kind:     global_buffer
      - .offset:         80
        .size:           4
        .value_kind:     by_value
      - .offset:         84
        .size:           1
        .value_kind:     by_value
    .group_segment_fixed_size: 0
    .kernarg_segment_align: 8
    .kernarg_segment_size: 88
    .language:       OpenCL C
    .language_version:
      - 2
      - 0
    .max_flat_workgroup_size: 128
    .name:           _ZN9rocsparseL19gebsrmvn_4xn_kernelILj128ELj7ELj8E21rocsparse_complex_numIdEEEvi20rocsparse_direction_NS_24const_host_device_scalarIT2_EEPKiS8_PKS5_SA_S6_PS5_21rocsparse_index_base_b
    .private_segment_fixed_size: 0
    .sgpr_count:     16
    .sgpr_spill_count: 0
    .symbol:         _ZN9rocsparseL19gebsrmvn_4xn_kernelILj128ELj7ELj8E21rocsparse_complex_numIdEEEvi20rocsparse_direction_NS_24const_host_device_scalarIT2_EEPKiS8_PKS5_SA_S6_PS5_21rocsparse_index_base_b.kd
    .uniform_work_group_size: 1
    .uses_dynamic_stack: false
    .vgpr_count:     70
    .vgpr_spill_count: 0
    .wavefront_size: 32
    .workgroup_processor_mode: 1
  - .args:
      - .offset:         0
        .size:           4
        .value_kind:     by_value
      - .offset:         4
        .size:           4
        .value_kind:     by_value
      - .offset:         8
        .size:           16
        .value_kind:     by_value
      - .actual_access:  read_only
        .address_space:  global
        .offset:         24
        .size:           8
        .value_kind:     global_buffer
      - .actual_access:  read_only
        .address_space:  global
        .offset:         32
        .size:           8
        .value_kind:     global_buffer
      - .actual_access:  read_only
        .address_space:  global
        .offset:         40
        .size:           8
        .value_kind:     global_buffer
      - .actual_access:  read_only
        .address_space:  global
        .offset:         48
        .size:           8
        .value_kind:     global_buffer
      - .offset:         56
        .size:           16
        .value_kind:     by_value
      - .address_space:  global
        .offset:         72
        .size:           8
        .value_kind:     global_buffer
      - .offset:         80
        .size:           4
        .value_kind:     by_value
      - .offset:         84
        .size:           1
        .value_kind:     by_value
    .group_segment_fixed_size: 0
    .kernarg_segment_align: 8
    .kernarg_segment_size: 88
    .language:       OpenCL C
    .language_version:
      - 2
      - 0
    .max_flat_workgroup_size: 128
    .name:           _ZN9rocsparseL19gebsrmvn_4xn_kernelILj128ELj7ELj16E21rocsparse_complex_numIdEEEvi20rocsparse_direction_NS_24const_host_device_scalarIT2_EEPKiS8_PKS5_SA_S6_PS5_21rocsparse_index_base_b
    .private_segment_fixed_size: 0
    .sgpr_count:     16
    .sgpr_spill_count: 0
    .symbol:         _ZN9rocsparseL19gebsrmvn_4xn_kernelILj128ELj7ELj16E21rocsparse_complex_numIdEEEvi20rocsparse_direction_NS_24const_host_device_scalarIT2_EEPKiS8_PKS5_SA_S6_PS5_21rocsparse_index_base_b.kd
    .uniform_work_group_size: 1
    .uses_dynamic_stack: false
    .vgpr_count:     70
    .vgpr_spill_count: 0
    .wavefront_size: 32
    .workgroup_processor_mode: 1
  - .args:
      - .offset:         0
        .size:           4
        .value_kind:     by_value
      - .offset:         4
        .size:           4
        .value_kind:     by_value
      - .offset:         8
        .size:           16
        .value_kind:     by_value
      - .actual_access:  read_only
        .address_space:  global
        .offset:         24
        .size:           8
        .value_kind:     global_buffer
      - .actual_access:  read_only
        .address_space:  global
        .offset:         32
        .size:           8
        .value_kind:     global_buffer
      - .actual_access:  read_only
        .address_space:  global
        .offset:         40
        .size:           8
        .value_kind:     global_buffer
      - .actual_access:  read_only
        .address_space:  global
        .offset:         48
        .size:           8
        .value_kind:     global_buffer
      - .offset:         56
        .size:           16
        .value_kind:     by_value
      - .address_space:  global
        .offset:         72
        .size:           8
        .value_kind:     global_buffer
      - .offset:         80
        .size:           4
        .value_kind:     by_value
      - .offset:         84
        .size:           1
        .value_kind:     by_value
    .group_segment_fixed_size: 0
    .kernarg_segment_align: 8
    .kernarg_segment_size: 88
    .language:       OpenCL C
    .language_version:
      - 2
      - 0
    .max_flat_workgroup_size: 128
    .name:           _ZN9rocsparseL19gebsrmvn_4xn_kernelILj128ELj7ELj32E21rocsparse_complex_numIdEEEvi20rocsparse_direction_NS_24const_host_device_scalarIT2_EEPKiS8_PKS5_SA_S6_PS5_21rocsparse_index_base_b
    .private_segment_fixed_size: 0
    .sgpr_count:     16
    .sgpr_spill_count: 0
    .symbol:         _ZN9rocsparseL19gebsrmvn_4xn_kernelILj128ELj7ELj32E21rocsparse_complex_numIdEEEvi20rocsparse_direction_NS_24const_host_device_scalarIT2_EEPKiS8_PKS5_SA_S6_PS5_21rocsparse_index_base_b.kd
    .uniform_work_group_size: 1
    .uses_dynamic_stack: false
    .vgpr_count:     70
    .vgpr_spill_count: 0
    .wavefront_size: 32
    .workgroup_processor_mode: 1
  - .args:
      - .offset:         0
        .size:           4
        .value_kind:     by_value
      - .offset:         4
        .size:           4
        .value_kind:     by_value
      - .offset:         8
        .size:           16
        .value_kind:     by_value
      - .actual_access:  read_only
        .address_space:  global
        .offset:         24
        .size:           8
        .value_kind:     global_buffer
      - .actual_access:  read_only
        .address_space:  global
        .offset:         32
        .size:           8
        .value_kind:     global_buffer
      - .actual_access:  read_only
        .address_space:  global
        .offset:         40
        .size:           8
        .value_kind:     global_buffer
      - .actual_access:  read_only
        .address_space:  global
        .offset:         48
        .size:           8
        .value_kind:     global_buffer
      - .offset:         56
        .size:           16
        .value_kind:     by_value
      - .address_space:  global
        .offset:         72
        .size:           8
        .value_kind:     global_buffer
      - .offset:         80
        .size:           4
        .value_kind:     by_value
      - .offset:         84
        .size:           1
        .value_kind:     by_value
    .group_segment_fixed_size: 0
    .kernarg_segment_align: 8
    .kernarg_segment_size: 88
    .language:       OpenCL C
    .language_version:
      - 2
      - 0
    .max_flat_workgroup_size: 128
    .name:           _ZN9rocsparseL19gebsrmvn_4xn_kernelILj128ELj7ELj64E21rocsparse_complex_numIdEEEvi20rocsparse_direction_NS_24const_host_device_scalarIT2_EEPKiS8_PKS5_SA_S6_PS5_21rocsparse_index_base_b
    .private_segment_fixed_size: 0
    .sgpr_count:     16
    .sgpr_spill_count: 0
    .symbol:         _ZN9rocsparseL19gebsrmvn_4xn_kernelILj128ELj7ELj64E21rocsparse_complex_numIdEEEvi20rocsparse_direction_NS_24const_host_device_scalarIT2_EEPKiS8_PKS5_SA_S6_PS5_21rocsparse_index_base_b.kd
    .uniform_work_group_size: 1
    .uses_dynamic_stack: false
    .vgpr_count:     70
    .vgpr_spill_count: 0
    .wavefront_size: 32
    .workgroup_processor_mode: 1
  - .args:
      - .offset:         0
        .size:           4
        .value_kind:     by_value
      - .offset:         4
        .size:           4
        .value_kind:     by_value
      - .offset:         8
        .size:           16
        .value_kind:     by_value
      - .actual_access:  read_only
        .address_space:  global
        .offset:         24
        .size:           8
        .value_kind:     global_buffer
      - .actual_access:  read_only
        .address_space:  global
        .offset:         32
        .size:           8
        .value_kind:     global_buffer
      - .actual_access:  read_only
        .address_space:  global
        .offset:         40
        .size:           8
        .value_kind:     global_buffer
      - .actual_access:  read_only
        .address_space:  global
        .offset:         48
        .size:           8
        .value_kind:     global_buffer
      - .offset:         56
        .size:           16
        .value_kind:     by_value
      - .address_space:  global
        .offset:         72
        .size:           8
        .value_kind:     global_buffer
      - .offset:         80
        .size:           4
        .value_kind:     by_value
      - .offset:         84
        .size:           1
        .value_kind:     by_value
    .group_segment_fixed_size: 0
    .kernarg_segment_align: 8
    .kernarg_segment_size: 88
    .language:       OpenCL C
    .language_version:
      - 2
      - 0
    .max_flat_workgroup_size: 128
    .name:           _ZN9rocsparseL19gebsrmvn_4xn_kernelILj128ELj8ELj4E21rocsparse_complex_numIdEEEvi20rocsparse_direction_NS_24const_host_device_scalarIT2_EEPKiS8_PKS5_SA_S6_PS5_21rocsparse_index_base_b
    .private_segment_fixed_size: 0
    .sgpr_count:     18
    .sgpr_spill_count: 0
    .symbol:         _ZN9rocsparseL19gebsrmvn_4xn_kernelILj128ELj8ELj4E21rocsparse_complex_numIdEEEvi20rocsparse_direction_NS_24const_host_device_scalarIT2_EEPKiS8_PKS5_SA_S6_PS5_21rocsparse_index_base_b.kd
    .uniform_work_group_size: 1
    .uses_dynamic_stack: false
    .vgpr_count:     77
    .vgpr_spill_count: 0
    .wavefront_size: 32
    .workgroup_processor_mode: 1
  - .args:
      - .offset:         0
        .size:           4
        .value_kind:     by_value
      - .offset:         4
        .size:           4
        .value_kind:     by_value
      - .offset:         8
        .size:           16
        .value_kind:     by_value
      - .actual_access:  read_only
        .address_space:  global
        .offset:         24
        .size:           8
        .value_kind:     global_buffer
      - .actual_access:  read_only
        .address_space:  global
        .offset:         32
        .size:           8
        .value_kind:     global_buffer
      - .actual_access:  read_only
        .address_space:  global
        .offset:         40
        .size:           8
        .value_kind:     global_buffer
      - .actual_access:  read_only
        .address_space:  global
        .offset:         48
        .size:           8
        .value_kind:     global_buffer
      - .offset:         56
        .size:           16
        .value_kind:     by_value
      - .address_space:  global
        .offset:         72
        .size:           8
        .value_kind:     global_buffer
      - .offset:         80
        .size:           4
        .value_kind:     by_value
      - .offset:         84
        .size:           1
        .value_kind:     by_value
    .group_segment_fixed_size: 0
    .kernarg_segment_align: 8
    .kernarg_segment_size: 88
    .language:       OpenCL C
    .language_version:
      - 2
      - 0
    .max_flat_workgroup_size: 128
    .name:           _ZN9rocsparseL19gebsrmvn_4xn_kernelILj128ELj8ELj8E21rocsparse_complex_numIdEEEvi20rocsparse_direction_NS_24const_host_device_scalarIT2_EEPKiS8_PKS5_SA_S6_PS5_21rocsparse_index_base_b
    .private_segment_fixed_size: 0
    .sgpr_count:     18
    .sgpr_spill_count: 0
    .symbol:         _ZN9rocsparseL19gebsrmvn_4xn_kernelILj128ELj8ELj8E21rocsparse_complex_numIdEEEvi20rocsparse_direction_NS_24const_host_device_scalarIT2_EEPKiS8_PKS5_SA_S6_PS5_21rocsparse_index_base_b.kd
    .uniform_work_group_size: 1
    .uses_dynamic_stack: false
    .vgpr_count:     77
    .vgpr_spill_count: 0
    .wavefront_size: 32
    .workgroup_processor_mode: 1
  - .args:
      - .offset:         0
        .size:           4
        .value_kind:     by_value
      - .offset:         4
        .size:           4
        .value_kind:     by_value
      - .offset:         8
        .size:           16
        .value_kind:     by_value
      - .actual_access:  read_only
        .address_space:  global
        .offset:         24
        .size:           8
        .value_kind:     global_buffer
      - .actual_access:  read_only
        .address_space:  global
        .offset:         32
        .size:           8
        .value_kind:     global_buffer
      - .actual_access:  read_only
        .address_space:  global
        .offset:         40
        .size:           8
        .value_kind:     global_buffer
      - .actual_access:  read_only
        .address_space:  global
        .offset:         48
        .size:           8
        .value_kind:     global_buffer
      - .offset:         56
        .size:           16
        .value_kind:     by_value
      - .address_space:  global
        .offset:         72
        .size:           8
        .value_kind:     global_buffer
      - .offset:         80
        .size:           4
        .value_kind:     by_value
      - .offset:         84
        .size:           1
        .value_kind:     by_value
    .group_segment_fixed_size: 0
    .kernarg_segment_align: 8
    .kernarg_segment_size: 88
    .language:       OpenCL C
    .language_version:
      - 2
      - 0
    .max_flat_workgroup_size: 128
    .name:           _ZN9rocsparseL19gebsrmvn_4xn_kernelILj128ELj8ELj16E21rocsparse_complex_numIdEEEvi20rocsparse_direction_NS_24const_host_device_scalarIT2_EEPKiS8_PKS5_SA_S6_PS5_21rocsparse_index_base_b
    .private_segment_fixed_size: 0
    .sgpr_count:     18
    .sgpr_spill_count: 0
    .symbol:         _ZN9rocsparseL19gebsrmvn_4xn_kernelILj128ELj8ELj16E21rocsparse_complex_numIdEEEvi20rocsparse_direction_NS_24const_host_device_scalarIT2_EEPKiS8_PKS5_SA_S6_PS5_21rocsparse_index_base_b.kd
    .uniform_work_group_size: 1
    .uses_dynamic_stack: false
    .vgpr_count:     77
    .vgpr_spill_count: 0
    .wavefront_size: 32
    .workgroup_processor_mode: 1
  - .args:
      - .offset:         0
        .size:           4
        .value_kind:     by_value
      - .offset:         4
        .size:           4
        .value_kind:     by_value
      - .offset:         8
        .size:           16
        .value_kind:     by_value
      - .actual_access:  read_only
        .address_space:  global
        .offset:         24
        .size:           8
        .value_kind:     global_buffer
      - .actual_access:  read_only
        .address_space:  global
        .offset:         32
        .size:           8
        .value_kind:     global_buffer
      - .actual_access:  read_only
        .address_space:  global
        .offset:         40
        .size:           8
        .value_kind:     global_buffer
      - .actual_access:  read_only
        .address_space:  global
        .offset:         48
        .size:           8
        .value_kind:     global_buffer
      - .offset:         56
        .size:           16
        .value_kind:     by_value
      - .address_space:  global
        .offset:         72
        .size:           8
        .value_kind:     global_buffer
      - .offset:         80
        .size:           4
        .value_kind:     by_value
      - .offset:         84
        .size:           1
        .value_kind:     by_value
    .group_segment_fixed_size: 0
    .kernarg_segment_align: 8
    .kernarg_segment_size: 88
    .language:       OpenCL C
    .language_version:
      - 2
      - 0
    .max_flat_workgroup_size: 128
    .name:           _ZN9rocsparseL19gebsrmvn_4xn_kernelILj128ELj8ELj32E21rocsparse_complex_numIdEEEvi20rocsparse_direction_NS_24const_host_device_scalarIT2_EEPKiS8_PKS5_SA_S6_PS5_21rocsparse_index_base_b
    .private_segment_fixed_size: 0
    .sgpr_count:     18
    .sgpr_spill_count: 0
    .symbol:         _ZN9rocsparseL19gebsrmvn_4xn_kernelILj128ELj8ELj32E21rocsparse_complex_numIdEEEvi20rocsparse_direction_NS_24const_host_device_scalarIT2_EEPKiS8_PKS5_SA_S6_PS5_21rocsparse_index_base_b.kd
    .uniform_work_group_size: 1
    .uses_dynamic_stack: false
    .vgpr_count:     77
    .vgpr_spill_count: 0
    .wavefront_size: 32
    .workgroup_processor_mode: 1
  - .args:
      - .offset:         0
        .size:           4
        .value_kind:     by_value
      - .offset:         4
        .size:           4
        .value_kind:     by_value
      - .offset:         8
        .size:           16
        .value_kind:     by_value
      - .actual_access:  read_only
        .address_space:  global
        .offset:         24
        .size:           8
        .value_kind:     global_buffer
      - .actual_access:  read_only
        .address_space:  global
        .offset:         32
        .size:           8
        .value_kind:     global_buffer
      - .actual_access:  read_only
        .address_space:  global
        .offset:         40
        .size:           8
        .value_kind:     global_buffer
      - .actual_access:  read_only
        .address_space:  global
        .offset:         48
        .size:           8
        .value_kind:     global_buffer
      - .offset:         56
        .size:           16
        .value_kind:     by_value
      - .address_space:  global
        .offset:         72
        .size:           8
        .value_kind:     global_buffer
      - .offset:         80
        .size:           4
        .value_kind:     by_value
      - .offset:         84
        .size:           1
        .value_kind:     by_value
    .group_segment_fixed_size: 0
    .kernarg_segment_align: 8
    .kernarg_segment_size: 88
    .language:       OpenCL C
    .language_version:
      - 2
      - 0
    .max_flat_workgroup_size: 128
    .name:           _ZN9rocsparseL19gebsrmvn_4xn_kernelILj128ELj8ELj64E21rocsparse_complex_numIdEEEvi20rocsparse_direction_NS_24const_host_device_scalarIT2_EEPKiS8_PKS5_SA_S6_PS5_21rocsparse_index_base_b
    .private_segment_fixed_size: 0
    .sgpr_count:     18
    .sgpr_spill_count: 0
    .symbol:         _ZN9rocsparseL19gebsrmvn_4xn_kernelILj128ELj8ELj64E21rocsparse_complex_numIdEEEvi20rocsparse_direction_NS_24const_host_device_scalarIT2_EEPKiS8_PKS5_SA_S6_PS5_21rocsparse_index_base_b.kd
    .uniform_work_group_size: 1
    .uses_dynamic_stack: false
    .vgpr_count:     77
    .vgpr_spill_count: 0
    .wavefront_size: 32
    .workgroup_processor_mode: 1
  - .args:
      - .offset:         0
        .size:           4
        .value_kind:     by_value
      - .offset:         4
        .size:           4
        .value_kind:     by_value
      - .offset:         8
        .size:           16
        .value_kind:     by_value
      - .actual_access:  read_only
        .address_space:  global
        .offset:         24
        .size:           8
        .value_kind:     global_buffer
      - .actual_access:  read_only
        .address_space:  global
        .offset:         32
        .size:           8
        .value_kind:     global_buffer
      - .actual_access:  read_only
        .address_space:  global
        .offset:         40
        .size:           8
        .value_kind:     global_buffer
      - .offset:         48
        .size:           4
        .value_kind:     by_value
      - .offset:         52
        .size:           4
        .value_kind:     by_value
      - .actual_access:  read_only
        .address_space:  global
        .offset:         56
        .size:           8
        .value_kind:     global_buffer
      - .offset:         64
        .size:           16
        .value_kind:     by_value
      - .address_space:  global
        .offset:         80
        .size:           8
        .value_kind:     global_buffer
      - .offset:         88
        .size:           4
        .value_kind:     by_value
      - .offset:         92
        .size:           1
        .value_kind:     by_value
    .group_segment_fixed_size: 0
    .kernarg_segment_align: 8
    .kernarg_segment_size: 96
    .language:       OpenCL C
    .language_version:
      - 2
      - 0
    .max_flat_workgroup_size: 64
    .name:           _ZN9rocsparseL23gebsrmvn_general_kernelILj64ELj16E21rocsparse_complex_numIdEEEvi20rocsparse_direction_NS_24const_host_device_scalarIT1_EEPKiS8_PKS5_iiSA_S6_PS5_21rocsparse_index_base_b
    .private_segment_fixed_size: 0
    .sgpr_count:     30
    .sgpr_spill_count: 0
    .symbol:         _ZN9rocsparseL23gebsrmvn_general_kernelILj64ELj16E21rocsparse_complex_numIdEEEvi20rocsparse_direction_NS_24const_host_device_scalarIT1_EEPKiS8_PKS5_iiSA_S6_PS5_21rocsparse_index_base_b.kd
    .uniform_work_group_size: 1
    .uses_dynamic_stack: false
    .vgpr_count:     31
    .vgpr_spill_count: 0
    .wavefront_size: 32
    .workgroup_processor_mode: 1
  - .args:
      - .offset:         0
        .size:           4
        .value_kind:     by_value
      - .offset:         4
        .size:           4
        .value_kind:     by_value
      - .offset:         8
        .size:           16
        .value_kind:     by_value
      - .actual_access:  read_only
        .address_space:  global
        .offset:         24
        .size:           8
        .value_kind:     global_buffer
      - .actual_access:  read_only
        .address_space:  global
        .offset:         32
        .size:           8
        .value_kind:     global_buffer
      - .actual_access:  read_only
        .address_space:  global
        .offset:         40
        .size:           8
        .value_kind:     global_buffer
      - .offset:         48
        .size:           4
        .value_kind:     by_value
      - .offset:         52
        .size:           4
        .value_kind:     by_value
      - .actual_access:  read_only
        .address_space:  global
        .offset:         56
        .size:           8
        .value_kind:     global_buffer
      - .offset:         64
        .size:           16
        .value_kind:     by_value
      - .address_space:  global
        .offset:         80
        .size:           8
        .value_kind:     global_buffer
      - .offset:         88
        .size:           4
        .value_kind:     by_value
      - .offset:         92
        .size:           1
        .value_kind:     by_value
    .group_segment_fixed_size: 0
    .kernarg_segment_align: 8
    .kernarg_segment_size: 96
    .language:       OpenCL C
    .language_version:
      - 2
      - 0
    .max_flat_workgroup_size: 128
    .name:           _ZN9rocsparseL23gebsrmvn_general_kernelILj128ELj32E21rocsparse_complex_numIdEEEvi20rocsparse_direction_NS_24const_host_device_scalarIT1_EEPKiS8_PKS5_iiSA_S6_PS5_21rocsparse_index_base_b
    .private_segment_fixed_size: 0
    .sgpr_count:     30
    .sgpr_spill_count: 0
    .symbol:         _ZN9rocsparseL23gebsrmvn_general_kernelILj128ELj32E21rocsparse_complex_numIdEEEvi20rocsparse_direction_NS_24const_host_device_scalarIT1_EEPKiS8_PKS5_iiSA_S6_PS5_21rocsparse_index_base_b.kd
    .uniform_work_group_size: 1
    .uses_dynamic_stack: false
    .vgpr_count:     32
    .vgpr_spill_count: 0
    .wavefront_size: 32
    .workgroup_processor_mode: 1
amdhsa.target:   amdgcn-amd-amdhsa--gfx1201
amdhsa.version:
  - 1
  - 2
...

	.end_amdgpu_metadata
